;; amdgpu-corpus repo=ROCm/rocSPARSE kind=compiled arch=gfx1100 opt=O3
	.text
	.amdgcn_target "amdgcn-amd-amdhsa--gfx1100"
	.amdhsa_code_object_version 6
	.section	.text._ZN9rocsparseL38csrgemm_numeric_fill_wf_per_row_kernelILj256ELj8ELj16ELj137EiifEEvT4_S1_PKS1_S3_NS_24const_host_device_scalarIT5_EEPKT3_S3_PKS5_S9_S3_SB_S6_S9_S3_SB_S9_S3_PS5_21rocsparse_index_base_SD_SD_SD_bbb,"axG",@progbits,_ZN9rocsparseL38csrgemm_numeric_fill_wf_per_row_kernelILj256ELj8ELj16ELj137EiifEEvT4_S1_PKS1_S3_NS_24const_host_device_scalarIT5_EEPKT3_S3_PKS5_S9_S3_SB_S6_S9_S3_SB_S9_S3_PS5_21rocsparse_index_base_SD_SD_SD_bbb,comdat
	.globl	_ZN9rocsparseL38csrgemm_numeric_fill_wf_per_row_kernelILj256ELj8ELj16ELj137EiifEEvT4_S1_PKS1_S3_NS_24const_host_device_scalarIT5_EEPKT3_S3_PKS5_S9_S3_SB_S6_S9_S3_SB_S9_S3_PS5_21rocsparse_index_base_SD_SD_SD_bbb ; -- Begin function _ZN9rocsparseL38csrgemm_numeric_fill_wf_per_row_kernelILj256ELj8ELj16ELj137EiifEEvT4_S1_PKS1_S3_NS_24const_host_device_scalarIT5_EEPKT3_S3_PKS5_S9_S3_SB_S6_S9_S3_SB_S9_S3_PS5_21rocsparse_index_base_SD_SD_SD_bbb
	.p2align	8
	.type	_ZN9rocsparseL38csrgemm_numeric_fill_wf_per_row_kernelILj256ELj8ELj16ELj137EiifEEvT4_S1_PKS1_S3_NS_24const_host_device_scalarIT5_EEPKT3_S3_PKS5_S9_S3_SB_S6_S9_S3_SB_S9_S3_PS5_21rocsparse_index_base_SD_SD_SD_bbb,@function
_ZN9rocsparseL38csrgemm_numeric_fill_wf_per_row_kernelILj256ELj8ELj16ELj137EiifEEvT4_S1_PKS1_S3_NS_24const_host_device_scalarIT5_EEPKT3_S3_PKS5_S9_S3_SB_S6_S9_S3_SB_S9_S3_PS5_21rocsparse_index_base_SD_SD_SD_bbb: ; @_ZN9rocsparseL38csrgemm_numeric_fill_wf_per_row_kernelILj256ELj8ELj16ELj137EiifEEvT4_S1_PKS1_S3_NS_24const_host_device_scalarIT5_EEPKT3_S3_PKS5_S9_S3_SB_S6_S9_S3_SB_S9_S3_PS5_21rocsparse_index_base_SD_SD_SD_bbb
; %bb.0:
	s_clause 0x3
	s_load_b32 s14, s[0:1], 0x98
	s_load_b128 s[24:27], s[0:1], 0x88
	s_load_b64 s[2:3], s[0:1], 0x18
	s_load_b64 s[12:13], s[0:1], 0x50
	s_waitcnt lgkmcnt(0)
	s_bitcmp1_b32 s14, 0
	s_cselect_b32 s33, -1, 0
	s_bitcmp1_b32 s14, 16
	s_cselect_b32 s34, -1, 0
	s_xor_b32 s4, s33, -1
	s_delay_alu instid0(SALU_CYCLE_1) | instskip(NEXT) | instid1(SALU_CYCLE_1)
	s_or_b32 s4, s4, s34
	s_and_b32 vcc_lo, exec_lo, s4
	s_cbranch_vccnz .LBB0_2
; %bb.1:
	s_load_b32 s2, s[2:3], 0x0
	s_waitcnt lgkmcnt(0)
	v_mov_b32_e32 v12, s2
	s_branch .LBB0_3
.LBB0_2:
	v_cndmask_b32_e64 v12, 0, s2, s33
.LBB0_3:
	s_clause 0x4
	s_load_b64 s[2:3], s[0:1], 0x80
	s_load_b256 s[4:11], s[0:1], 0x58
	s_load_b128 s[28:31], s[0:1], 0x40
	s_load_b128 s[36:39], s[0:1], 0x8
	s_load_b256 s[16:23], s[0:1], 0x20
	s_bitcmp1_b32 s14, 8
	s_cselect_b32 s14, -1, 0
	s_delay_alu instid0(SALU_CYCLE_1) | instskip(NEXT) | instid1(SALU_CYCLE_1)
	s_xor_b32 s35, s14, -1
	s_or_b32 s34, s35, s34
	s_delay_alu instid0(SALU_CYCLE_1)
	s_and_b32 vcc_lo, exec_lo, s34
	s_cbranch_vccnz .LBB0_5
; %bb.4:
	s_load_b32 s12, s[12:13], 0x0
	s_waitcnt lgkmcnt(0)
	v_mov_b32_e32 v10, s12
	s_branch .LBB0_6
.LBB0_5:
	v_cndmask_b32_e64 v10, 0, s12, s14
.LBB0_6:
	s_load_b64 s[0:1], s[0:1], 0x0
	v_and_b32_e32 v13, 7, v0
	v_lshrrev_b32_e32 v2, 3, v0
	s_mov_b32 s12, 0
	s_delay_alu instid0(VALU_DEP_2) | instskip(NEXT) | instid1(VALU_DEP_1)
	v_lshlrev_b32_e32 v0, 2, v13
	v_lshl_or_b32 v7, v2, 6, v0
	v_mov_b32_e32 v0, 0
	v_or_b32_e32 v8, -8, v13
	s_delay_alu instid0(VALU_DEP_1)
	v_dual_mov_b32 v1, v7 :: v_dual_mov_b32 v4, v8
	s_waitcnt lgkmcnt(0)
	v_mov_b32_e32 v3, s1
.LBB0_7:                                ; =>This Inner Loop Header: Depth=1
	s_delay_alu instid0(VALU_DEP_2) | instskip(NEXT) | instid1(VALU_DEP_1)
	v_add_co_u32 v4, s13, v4, 8
	s_xor_b32 s13, s13, -1
	ds_store_2addr_stride64_b32 v1, v0, v3 offset1:8
	v_add_nc_u32_e32 v1, 32, v1
	s_and_b32 s13, exec_lo, s13
	s_delay_alu instid0(SALU_CYCLE_1) | instskip(NEXT) | instid1(SALU_CYCLE_1)
	s_or_b32 s12, s13, s12
	s_and_not1_b32 exec_lo, exec_lo, s12
	s_cbranch_execnz .LBB0_7
; %bb.8:
	s_or_b32 exec_lo, exec_lo, s12
	s_lshl_b32 s12, s15, 5
	s_waitcnt lgkmcnt(0)
	buffer_gl0_inv
	v_and_or_b32 v0, 0x1fffffe0, s12, v2
	s_delay_alu instid0(VALU_DEP_1)
	v_cmp_gt_i32_e32 vcc_lo, s0, v0
	s_and_saveexec_b32 s0, vcc_lo
	s_cbranch_execz .LBB0_52
; %bb.9:
	s_cmp_eq_u64 s[38:39], 0
	s_cbranch_scc1 .LBB0_11
; %bb.10:
	s_load_b32 s0, s[36:37], 0x0
	s_waitcnt lgkmcnt(0)
	v_add_nc_u32_e32 v0, s0, v0
	s_delay_alu instid0(VALU_DEP_1) | instskip(NEXT) | instid1(VALU_DEP_1)
	v_ashrrev_i32_e32 v1, 31, v0
	v_lshlrev_b64 v[0:1], 2, v[0:1]
	s_delay_alu instid0(VALU_DEP_1) | instskip(NEXT) | instid1(VALU_DEP_2)
	v_add_co_u32 v0, vcc_lo, s38, v0
	v_add_co_ci_u32_e32 v1, vcc_lo, s39, v1, vcc_lo
	global_load_b32 v0, v[0:1], off
.LBB0_11:
	s_waitcnt vmcnt(0)
	v_ashrrev_i32_e32 v1, 31, v0
	v_lshlrev_b32_e32 v11, 6, v2
	s_and_not1_b32 vcc_lo, exec_lo, s33
	s_delay_alu instid0(VALU_DEP_2) | instskip(NEXT) | instid1(VALU_DEP_2)
	v_lshlrev_b64 v[0:1], 2, v[0:1]
	v_or_b32_e32 v9, 0x800, v11
	s_cbranch_vccnz .LBB0_31
; %bb.12:
	s_delay_alu instid0(VALU_DEP_2) | instskip(NEXT) | instid1(VALU_DEP_3)
	v_add_co_u32 v2, vcc_lo, s16, v0
	v_add_co_ci_u32_e32 v3, vcc_lo, s17, v1, vcc_lo
	v_subrev_nc_u32_e32 v4, s24, v13
	s_mov_b32 s0, exec_lo
	global_load_b64 v[2:3], v[2:3], off
	s_waitcnt vmcnt(0)
	v_subrev_nc_u32_e32 v14, s24, v3
	v_add_nc_u32_e32 v2, v2, v4
	s_delay_alu instid0(VALU_DEP_1)
	v_cmpx_lt_i32_e64 v2, v14
	s_cbranch_execz .LBB0_30
; %bb.13:
	s_mov_b32 s12, 0
	s_branch .LBB0_15
.LBB0_14:                               ;   in Loop: Header=BB0_15 Depth=1
	s_or_b32 exec_lo, exec_lo, s13
	v_add_nc_u32_e32 v2, 8, v2
	s_delay_alu instid0(VALU_DEP_1) | instskip(SKIP_1) | instid1(SALU_CYCLE_1)
	v_cmp_ge_i32_e32 vcc_lo, v2, v14
	s_or_b32 s12, vcc_lo, s12
	s_and_not1_b32 exec_lo, exec_lo, s12
	s_cbranch_execz .LBB0_30
.LBB0_15:                               ; =>This Loop Header: Depth=1
                                        ;     Child Loop BB0_18 Depth 2
                                        ;       Child Loop BB0_20 Depth 3
	v_ashrrev_i32_e32 v3, 31, v2
	s_mov_b32 s13, exec_lo
	s_delay_alu instid0(VALU_DEP_1) | instskip(NEXT) | instid1(VALU_DEP_1)
	v_lshlrev_b64 v[3:4], 2, v[2:3]
	v_add_co_u32 v5, vcc_lo, s18, v3
	s_delay_alu instid0(VALU_DEP_2) | instskip(SKIP_3) | instid1(VALU_DEP_1)
	v_add_co_ci_u32_e32 v6, vcc_lo, s19, v4, vcc_lo
	global_load_b32 v5, v[5:6], off
	s_waitcnt vmcnt(0)
	v_subrev_nc_u32_e32 v5, s24, v5
	v_ashrrev_i32_e32 v6, 31, v5
	s_delay_alu instid0(VALU_DEP_1) | instskip(NEXT) | instid1(VALU_DEP_1)
	v_lshlrev_b64 v[5:6], 2, v[5:6]
	v_add_co_u32 v5, vcc_lo, s22, v5
	s_delay_alu instid0(VALU_DEP_2)
	v_add_co_ci_u32_e32 v6, vcc_lo, s23, v6, vcc_lo
	global_load_b64 v[5:6], v[5:6], off
	s_waitcnt vmcnt(0)
	v_cmpx_lt_i32_e64 v5, v6
	s_cbranch_execz .LBB0_14
; %bb.16:                               ;   in Loop: Header=BB0_15 Depth=1
	v_add_co_u32 v3, vcc_lo, s20, v3
	v_add_co_ci_u32_e32 v4, vcc_lo, s21, v4, vcc_lo
	v_subrev_nc_u32_e32 v6, s25, v6
	s_mov_b32 s15, 0
	global_load_b32 v3, v[3:4], off
	s_waitcnt vmcnt(0)
	v_mul_f32_e32 v15, v12, v3
	v_subrev_nc_u32_e32 v3, s25, v5
	s_branch .LBB0_18
.LBB0_17:                               ;   in Loop: Header=BB0_18 Depth=2
	s_or_b32 exec_lo, exec_lo, s16
	v_add_nc_u32_e32 v3, 1, v3
	s_delay_alu instid0(VALU_DEP_1) | instskip(SKIP_1) | instid1(SALU_CYCLE_1)
	v_cmp_ge_i32_e32 vcc_lo, v3, v6
	s_or_b32 s15, vcc_lo, s15
	s_and_not1_b32 exec_lo, exec_lo, s15
	s_cbranch_execz .LBB0_14
.LBB0_18:                               ;   Parent Loop BB0_15 Depth=1
                                        ; =>  This Loop Header: Depth=2
                                        ;       Child Loop BB0_20 Depth 3
	s_delay_alu instid0(VALU_DEP_1) | instskip(SKIP_1) | instid1(VALU_DEP_1)
	v_ashrrev_i32_e32 v4, 31, v3
	s_mov_b32 s16, 0
	v_lshlrev_b64 v[4:5], 2, v[3:4]
	s_delay_alu instid0(VALU_DEP_1) | instskip(NEXT) | instid1(VALU_DEP_2)
	v_add_co_u32 v16, vcc_lo, s28, v4
	v_add_co_ci_u32_e32 v17, vcc_lo, s29, v5, vcc_lo
	v_add_co_u32 v4, vcc_lo, s30, v4
	v_add_co_ci_u32_e32 v5, vcc_lo, s31, v5, vcc_lo
	global_load_b32 v16, v[16:17], off
	global_load_b32 v5, v[4:5], off
	s_waitcnt vmcnt(1)
	v_subrev_nc_u32_e32 v4, s25, v16
	s_delay_alu instid0(VALU_DEP_1) | instskip(SKIP_1) | instid1(VALU_DEP_1)
	v_lshl_add_u32 v16, v4, 3, v4
	s_waitcnt vmcnt(0)
	v_dual_mul_f32 v5, v15, v5 :: v_dual_and_b32 v16, 15, v16
	s_branch .LBB0_20
.LBB0_19:                               ;   in Loop: Header=BB0_20 Depth=3
	s_or_b32 exec_lo, exec_lo, s17
	s_xor_b32 s17, s33, -1
	s_delay_alu instid0(SALU_CYCLE_1) | instskip(NEXT) | instid1(SALU_CYCLE_1)
	s_and_b32 s17, exec_lo, s17
	s_or_b32 s16, s17, s16
	s_delay_alu instid0(SALU_CYCLE_1)
	s_and_not1_b32 exec_lo, exec_lo, s16
	s_cbranch_execz .LBB0_17
.LBB0_20:                               ;   Parent Loop BB0_15 Depth=1
                                        ;     Parent Loop BB0_18 Depth=2
                                        ; =>    This Inner Loop Header: Depth=3
	s_delay_alu instid0(VALU_DEP_1)
	v_lshl_add_u32 v17, v16, 2, v9
	s_mov_b32 s17, exec_lo
                                        ; implicit-def: $sgpr33
	ds_load_b32 v18, v17
	s_waitcnt lgkmcnt(0)
	v_cmpx_ne_u32_e64 v18, v4
	s_xor_b32 s17, exec_lo, s17
	s_cbranch_execz .LBB0_28
; %bb.21:                               ;   in Loop: Header=BB0_20 Depth=3
	s_mov_b32 s34, exec_lo
                                        ; implicit-def: $sgpr33
	v_cmpx_ne_u32_e64 s1, v18
	s_xor_b32 s34, exec_lo, s34
; %bb.22:                               ;   in Loop: Header=BB0_20 Depth=3
	v_add_nc_u32_e32 v16, 1, v16
	s_mov_b32 s33, -1
                                        ; implicit-def: $vgpr17
	s_delay_alu instid0(VALU_DEP_1)
	v_and_b32_e32 v16, 15, v16
; %bb.23:                               ;   in Loop: Header=BB0_20 Depth=3
	s_and_not1_saveexec_b32 s34, s34
	s_cbranch_execz .LBB0_27
; %bb.24:                               ;   in Loop: Header=BB0_20 Depth=3
	v_mov_b32_e32 v18, s1
	s_mov_b32 s35, -1
	s_mov_b32 s36, exec_lo
	ds_cmpstore_rtn_b32 v17, v17, v4, v18
	s_waitcnt lgkmcnt(0)
	v_cmpx_eq_u32_e64 s1, v17
	s_cbranch_execz .LBB0_26
; %bb.25:                               ;   in Loop: Header=BB0_20 Depth=3
	v_lshl_add_u32 v17, v16, 2, v11
	s_xor_b32 s35, exec_lo, -1
	ds_add_f32 v17, v5
.LBB0_26:                               ;   in Loop: Header=BB0_20 Depth=3
	s_or_b32 exec_lo, exec_lo, s36
	s_delay_alu instid0(SALU_CYCLE_1) | instskip(SKIP_1) | instid1(SALU_CYCLE_1)
	s_and_not1_b32 s33, s33, exec_lo
	s_and_b32 s35, s35, exec_lo
	s_or_b32 s33, s33, s35
.LBB0_27:                               ;   in Loop: Header=BB0_20 Depth=3
	s_or_b32 exec_lo, exec_lo, s34
	s_delay_alu instid0(SALU_CYCLE_1)
	s_and_b32 s33, s33, exec_lo
.LBB0_28:                               ;   in Loop: Header=BB0_20 Depth=3
	s_and_not1_saveexec_b32 s17, s17
	s_cbranch_execz .LBB0_19
; %bb.29:                               ;   in Loop: Header=BB0_20 Depth=3
	v_lshl_add_u32 v17, v16, 2, v11
	s_and_not1_b32 s33, s33, exec_lo
	ds_add_f32 v17, v5
	s_branch .LBB0_19
.LBB0_30:
	s_or_b32 exec_lo, exec_lo, s0
.LBB0_31:
	s_delay_alu instid0(SALU_CYCLE_1)
	s_and_not1_b32 vcc_lo, exec_lo, s14
	s_cbranch_vccnz .LBB0_48
; %bb.32:
	s_delay_alu instid0(VALU_DEP_2)
	v_add_co_u32 v2, vcc_lo, s4, v0
	v_add_co_ci_u32_e32 v3, vcc_lo, s5, v1, vcc_lo
	v_subrev_nc_u32_e32 v5, s27, v13
	s_mov_b32 s0, exec_lo
	global_load_b64 v[2:3], v[2:3], off
	s_waitcnt vmcnt(0)
	v_subrev_nc_u32_e32 v4, s27, v3
	v_add_nc_u32_e32 v2, v2, v5
	s_delay_alu instid0(VALU_DEP_1)
	v_cmpx_lt_i32_e64 v2, v4
	s_cbranch_execz .LBB0_47
; %bb.33:
	s_mov_b32 s4, 0
	s_branch .LBB0_35
.LBB0_34:                               ;   in Loop: Header=BB0_35 Depth=1
	s_or_b32 exec_lo, exec_lo, s5
	v_add_nc_u32_e32 v2, 8, v2
	s_delay_alu instid0(VALU_DEP_1) | instskip(SKIP_1) | instid1(SALU_CYCLE_1)
	v_cmp_ge_i32_e32 vcc_lo, v2, v4
	s_or_b32 s4, vcc_lo, s4
	s_and_not1_b32 exec_lo, exec_lo, s4
	s_cbranch_execz .LBB0_47
.LBB0_35:                               ; =>This Loop Header: Depth=1
                                        ;     Child Loop BB0_37 Depth 2
	v_ashrrev_i32_e32 v3, 31, v2
	s_mov_b32 s5, 0
	s_delay_alu instid0(VALU_DEP_1) | instskip(NEXT) | instid1(VALU_DEP_1)
	v_lshlrev_b64 v[5:6], 2, v[2:3]
	v_add_co_u32 v12, vcc_lo, s6, v5
	s_delay_alu instid0(VALU_DEP_2)
	v_add_co_ci_u32_e32 v13, vcc_lo, s7, v6, vcc_lo
	v_add_co_u32 v5, vcc_lo, s8, v5
	v_add_co_ci_u32_e32 v6, vcc_lo, s9, v6, vcc_lo
	global_load_b32 v3, v[12:13], off
	global_load_b32 v5, v[5:6], off
	s_waitcnt vmcnt(1)
	v_subrev_nc_u32_e32 v3, s27, v3
	s_delay_alu instid0(VALU_DEP_1) | instskip(SKIP_1) | instid1(VALU_DEP_1)
	v_lshl_add_u32 v6, v3, 3, v3
	s_waitcnt vmcnt(0)
	v_dual_mul_f32 v5, v10, v5 :: v_dual_and_b32 v6, 15, v6
	s_branch .LBB0_37
.LBB0_36:                               ;   in Loop: Header=BB0_37 Depth=2
	s_or_b32 exec_lo, exec_lo, s12
	s_xor_b32 s12, s13, -1
	s_delay_alu instid0(SALU_CYCLE_1) | instskip(NEXT) | instid1(SALU_CYCLE_1)
	s_and_b32 s12, exec_lo, s12
	s_or_b32 s5, s12, s5
	s_delay_alu instid0(SALU_CYCLE_1)
	s_and_not1_b32 exec_lo, exec_lo, s5
	s_cbranch_execz .LBB0_34
.LBB0_37:                               ;   Parent Loop BB0_35 Depth=1
                                        ; =>  This Inner Loop Header: Depth=2
	s_delay_alu instid0(VALU_DEP_1)
	v_lshl_add_u32 v12, v6, 2, v9
	s_mov_b32 s12, exec_lo
                                        ; implicit-def: $sgpr13
	ds_load_b32 v13, v12
	s_waitcnt lgkmcnt(0)
	v_cmpx_ne_u32_e64 v13, v3
	s_xor_b32 s12, exec_lo, s12
	s_cbranch_execz .LBB0_45
; %bb.38:                               ;   in Loop: Header=BB0_37 Depth=2
	s_mov_b32 s14, exec_lo
                                        ; implicit-def: $sgpr13
	v_cmpx_ne_u32_e64 s1, v13
	s_xor_b32 s14, exec_lo, s14
; %bb.39:                               ;   in Loop: Header=BB0_37 Depth=2
	v_add_nc_u32_e32 v6, 1, v6
	s_mov_b32 s13, -1
                                        ; implicit-def: $vgpr12
	s_delay_alu instid0(VALU_DEP_1)
	v_and_b32_e32 v6, 15, v6
; %bb.40:                               ;   in Loop: Header=BB0_37 Depth=2
	s_and_not1_saveexec_b32 s14, s14
	s_cbranch_execz .LBB0_44
; %bb.41:                               ;   in Loop: Header=BB0_37 Depth=2
	v_mov_b32_e32 v13, s1
	s_mov_b32 s15, -1
	s_mov_b32 s16, exec_lo
	ds_cmpstore_rtn_b32 v12, v12, v3, v13
	s_waitcnt lgkmcnt(0)
	v_cmpx_eq_u32_e64 s1, v12
	s_cbranch_execz .LBB0_43
; %bb.42:                               ;   in Loop: Header=BB0_37 Depth=2
	v_lshl_add_u32 v12, v6, 2, v11
	s_xor_b32 s15, exec_lo, -1
	ds_add_f32 v12, v5
.LBB0_43:                               ;   in Loop: Header=BB0_37 Depth=2
	s_or_b32 exec_lo, exec_lo, s16
	s_delay_alu instid0(SALU_CYCLE_1) | instskip(SKIP_1) | instid1(SALU_CYCLE_1)
	s_and_not1_b32 s13, s13, exec_lo
	s_and_b32 s15, s15, exec_lo
	s_or_b32 s13, s13, s15
.LBB0_44:                               ;   in Loop: Header=BB0_37 Depth=2
	s_or_b32 exec_lo, exec_lo, s14
	s_delay_alu instid0(SALU_CYCLE_1)
	s_and_b32 s13, s13, exec_lo
.LBB0_45:                               ;   in Loop: Header=BB0_37 Depth=2
	s_and_not1_saveexec_b32 s12, s12
	s_cbranch_execz .LBB0_36
; %bb.46:                               ;   in Loop: Header=BB0_37 Depth=2
	v_lshl_add_u32 v12, v6, 2, v11
	s_and_not1_b32 s13, s13, exec_lo
	ds_add_f32 v12, v5
	s_branch .LBB0_36
.LBB0_47:
	s_or_b32 exec_lo, exec_lo, s0
.LBB0_48:
	s_delay_alu instid0(VALU_DEP_2)
	v_add_co_u32 v0, vcc_lo, s10, v0
	v_add_co_ci_u32_e32 v1, vcc_lo, s11, v1, vcc_lo
	s_waitcnt lgkmcnt(0)
	buffer_gl0_inv
	s_mov_b32 s0, 0
	global_load_b32 v0, v[0:1], off
	s_waitcnt vmcnt(0)
	v_subrev_nc_u32_e32 v0, s26, v0
	s_branch .LBB0_50
.LBB0_49:                               ;   in Loop: Header=BB0_50 Depth=1
	s_or_b32 exec_lo, exec_lo, s4
	v_add_co_u32 v8, s4, v8, 8
	s_delay_alu instid0(VALU_DEP_1) | instskip(SKIP_2) | instid1(SALU_CYCLE_1)
	s_xor_b32 s4, s4, -1
	v_add_nc_u32_e32 v7, 32, v7
	s_and_b32 s4, exec_lo, s4
	s_or_b32 s0, s4, s0
	s_delay_alu instid0(SALU_CYCLE_1)
	s_and_not1_b32 exec_lo, exec_lo, s0
	s_cbranch_execz .LBB0_52
.LBB0_50:                               ; =>This Inner Loop Header: Depth=1
	ds_load_b32 v1, v7 offset:2048
	s_mov_b32 s4, exec_lo
	s_waitcnt lgkmcnt(0)
	v_cmpx_gt_i32_e64 s1, v1
	s_cbranch_execz .LBB0_49
; %bb.51:                               ;   in Loop: Header=BB0_50 Depth=1
	ds_load_b128 v[2:5], v9
	ds_load_b128 v[10:13], v9 offset:16
	ds_load_b128 v[14:17], v9 offset:32
	ds_load_b128 v[18:21], v9 offset:48
	s_waitcnt lgkmcnt(3)
	v_cmp_gt_i32_e32 vcc_lo, v1, v2
	v_cndmask_b32_e64 v2, 0, 1, vcc_lo
	v_cmp_gt_i32_e32 vcc_lo, v1, v4
	v_cndmask_b32_e64 v4, 0, 1, vcc_lo
	v_cmp_gt_i32_e32 vcc_lo, v1, v3
	s_delay_alu instid0(VALU_DEP_4)
	v_add_co_ci_u32_e32 v2, vcc_lo, v0, v2, vcc_lo
	s_waitcnt lgkmcnt(2)
	v_cmp_gt_i32_e32 vcc_lo, v1, v10
	v_cndmask_b32_e64 v3, 0, 1, vcc_lo
	v_cmp_gt_i32_e32 vcc_lo, v1, v5
	v_add_co_ci_u32_e32 v2, vcc_lo, v2, v4, vcc_lo
	v_cmp_gt_i32_e32 vcc_lo, v1, v12
	v_cndmask_b32_e64 v4, 0, 1, vcc_lo
	v_cmp_gt_i32_e32 vcc_lo, v1, v11
	s_delay_alu instid0(VALU_DEP_4)
	v_add_co_ci_u32_e32 v2, vcc_lo, v2, v3, vcc_lo
	s_waitcnt lgkmcnt(1)
	v_cmp_gt_i32_e32 vcc_lo, v1, v14
	v_cndmask_b32_e64 v3, 0, 1, vcc_lo
	v_cmp_gt_i32_e32 vcc_lo, v1, v13
	v_add_co_ci_u32_e32 v2, vcc_lo, v2, v4, vcc_lo
	;; [unrolled: 10-line block ×3, first 2 shown]
	v_cmp_gt_i32_e32 vcc_lo, v1, v20
	v_cndmask_b32_e64 v4, 0, 1, vcc_lo
	v_cmp_gt_i32_e32 vcc_lo, v1, v19
	s_delay_alu instid0(VALU_DEP_4) | instskip(SKIP_3) | instid1(VALU_DEP_1)
	v_add_co_ci_u32_e32 v2, vcc_lo, v2, v3, vcc_lo
	v_cmp_gt_i32_e32 vcc_lo, v1, v21
	ds_load_b32 v3, v7
	v_add_co_ci_u32_e32 v1, vcc_lo, v2, v4, vcc_lo
	v_ashrrev_i32_e32 v2, 31, v1
	s_delay_alu instid0(VALU_DEP_1) | instskip(NEXT) | instid1(VALU_DEP_1)
	v_lshlrev_b64 v[1:2], 2, v[1:2]
	v_add_co_u32 v1, vcc_lo, s2, v1
	s_delay_alu instid0(VALU_DEP_2)
	v_add_co_ci_u32_e32 v2, vcc_lo, s3, v2, vcc_lo
	s_waitcnt lgkmcnt(0)
	global_store_b32 v[1:2], v3, off
	s_branch .LBB0_49
.LBB0_52:
	s_nop 0
	s_sendmsg sendmsg(MSG_DEALLOC_VGPRS)
	s_endpgm
	.section	.rodata,"a",@progbits
	.p2align	6, 0x0
	.amdhsa_kernel _ZN9rocsparseL38csrgemm_numeric_fill_wf_per_row_kernelILj256ELj8ELj16ELj137EiifEEvT4_S1_PKS1_S3_NS_24const_host_device_scalarIT5_EEPKT3_S3_PKS5_S9_S3_SB_S6_S9_S3_SB_S9_S3_PS5_21rocsparse_index_base_SD_SD_SD_bbb
		.amdhsa_group_segment_fixed_size 4096
		.amdhsa_private_segment_fixed_size 0
		.amdhsa_kernarg_size 156
		.amdhsa_user_sgpr_count 15
		.amdhsa_user_sgpr_dispatch_ptr 0
		.amdhsa_user_sgpr_queue_ptr 0
		.amdhsa_user_sgpr_kernarg_segment_ptr 1
		.amdhsa_user_sgpr_dispatch_id 0
		.amdhsa_user_sgpr_private_segment_size 0
		.amdhsa_wavefront_size32 1
		.amdhsa_uses_dynamic_stack 0
		.amdhsa_enable_private_segment 0
		.amdhsa_system_sgpr_workgroup_id_x 1
		.amdhsa_system_sgpr_workgroup_id_y 0
		.amdhsa_system_sgpr_workgroup_id_z 0
		.amdhsa_system_sgpr_workgroup_info 0
		.amdhsa_system_vgpr_workitem_id 0
		.amdhsa_next_free_vgpr 22
		.amdhsa_next_free_sgpr 40
		.amdhsa_reserve_vcc 1
		.amdhsa_float_round_mode_32 0
		.amdhsa_float_round_mode_16_64 0
		.amdhsa_float_denorm_mode_32 3
		.amdhsa_float_denorm_mode_16_64 3
		.amdhsa_dx10_clamp 1
		.amdhsa_ieee_mode 1
		.amdhsa_fp16_overflow 0
		.amdhsa_workgroup_processor_mode 1
		.amdhsa_memory_ordered 1
		.amdhsa_forward_progress 0
		.amdhsa_shared_vgpr_count 0
		.amdhsa_exception_fp_ieee_invalid_op 0
		.amdhsa_exception_fp_denorm_src 0
		.amdhsa_exception_fp_ieee_div_zero 0
		.amdhsa_exception_fp_ieee_overflow 0
		.amdhsa_exception_fp_ieee_underflow 0
		.amdhsa_exception_fp_ieee_inexact 0
		.amdhsa_exception_int_div_zero 0
	.end_amdhsa_kernel
	.section	.text._ZN9rocsparseL38csrgemm_numeric_fill_wf_per_row_kernelILj256ELj8ELj16ELj137EiifEEvT4_S1_PKS1_S3_NS_24const_host_device_scalarIT5_EEPKT3_S3_PKS5_S9_S3_SB_S6_S9_S3_SB_S9_S3_PS5_21rocsparse_index_base_SD_SD_SD_bbb,"axG",@progbits,_ZN9rocsparseL38csrgemm_numeric_fill_wf_per_row_kernelILj256ELj8ELj16ELj137EiifEEvT4_S1_PKS1_S3_NS_24const_host_device_scalarIT5_EEPKT3_S3_PKS5_S9_S3_SB_S6_S9_S3_SB_S9_S3_PS5_21rocsparse_index_base_SD_SD_SD_bbb,comdat
.Lfunc_end0:
	.size	_ZN9rocsparseL38csrgemm_numeric_fill_wf_per_row_kernelILj256ELj8ELj16ELj137EiifEEvT4_S1_PKS1_S3_NS_24const_host_device_scalarIT5_EEPKT3_S3_PKS5_S9_S3_SB_S6_S9_S3_SB_S9_S3_PS5_21rocsparse_index_base_SD_SD_SD_bbb, .Lfunc_end0-_ZN9rocsparseL38csrgemm_numeric_fill_wf_per_row_kernelILj256ELj8ELj16ELj137EiifEEvT4_S1_PKS1_S3_NS_24const_host_device_scalarIT5_EEPKT3_S3_PKS5_S9_S3_SB_S6_S9_S3_SB_S9_S3_PS5_21rocsparse_index_base_SD_SD_SD_bbb
                                        ; -- End function
	.section	.AMDGPU.csdata,"",@progbits
; Kernel info:
; codeLenInByte = 1952
; NumSgprs: 42
; NumVgprs: 22
; ScratchSize: 0
; MemoryBound: 0
; FloatMode: 240
; IeeeMode: 1
; LDSByteSize: 4096 bytes/workgroup (compile time only)
; SGPRBlocks: 5
; VGPRBlocks: 2
; NumSGPRsForWavesPerEU: 42
; NumVGPRsForWavesPerEU: 22
; Occupancy: 16
; WaveLimiterHint : 1
; COMPUTE_PGM_RSRC2:SCRATCH_EN: 0
; COMPUTE_PGM_RSRC2:USER_SGPR: 15
; COMPUTE_PGM_RSRC2:TRAP_HANDLER: 0
; COMPUTE_PGM_RSRC2:TGID_X_EN: 1
; COMPUTE_PGM_RSRC2:TGID_Y_EN: 0
; COMPUTE_PGM_RSRC2:TGID_Z_EN: 0
; COMPUTE_PGM_RSRC2:TIDIG_COMP_CNT: 0
	.section	.text._ZN9rocsparseL38csrgemm_numeric_fill_wf_per_row_kernelILj256ELj16ELj32ELj137EiifEEvT4_S1_PKS1_S3_NS_24const_host_device_scalarIT5_EEPKT3_S3_PKS5_S9_S3_SB_S6_S9_S3_SB_S9_S3_PS5_21rocsparse_index_base_SD_SD_SD_bbb,"axG",@progbits,_ZN9rocsparseL38csrgemm_numeric_fill_wf_per_row_kernelILj256ELj16ELj32ELj137EiifEEvT4_S1_PKS1_S3_NS_24const_host_device_scalarIT5_EEPKT3_S3_PKS5_S9_S3_SB_S6_S9_S3_SB_S9_S3_PS5_21rocsparse_index_base_SD_SD_SD_bbb,comdat
	.globl	_ZN9rocsparseL38csrgemm_numeric_fill_wf_per_row_kernelILj256ELj16ELj32ELj137EiifEEvT4_S1_PKS1_S3_NS_24const_host_device_scalarIT5_EEPKT3_S3_PKS5_S9_S3_SB_S6_S9_S3_SB_S9_S3_PS5_21rocsparse_index_base_SD_SD_SD_bbb ; -- Begin function _ZN9rocsparseL38csrgemm_numeric_fill_wf_per_row_kernelILj256ELj16ELj32ELj137EiifEEvT4_S1_PKS1_S3_NS_24const_host_device_scalarIT5_EEPKT3_S3_PKS5_S9_S3_SB_S6_S9_S3_SB_S9_S3_PS5_21rocsparse_index_base_SD_SD_SD_bbb
	.p2align	8
	.type	_ZN9rocsparseL38csrgemm_numeric_fill_wf_per_row_kernelILj256ELj16ELj32ELj137EiifEEvT4_S1_PKS1_S3_NS_24const_host_device_scalarIT5_EEPKT3_S3_PKS5_S9_S3_SB_S6_S9_S3_SB_S9_S3_PS5_21rocsparse_index_base_SD_SD_SD_bbb,@function
_ZN9rocsparseL38csrgemm_numeric_fill_wf_per_row_kernelILj256ELj16ELj32ELj137EiifEEvT4_S1_PKS1_S3_NS_24const_host_device_scalarIT5_EEPKT3_S3_PKS5_S9_S3_SB_S6_S9_S3_SB_S9_S3_PS5_21rocsparse_index_base_SD_SD_SD_bbb: ; @_ZN9rocsparseL38csrgemm_numeric_fill_wf_per_row_kernelILj256ELj16ELj32ELj137EiifEEvT4_S1_PKS1_S3_NS_24const_host_device_scalarIT5_EEPKT3_S3_PKS5_S9_S3_SB_S6_S9_S3_SB_S9_S3_PS5_21rocsparse_index_base_SD_SD_SD_bbb
; %bb.0:
	s_clause 0x3
	s_load_b32 s14, s[0:1], 0x98
	s_load_b128 s[24:27], s[0:1], 0x88
	s_load_b64 s[2:3], s[0:1], 0x18
	s_load_b64 s[12:13], s[0:1], 0x50
	s_waitcnt lgkmcnt(0)
	s_bitcmp1_b32 s14, 0
	s_cselect_b32 s33, -1, 0
	s_bitcmp1_b32 s14, 16
	s_cselect_b32 s34, -1, 0
	s_xor_b32 s4, s33, -1
	s_delay_alu instid0(SALU_CYCLE_1) | instskip(NEXT) | instid1(SALU_CYCLE_1)
	s_or_b32 s4, s4, s34
	s_and_b32 vcc_lo, exec_lo, s4
	s_cbranch_vccnz .LBB1_2
; %bb.1:
	s_load_b32 s2, s[2:3], 0x0
	s_waitcnt lgkmcnt(0)
	v_mov_b32_e32 v12, s2
	s_branch .LBB1_3
.LBB1_2:
	v_cndmask_b32_e64 v12, 0, s2, s33
.LBB1_3:
	s_clause 0x4
	s_load_b64 s[2:3], s[0:1], 0x80
	s_load_b256 s[4:11], s[0:1], 0x58
	s_load_b128 s[28:31], s[0:1], 0x40
	s_load_b128 s[36:39], s[0:1], 0x8
	s_load_b256 s[16:23], s[0:1], 0x20
	s_bitcmp1_b32 s14, 8
	s_cselect_b32 s14, -1, 0
	s_delay_alu instid0(SALU_CYCLE_1) | instskip(NEXT) | instid1(SALU_CYCLE_1)
	s_xor_b32 s35, s14, -1
	s_or_b32 s34, s35, s34
	s_delay_alu instid0(SALU_CYCLE_1)
	s_and_b32 vcc_lo, exec_lo, s34
	s_cbranch_vccnz .LBB1_5
; %bb.4:
	s_load_b32 s12, s[12:13], 0x0
	s_waitcnt lgkmcnt(0)
	v_mov_b32_e32 v10, s12
	s_branch .LBB1_6
.LBB1_5:
	v_cndmask_b32_e64 v10, 0, s12, s14
.LBB1_6:
	s_load_b64 s[0:1], s[0:1], 0x0
	v_and_b32_e32 v13, 15, v0
	v_lshrrev_b32_e32 v2, 4, v0
	s_mov_b32 s12, 0
	s_delay_alu instid0(VALU_DEP_2) | instskip(NEXT) | instid1(VALU_DEP_1)
	v_lshlrev_b32_e32 v0, 2, v13
	v_lshl_or_b32 v7, v2, 7, v0
	v_mov_b32_e32 v0, 0
	v_or_b32_e32 v8, -16, v13
	s_delay_alu instid0(VALU_DEP_1)
	v_dual_mov_b32 v1, v7 :: v_dual_mov_b32 v4, v8
	s_waitcnt lgkmcnt(0)
	v_mov_b32_e32 v3, s1
.LBB1_7:                                ; =>This Inner Loop Header: Depth=1
	s_delay_alu instid0(VALU_DEP_2) | instskip(NEXT) | instid1(VALU_DEP_1)
	v_add_co_u32 v4, s13, v4, 16
	s_xor_b32 s13, s13, -1
	ds_store_2addr_stride64_b32 v1, v0, v3 offset1:8
	v_add_nc_u32_e32 v1, 64, v1
	s_and_b32 s13, exec_lo, s13
	s_delay_alu instid0(SALU_CYCLE_1) | instskip(NEXT) | instid1(SALU_CYCLE_1)
	s_or_b32 s12, s13, s12
	s_and_not1_b32 exec_lo, exec_lo, s12
	s_cbranch_execnz .LBB1_7
; %bb.8:
	s_or_b32 exec_lo, exec_lo, s12
	s_lshl_b32 s12, s15, 4
	s_waitcnt lgkmcnt(0)
	buffer_gl0_inv
	v_and_or_b32 v0, 0xffffff0, s12, v2
	s_delay_alu instid0(VALU_DEP_1)
	v_cmp_gt_i32_e32 vcc_lo, s0, v0
	s_and_saveexec_b32 s0, vcc_lo
	s_cbranch_execz .LBB1_52
; %bb.9:
	s_cmp_eq_u64 s[38:39], 0
	s_cbranch_scc1 .LBB1_11
; %bb.10:
	s_load_b32 s0, s[36:37], 0x0
	s_waitcnt lgkmcnt(0)
	v_add_nc_u32_e32 v0, s0, v0
	s_delay_alu instid0(VALU_DEP_1) | instskip(NEXT) | instid1(VALU_DEP_1)
	v_ashrrev_i32_e32 v1, 31, v0
	v_lshlrev_b64 v[0:1], 2, v[0:1]
	s_delay_alu instid0(VALU_DEP_1) | instskip(NEXT) | instid1(VALU_DEP_2)
	v_add_co_u32 v0, vcc_lo, s38, v0
	v_add_co_ci_u32_e32 v1, vcc_lo, s39, v1, vcc_lo
	global_load_b32 v0, v[0:1], off
.LBB1_11:
	s_waitcnt vmcnt(0)
	v_ashrrev_i32_e32 v1, 31, v0
	v_lshlrev_b32_e32 v11, 7, v2
	s_and_not1_b32 vcc_lo, exec_lo, s33
	s_delay_alu instid0(VALU_DEP_2) | instskip(NEXT) | instid1(VALU_DEP_2)
	v_lshlrev_b64 v[0:1], 2, v[0:1]
	v_or_b32_e32 v9, 0x800, v11
	s_cbranch_vccnz .LBB1_31
; %bb.12:
	s_delay_alu instid0(VALU_DEP_2) | instskip(NEXT) | instid1(VALU_DEP_3)
	v_add_co_u32 v2, vcc_lo, s16, v0
	v_add_co_ci_u32_e32 v3, vcc_lo, s17, v1, vcc_lo
	v_subrev_nc_u32_e32 v4, s24, v13
	s_mov_b32 s0, exec_lo
	global_load_b64 v[2:3], v[2:3], off
	s_waitcnt vmcnt(0)
	v_subrev_nc_u32_e32 v14, s24, v3
	v_add_nc_u32_e32 v2, v2, v4
	s_delay_alu instid0(VALU_DEP_1)
	v_cmpx_lt_i32_e64 v2, v14
	s_cbranch_execz .LBB1_30
; %bb.13:
	s_mov_b32 s12, 0
	s_branch .LBB1_15
.LBB1_14:                               ;   in Loop: Header=BB1_15 Depth=1
	s_or_b32 exec_lo, exec_lo, s13
	v_add_nc_u32_e32 v2, 16, v2
	s_delay_alu instid0(VALU_DEP_1) | instskip(SKIP_1) | instid1(SALU_CYCLE_1)
	v_cmp_ge_i32_e32 vcc_lo, v2, v14
	s_or_b32 s12, vcc_lo, s12
	s_and_not1_b32 exec_lo, exec_lo, s12
	s_cbranch_execz .LBB1_30
.LBB1_15:                               ; =>This Loop Header: Depth=1
                                        ;     Child Loop BB1_18 Depth 2
                                        ;       Child Loop BB1_20 Depth 3
	v_ashrrev_i32_e32 v3, 31, v2
	s_mov_b32 s13, exec_lo
	s_delay_alu instid0(VALU_DEP_1) | instskip(NEXT) | instid1(VALU_DEP_1)
	v_lshlrev_b64 v[3:4], 2, v[2:3]
	v_add_co_u32 v5, vcc_lo, s18, v3
	s_delay_alu instid0(VALU_DEP_2) | instskip(SKIP_3) | instid1(VALU_DEP_1)
	v_add_co_ci_u32_e32 v6, vcc_lo, s19, v4, vcc_lo
	global_load_b32 v5, v[5:6], off
	s_waitcnt vmcnt(0)
	v_subrev_nc_u32_e32 v5, s24, v5
	v_ashrrev_i32_e32 v6, 31, v5
	s_delay_alu instid0(VALU_DEP_1) | instskip(NEXT) | instid1(VALU_DEP_1)
	v_lshlrev_b64 v[5:6], 2, v[5:6]
	v_add_co_u32 v5, vcc_lo, s22, v5
	s_delay_alu instid0(VALU_DEP_2)
	v_add_co_ci_u32_e32 v6, vcc_lo, s23, v6, vcc_lo
	global_load_b64 v[5:6], v[5:6], off
	s_waitcnt vmcnt(0)
	v_cmpx_lt_i32_e64 v5, v6
	s_cbranch_execz .LBB1_14
; %bb.16:                               ;   in Loop: Header=BB1_15 Depth=1
	v_add_co_u32 v3, vcc_lo, s20, v3
	v_add_co_ci_u32_e32 v4, vcc_lo, s21, v4, vcc_lo
	v_subrev_nc_u32_e32 v6, s25, v6
	s_mov_b32 s15, 0
	global_load_b32 v3, v[3:4], off
	s_waitcnt vmcnt(0)
	v_mul_f32_e32 v15, v12, v3
	v_subrev_nc_u32_e32 v3, s25, v5
	s_branch .LBB1_18
.LBB1_17:                               ;   in Loop: Header=BB1_18 Depth=2
	s_or_b32 exec_lo, exec_lo, s16
	v_add_nc_u32_e32 v3, 1, v3
	s_delay_alu instid0(VALU_DEP_1) | instskip(SKIP_1) | instid1(SALU_CYCLE_1)
	v_cmp_ge_i32_e32 vcc_lo, v3, v6
	s_or_b32 s15, vcc_lo, s15
	s_and_not1_b32 exec_lo, exec_lo, s15
	s_cbranch_execz .LBB1_14
.LBB1_18:                               ;   Parent Loop BB1_15 Depth=1
                                        ; =>  This Loop Header: Depth=2
                                        ;       Child Loop BB1_20 Depth 3
	s_delay_alu instid0(VALU_DEP_1) | instskip(SKIP_1) | instid1(VALU_DEP_1)
	v_ashrrev_i32_e32 v4, 31, v3
	s_mov_b32 s16, 0
	v_lshlrev_b64 v[4:5], 2, v[3:4]
	s_delay_alu instid0(VALU_DEP_1) | instskip(NEXT) | instid1(VALU_DEP_2)
	v_add_co_u32 v16, vcc_lo, s28, v4
	v_add_co_ci_u32_e32 v17, vcc_lo, s29, v5, vcc_lo
	v_add_co_u32 v4, vcc_lo, s30, v4
	v_add_co_ci_u32_e32 v5, vcc_lo, s31, v5, vcc_lo
	global_load_b32 v16, v[16:17], off
	global_load_b32 v5, v[4:5], off
	s_waitcnt vmcnt(1)
	v_subrev_nc_u32_e32 v4, s25, v16
	s_delay_alu instid0(VALU_DEP_1) | instskip(SKIP_1) | instid1(VALU_DEP_1)
	v_lshl_add_u32 v16, v4, 3, v4
	s_waitcnt vmcnt(0)
	v_dual_mul_f32 v5, v15, v5 :: v_dual_and_b32 v16, 31, v16
	s_branch .LBB1_20
.LBB1_19:                               ;   in Loop: Header=BB1_20 Depth=3
	s_or_b32 exec_lo, exec_lo, s17
	s_xor_b32 s17, s33, -1
	s_delay_alu instid0(SALU_CYCLE_1) | instskip(NEXT) | instid1(SALU_CYCLE_1)
	s_and_b32 s17, exec_lo, s17
	s_or_b32 s16, s17, s16
	s_delay_alu instid0(SALU_CYCLE_1)
	s_and_not1_b32 exec_lo, exec_lo, s16
	s_cbranch_execz .LBB1_17
.LBB1_20:                               ;   Parent Loop BB1_15 Depth=1
                                        ;     Parent Loop BB1_18 Depth=2
                                        ; =>    This Inner Loop Header: Depth=3
	s_delay_alu instid0(VALU_DEP_1)
	v_lshl_add_u32 v17, v16, 2, v9
	s_mov_b32 s17, exec_lo
                                        ; implicit-def: $sgpr33
	ds_load_b32 v18, v17
	s_waitcnt lgkmcnt(0)
	v_cmpx_ne_u32_e64 v18, v4
	s_xor_b32 s17, exec_lo, s17
	s_cbranch_execz .LBB1_28
; %bb.21:                               ;   in Loop: Header=BB1_20 Depth=3
	s_mov_b32 s34, exec_lo
                                        ; implicit-def: $sgpr33
	v_cmpx_ne_u32_e64 s1, v18
	s_xor_b32 s34, exec_lo, s34
; %bb.22:                               ;   in Loop: Header=BB1_20 Depth=3
	v_add_nc_u32_e32 v16, 1, v16
	s_mov_b32 s33, -1
                                        ; implicit-def: $vgpr17
	s_delay_alu instid0(VALU_DEP_1)
	v_and_b32_e32 v16, 31, v16
; %bb.23:                               ;   in Loop: Header=BB1_20 Depth=3
	s_and_not1_saveexec_b32 s34, s34
	s_cbranch_execz .LBB1_27
; %bb.24:                               ;   in Loop: Header=BB1_20 Depth=3
	v_mov_b32_e32 v18, s1
	s_mov_b32 s35, -1
	s_mov_b32 s36, exec_lo
	ds_cmpstore_rtn_b32 v17, v17, v4, v18
	s_waitcnt lgkmcnt(0)
	v_cmpx_eq_u32_e64 s1, v17
	s_cbranch_execz .LBB1_26
; %bb.25:                               ;   in Loop: Header=BB1_20 Depth=3
	v_lshl_add_u32 v17, v16, 2, v11
	s_xor_b32 s35, exec_lo, -1
	ds_add_f32 v17, v5
.LBB1_26:                               ;   in Loop: Header=BB1_20 Depth=3
	s_or_b32 exec_lo, exec_lo, s36
	s_delay_alu instid0(SALU_CYCLE_1) | instskip(SKIP_1) | instid1(SALU_CYCLE_1)
	s_and_not1_b32 s33, s33, exec_lo
	s_and_b32 s35, s35, exec_lo
	s_or_b32 s33, s33, s35
.LBB1_27:                               ;   in Loop: Header=BB1_20 Depth=3
	s_or_b32 exec_lo, exec_lo, s34
	s_delay_alu instid0(SALU_CYCLE_1)
	s_and_b32 s33, s33, exec_lo
.LBB1_28:                               ;   in Loop: Header=BB1_20 Depth=3
	s_and_not1_saveexec_b32 s17, s17
	s_cbranch_execz .LBB1_19
; %bb.29:                               ;   in Loop: Header=BB1_20 Depth=3
	v_lshl_add_u32 v17, v16, 2, v11
	s_and_not1_b32 s33, s33, exec_lo
	ds_add_f32 v17, v5
	s_branch .LBB1_19
.LBB1_30:
	s_or_b32 exec_lo, exec_lo, s0
.LBB1_31:
	s_delay_alu instid0(SALU_CYCLE_1)
	s_and_not1_b32 vcc_lo, exec_lo, s14
	s_cbranch_vccnz .LBB1_48
; %bb.32:
	s_delay_alu instid0(VALU_DEP_2)
	v_add_co_u32 v2, vcc_lo, s4, v0
	v_add_co_ci_u32_e32 v3, vcc_lo, s5, v1, vcc_lo
	v_subrev_nc_u32_e32 v5, s27, v13
	s_mov_b32 s0, exec_lo
	global_load_b64 v[2:3], v[2:3], off
	s_waitcnt vmcnt(0)
	v_subrev_nc_u32_e32 v4, s27, v3
	v_add_nc_u32_e32 v2, v2, v5
	s_delay_alu instid0(VALU_DEP_1)
	v_cmpx_lt_i32_e64 v2, v4
	s_cbranch_execz .LBB1_47
; %bb.33:
	s_mov_b32 s4, 0
	s_branch .LBB1_35
.LBB1_34:                               ;   in Loop: Header=BB1_35 Depth=1
	s_or_b32 exec_lo, exec_lo, s5
	v_add_nc_u32_e32 v2, 16, v2
	s_delay_alu instid0(VALU_DEP_1) | instskip(SKIP_1) | instid1(SALU_CYCLE_1)
	v_cmp_ge_i32_e32 vcc_lo, v2, v4
	s_or_b32 s4, vcc_lo, s4
	s_and_not1_b32 exec_lo, exec_lo, s4
	s_cbranch_execz .LBB1_47
.LBB1_35:                               ; =>This Loop Header: Depth=1
                                        ;     Child Loop BB1_37 Depth 2
	v_ashrrev_i32_e32 v3, 31, v2
	s_mov_b32 s5, 0
	s_delay_alu instid0(VALU_DEP_1) | instskip(NEXT) | instid1(VALU_DEP_1)
	v_lshlrev_b64 v[5:6], 2, v[2:3]
	v_add_co_u32 v12, vcc_lo, s6, v5
	s_delay_alu instid0(VALU_DEP_2)
	v_add_co_ci_u32_e32 v13, vcc_lo, s7, v6, vcc_lo
	v_add_co_u32 v5, vcc_lo, s8, v5
	v_add_co_ci_u32_e32 v6, vcc_lo, s9, v6, vcc_lo
	global_load_b32 v3, v[12:13], off
	global_load_b32 v5, v[5:6], off
	s_waitcnt vmcnt(1)
	v_subrev_nc_u32_e32 v3, s27, v3
	s_delay_alu instid0(VALU_DEP_1) | instskip(SKIP_1) | instid1(VALU_DEP_1)
	v_lshl_add_u32 v6, v3, 3, v3
	s_waitcnt vmcnt(0)
	v_dual_mul_f32 v5, v10, v5 :: v_dual_and_b32 v6, 31, v6
	s_branch .LBB1_37
.LBB1_36:                               ;   in Loop: Header=BB1_37 Depth=2
	s_or_b32 exec_lo, exec_lo, s12
	s_xor_b32 s12, s13, -1
	s_delay_alu instid0(SALU_CYCLE_1) | instskip(NEXT) | instid1(SALU_CYCLE_1)
	s_and_b32 s12, exec_lo, s12
	s_or_b32 s5, s12, s5
	s_delay_alu instid0(SALU_CYCLE_1)
	s_and_not1_b32 exec_lo, exec_lo, s5
	s_cbranch_execz .LBB1_34
.LBB1_37:                               ;   Parent Loop BB1_35 Depth=1
                                        ; =>  This Inner Loop Header: Depth=2
	s_delay_alu instid0(VALU_DEP_1)
	v_lshl_add_u32 v12, v6, 2, v9
	s_mov_b32 s12, exec_lo
                                        ; implicit-def: $sgpr13
	ds_load_b32 v13, v12
	s_waitcnt lgkmcnt(0)
	v_cmpx_ne_u32_e64 v13, v3
	s_xor_b32 s12, exec_lo, s12
	s_cbranch_execz .LBB1_45
; %bb.38:                               ;   in Loop: Header=BB1_37 Depth=2
	s_mov_b32 s14, exec_lo
                                        ; implicit-def: $sgpr13
	v_cmpx_ne_u32_e64 s1, v13
	s_xor_b32 s14, exec_lo, s14
; %bb.39:                               ;   in Loop: Header=BB1_37 Depth=2
	v_add_nc_u32_e32 v6, 1, v6
	s_mov_b32 s13, -1
                                        ; implicit-def: $vgpr12
	s_delay_alu instid0(VALU_DEP_1)
	v_and_b32_e32 v6, 31, v6
; %bb.40:                               ;   in Loop: Header=BB1_37 Depth=2
	s_and_not1_saveexec_b32 s14, s14
	s_cbranch_execz .LBB1_44
; %bb.41:                               ;   in Loop: Header=BB1_37 Depth=2
	v_mov_b32_e32 v13, s1
	s_mov_b32 s15, -1
	s_mov_b32 s16, exec_lo
	ds_cmpstore_rtn_b32 v12, v12, v3, v13
	s_waitcnt lgkmcnt(0)
	v_cmpx_eq_u32_e64 s1, v12
	s_cbranch_execz .LBB1_43
; %bb.42:                               ;   in Loop: Header=BB1_37 Depth=2
	v_lshl_add_u32 v12, v6, 2, v11
	s_xor_b32 s15, exec_lo, -1
	ds_add_f32 v12, v5
.LBB1_43:                               ;   in Loop: Header=BB1_37 Depth=2
	s_or_b32 exec_lo, exec_lo, s16
	s_delay_alu instid0(SALU_CYCLE_1) | instskip(SKIP_1) | instid1(SALU_CYCLE_1)
	s_and_not1_b32 s13, s13, exec_lo
	s_and_b32 s15, s15, exec_lo
	s_or_b32 s13, s13, s15
.LBB1_44:                               ;   in Loop: Header=BB1_37 Depth=2
	s_or_b32 exec_lo, exec_lo, s14
	s_delay_alu instid0(SALU_CYCLE_1)
	s_and_b32 s13, s13, exec_lo
.LBB1_45:                               ;   in Loop: Header=BB1_37 Depth=2
	s_and_not1_saveexec_b32 s12, s12
	s_cbranch_execz .LBB1_36
; %bb.46:                               ;   in Loop: Header=BB1_37 Depth=2
	v_lshl_add_u32 v12, v6, 2, v11
	s_and_not1_b32 s13, s13, exec_lo
	ds_add_f32 v12, v5
	s_branch .LBB1_36
.LBB1_47:
	s_or_b32 exec_lo, exec_lo, s0
.LBB1_48:
	s_delay_alu instid0(VALU_DEP_2)
	v_add_co_u32 v0, vcc_lo, s10, v0
	v_add_co_ci_u32_e32 v1, vcc_lo, s11, v1, vcc_lo
	s_waitcnt lgkmcnt(0)
	buffer_gl0_inv
	s_mov_b32 s0, 0
	global_load_b32 v0, v[0:1], off
	s_waitcnt vmcnt(0)
	v_subrev_nc_u32_e32 v0, s26, v0
	s_branch .LBB1_50
.LBB1_49:                               ;   in Loop: Header=BB1_50 Depth=1
	s_or_b32 exec_lo, exec_lo, s4
	v_add_co_u32 v8, s4, v8, 16
	s_delay_alu instid0(VALU_DEP_1) | instskip(SKIP_2) | instid1(SALU_CYCLE_1)
	s_xor_b32 s4, s4, -1
	v_add_nc_u32_e32 v7, 64, v7
	s_and_b32 s4, exec_lo, s4
	s_or_b32 s0, s4, s0
	s_delay_alu instid0(SALU_CYCLE_1)
	s_and_not1_b32 exec_lo, exec_lo, s0
	s_cbranch_execz .LBB1_52
.LBB1_50:                               ; =>This Inner Loop Header: Depth=1
	ds_load_b32 v1, v7 offset:2048
	s_mov_b32 s4, exec_lo
	s_waitcnt lgkmcnt(0)
	v_cmpx_gt_i32_e64 s1, v1
	s_cbranch_execz .LBB1_49
; %bb.51:                               ;   in Loop: Header=BB1_50 Depth=1
	ds_load_b128 v[2:5], v9
	ds_load_b128 v[10:13], v9 offset:16
	ds_load_b128 v[14:17], v9 offset:32
	;; [unrolled: 1-line block ×7, first 2 shown]
	s_waitcnt lgkmcnt(7)
	v_cmp_gt_i32_e32 vcc_lo, v1, v2
	v_cndmask_b32_e64 v2, 0, 1, vcc_lo
	v_cmp_gt_i32_e32 vcc_lo, v1, v4
	v_cndmask_b32_e64 v4, 0, 1, vcc_lo
	v_cmp_gt_i32_e32 vcc_lo, v1, v3
	s_delay_alu instid0(VALU_DEP_4)
	v_add_co_ci_u32_e32 v2, vcc_lo, v0, v2, vcc_lo
	s_waitcnt lgkmcnt(6)
	v_cmp_gt_i32_e32 vcc_lo, v1, v10
	v_cndmask_b32_e64 v3, 0, 1, vcc_lo
	v_cmp_gt_i32_e32 vcc_lo, v1, v5
	v_add_co_ci_u32_e32 v2, vcc_lo, v2, v4, vcc_lo
	v_cmp_gt_i32_e32 vcc_lo, v1, v12
	v_cndmask_b32_e64 v4, 0, 1, vcc_lo
	v_cmp_gt_i32_e32 vcc_lo, v1, v11
	s_delay_alu instid0(VALU_DEP_4)
	v_add_co_ci_u32_e32 v2, vcc_lo, v2, v3, vcc_lo
	s_waitcnt lgkmcnt(5)
	v_cmp_gt_i32_e32 vcc_lo, v1, v14
	v_cndmask_b32_e64 v3, 0, 1, vcc_lo
	v_cmp_gt_i32_e32 vcc_lo, v1, v13
	v_add_co_ci_u32_e32 v2, vcc_lo, v2, v4, vcc_lo
	;; [unrolled: 10-line block ×7, first 2 shown]
	v_cmp_gt_i32_e32 vcc_lo, v1, v36
	v_cndmask_b32_e64 v4, 0, 1, vcc_lo
	v_cmp_gt_i32_e32 vcc_lo, v1, v35
	s_delay_alu instid0(VALU_DEP_4) | instskip(SKIP_3) | instid1(VALU_DEP_1)
	v_add_co_ci_u32_e32 v2, vcc_lo, v2, v3, vcc_lo
	v_cmp_gt_i32_e32 vcc_lo, v1, v37
	ds_load_b32 v3, v7
	v_add_co_ci_u32_e32 v1, vcc_lo, v2, v4, vcc_lo
	v_ashrrev_i32_e32 v2, 31, v1
	s_delay_alu instid0(VALU_DEP_1) | instskip(NEXT) | instid1(VALU_DEP_1)
	v_lshlrev_b64 v[1:2], 2, v[1:2]
	v_add_co_u32 v1, vcc_lo, s2, v1
	s_delay_alu instid0(VALU_DEP_2)
	v_add_co_ci_u32_e32 v2, vcc_lo, s3, v2, vcc_lo
	s_waitcnt lgkmcnt(0)
	global_store_b32 v[1:2], v3, off
	s_branch .LBB1_49
.LBB1_52:
	s_nop 0
	s_sendmsg sendmsg(MSG_DEALLOC_VGPRS)
	s_endpgm
	.section	.rodata,"a",@progbits
	.p2align	6, 0x0
	.amdhsa_kernel _ZN9rocsparseL38csrgemm_numeric_fill_wf_per_row_kernelILj256ELj16ELj32ELj137EiifEEvT4_S1_PKS1_S3_NS_24const_host_device_scalarIT5_EEPKT3_S3_PKS5_S9_S3_SB_S6_S9_S3_SB_S9_S3_PS5_21rocsparse_index_base_SD_SD_SD_bbb
		.amdhsa_group_segment_fixed_size 4096
		.amdhsa_private_segment_fixed_size 0
		.amdhsa_kernarg_size 156
		.amdhsa_user_sgpr_count 15
		.amdhsa_user_sgpr_dispatch_ptr 0
		.amdhsa_user_sgpr_queue_ptr 0
		.amdhsa_user_sgpr_kernarg_segment_ptr 1
		.amdhsa_user_sgpr_dispatch_id 0
		.amdhsa_user_sgpr_private_segment_size 0
		.amdhsa_wavefront_size32 1
		.amdhsa_uses_dynamic_stack 0
		.amdhsa_enable_private_segment 0
		.amdhsa_system_sgpr_workgroup_id_x 1
		.amdhsa_system_sgpr_workgroup_id_y 0
		.amdhsa_system_sgpr_workgroup_id_z 0
		.amdhsa_system_sgpr_workgroup_info 0
		.amdhsa_system_vgpr_workitem_id 0
		.amdhsa_next_free_vgpr 38
		.amdhsa_next_free_sgpr 40
		.amdhsa_reserve_vcc 1
		.amdhsa_float_round_mode_32 0
		.amdhsa_float_round_mode_16_64 0
		.amdhsa_float_denorm_mode_32 3
		.amdhsa_float_denorm_mode_16_64 3
		.amdhsa_dx10_clamp 1
		.amdhsa_ieee_mode 1
		.amdhsa_fp16_overflow 0
		.amdhsa_workgroup_processor_mode 1
		.amdhsa_memory_ordered 1
		.amdhsa_forward_progress 0
		.amdhsa_shared_vgpr_count 0
		.amdhsa_exception_fp_ieee_invalid_op 0
		.amdhsa_exception_fp_denorm_src 0
		.amdhsa_exception_fp_ieee_div_zero 0
		.amdhsa_exception_fp_ieee_overflow 0
		.amdhsa_exception_fp_ieee_underflow 0
		.amdhsa_exception_fp_ieee_inexact 0
		.amdhsa_exception_int_div_zero 0
	.end_amdhsa_kernel
	.section	.text._ZN9rocsparseL38csrgemm_numeric_fill_wf_per_row_kernelILj256ELj16ELj32ELj137EiifEEvT4_S1_PKS1_S3_NS_24const_host_device_scalarIT5_EEPKT3_S3_PKS5_S9_S3_SB_S6_S9_S3_SB_S9_S3_PS5_21rocsparse_index_base_SD_SD_SD_bbb,"axG",@progbits,_ZN9rocsparseL38csrgemm_numeric_fill_wf_per_row_kernelILj256ELj16ELj32ELj137EiifEEvT4_S1_PKS1_S3_NS_24const_host_device_scalarIT5_EEPKT3_S3_PKS5_S9_S3_SB_S6_S9_S3_SB_S9_S3_PS5_21rocsparse_index_base_SD_SD_SD_bbb,comdat
.Lfunc_end1:
	.size	_ZN9rocsparseL38csrgemm_numeric_fill_wf_per_row_kernelILj256ELj16ELj32ELj137EiifEEvT4_S1_PKS1_S3_NS_24const_host_device_scalarIT5_EEPKT3_S3_PKS5_S9_S3_SB_S6_S9_S3_SB_S9_S3_PS5_21rocsparse_index_base_SD_SD_SD_bbb, .Lfunc_end1-_ZN9rocsparseL38csrgemm_numeric_fill_wf_per_row_kernelILj256ELj16ELj32ELj137EiifEEvT4_S1_PKS1_S3_NS_24const_host_device_scalarIT5_EEPKT3_S3_PKS5_S9_S3_SB_S6_S9_S3_SB_S9_S3_PS5_21rocsparse_index_base_SD_SD_SD_bbb
                                        ; -- End function
	.section	.AMDGPU.csdata,"",@progbits
; Kernel info:
; codeLenInByte = 2176
; NumSgprs: 42
; NumVgprs: 38
; ScratchSize: 0
; MemoryBound: 0
; FloatMode: 240
; IeeeMode: 1
; LDSByteSize: 4096 bytes/workgroup (compile time only)
; SGPRBlocks: 5
; VGPRBlocks: 4
; NumSGPRsForWavesPerEU: 42
; NumVGPRsForWavesPerEU: 38
; Occupancy: 16
; WaveLimiterHint : 1
; COMPUTE_PGM_RSRC2:SCRATCH_EN: 0
; COMPUTE_PGM_RSRC2:USER_SGPR: 15
; COMPUTE_PGM_RSRC2:TRAP_HANDLER: 0
; COMPUTE_PGM_RSRC2:TGID_X_EN: 1
; COMPUTE_PGM_RSRC2:TGID_Y_EN: 0
; COMPUTE_PGM_RSRC2:TGID_Z_EN: 0
; COMPUTE_PGM_RSRC2:TIDIG_COMP_CNT: 0
	.section	.text._ZN9rocsparseL41csrgemm_numeric_fill_block_per_row_kernelILj128ELj16ELj256ELj137ELj32EiifEEvT5_PKS1_S3_NS_24const_host_device_scalarIT6_EEPKT4_S3_PKS5_S9_S3_SB_S6_S9_S3_SB_S9_S3_PS5_21rocsparse_index_base_SD_SD_SD_bbb,"axG",@progbits,_ZN9rocsparseL41csrgemm_numeric_fill_block_per_row_kernelILj128ELj16ELj256ELj137ELj32EiifEEvT5_PKS1_S3_NS_24const_host_device_scalarIT6_EEPKT4_S3_PKS5_S9_S3_SB_S6_S9_S3_SB_S9_S3_PS5_21rocsparse_index_base_SD_SD_SD_bbb,comdat
	.globl	_ZN9rocsparseL41csrgemm_numeric_fill_block_per_row_kernelILj128ELj16ELj256ELj137ELj32EiifEEvT5_PKS1_S3_NS_24const_host_device_scalarIT6_EEPKT4_S3_PKS5_S9_S3_SB_S6_S9_S3_SB_S9_S3_PS5_21rocsparse_index_base_SD_SD_SD_bbb ; -- Begin function _ZN9rocsparseL41csrgemm_numeric_fill_block_per_row_kernelILj128ELj16ELj256ELj137ELj32EiifEEvT5_PKS1_S3_NS_24const_host_device_scalarIT6_EEPKT4_S3_PKS5_S9_S3_SB_S6_S9_S3_SB_S9_S3_PS5_21rocsparse_index_base_SD_SD_SD_bbb
	.p2align	8
	.type	_ZN9rocsparseL41csrgemm_numeric_fill_block_per_row_kernelILj128ELj16ELj256ELj137ELj32EiifEEvT5_PKS1_S3_NS_24const_host_device_scalarIT6_EEPKT4_S3_PKS5_S9_S3_SB_S6_S9_S3_SB_S9_S3_PS5_21rocsparse_index_base_SD_SD_SD_bbb,@function
_ZN9rocsparseL41csrgemm_numeric_fill_block_per_row_kernelILj128ELj16ELj256ELj137ELj32EiifEEvT5_PKS1_S3_NS_24const_host_device_scalarIT6_EEPKT4_S3_PKS5_S9_S3_SB_S6_S9_S3_SB_S9_S3_PS5_21rocsparse_index_base_SD_SD_SD_bbb: ; @_ZN9rocsparseL41csrgemm_numeric_fill_block_per_row_kernelILj128ELj16ELj256ELj137ELj32EiifEEvT5_PKS1_S3_NS_24const_host_device_scalarIT6_EEPKT4_S3_PKS5_S9_S3_SB_S6_S9_S3_SB_S9_S3_PS5_21rocsparse_index_base_SD_SD_SD_bbb
; %bb.0:
	s_clause 0x2
	s_load_b32 s6, s[0:1], 0x98
	s_load_b64 s[4:5], s[0:1], 0x18
	s_load_b64 s[2:3], s[0:1], 0x50
	s_waitcnt lgkmcnt(0)
	s_bitcmp1_b32 s6, 0
	s_cselect_b32 s35, -1, 0
	s_bitcmp1_b32 s6, 16
	s_cselect_b32 s7, -1, 0
	s_xor_b32 s8, s35, -1
	s_delay_alu instid0(SALU_CYCLE_1) | instskip(NEXT) | instid1(SALU_CYCLE_1)
	s_or_b32 s8, s8, s7
	s_and_b32 vcc_lo, exec_lo, s8
	s_cbranch_vccnz .LBB2_2
; %bb.1:
	s_load_b32 s4, s[4:5], 0x0
	s_waitcnt lgkmcnt(0)
	v_mov_b32_e32 v8, s4
	s_branch .LBB2_3
.LBB2_2:
	v_cndmask_b32_e64 v8, 0, s4, s35
.LBB2_3:
	s_load_b128 s[24:27], s[0:1], 0x88
	s_bitcmp1_b32 s6, 8
	s_cselect_b32 s34, -1, 0
	s_delay_alu instid0(SALU_CYCLE_1) | instskip(NEXT) | instid1(SALU_CYCLE_1)
	s_xor_b32 s4, s34, -1
	s_or_b32 s4, s4, s7
	s_delay_alu instid0(SALU_CYCLE_1)
	s_and_b32 vcc_lo, exec_lo, s4
	s_cbranch_vccnz .LBB2_5
; %bb.4:
	s_load_b32 s2, s[2:3], 0x0
	s_waitcnt lgkmcnt(0)
	v_mov_b32_e32 v7, s2
	s_branch .LBB2_6
.LBB2_5:
	v_cndmask_b32_e64 v7, 0, s2, s34
.LBB2_6:
	s_clause 0x5
	s_load_b64 s[12:13], s[0:1], 0x80
	s_load_b256 s[4:11], s[0:1], 0x58
	s_load_b128 s[28:31], s[0:1], 0x40
	s_load_b256 s[16:23], s[0:1], 0x20
	s_load_b128 s[36:39], s[0:1], 0x8
	s_load_b32 s33, s[0:1], 0x0
	v_cmp_gt_u32_e64 s0, 0x100, v0
	v_or_b32_e32 v5, 0xffffff80, v0
	v_lshl_add_u32 v6, v0, 2, 0
	s_delay_alu instid0(VALU_DEP_3)
	s_and_saveexec_b32 s1, s0
	s_cbranch_execz .LBB2_9
; %bb.7:
	v_or_b32_e32 v1, 0xffffff80, v0
	v_lshl_add_u32 v2, v0, 2, 0
	s_waitcnt lgkmcnt(0)
	v_dual_mov_b32 v3, s33 :: v_dual_mov_b32 v4, 0
	s_mov_b32 s2, 0
.LBB2_8:                                ; =>This Inner Loop Header: Depth=1
	v_add_co_u32 v1, s3, 0x80, v1
	s_delay_alu instid0(VALU_DEP_1) | instskip(SKIP_3) | instid1(SALU_CYCLE_1)
	s_xor_b32 s3, s3, -1
	ds_store_2addr_stride64_b32 v2, v3, v4 offset1:4
	v_add_nc_u32_e32 v2, 0x200, v2
	s_and_b32 s3, exec_lo, s3
	s_or_b32 s2, s3, s2
	s_delay_alu instid0(SALU_CYCLE_1)
	s_and_not1_b32 exec_lo, exec_lo, s2
	s_cbranch_execnz .LBB2_8
.LBB2_9:
	s_or_b32 exec_lo, exec_lo, s1
	s_waitcnt lgkmcnt(0)
	s_barrier
	buffer_gl0_inv
	s_load_b32 s1, s[36:37], 0x0
	s_mov_b32 s3, 0
	s_waitcnt lgkmcnt(0)
	s_add_i32 s2, s1, s15
	s_delay_alu instid0(SALU_CYCLE_1) | instskip(NEXT) | instid1(SALU_CYCLE_1)
	s_lshl_b64 s[2:3], s[2:3], 2
	s_add_u32 s2, s38, s2
	s_addc_u32 s3, s39, s3
	s_and_b32 vcc_lo, exec_lo, s35
	s_load_b32 s14, s[2:3], 0x0
	s_cbranch_vccz .LBB2_29
; %bb.10:
	s_waitcnt lgkmcnt(0)
	s_ashr_i32 s15, s14, 31
	v_lshrrev_b32_e32 v1, 4, v0
	s_lshl_b64 s[2:3], s[14:15], 2
	s_delay_alu instid0(SALU_CYCLE_1) | instskip(SKIP_1) | instid1(VALU_DEP_1)
	s_add_u32 s2, s16, s2
	s_addc_u32 s3, s17, s3
	v_subrev_nc_u32_e32 v1, s24, v1
	s_load_b64 s[2:3], s[2:3], 0x0
	s_waitcnt lgkmcnt(0)
	s_delay_alu instid0(VALU_DEP_1) | instskip(SKIP_2) | instid1(VALU_DEP_1)
	v_add_nc_u32_e32 v1, s2, v1
	s_sub_i32 s1, s3, s24
	s_mov_b32 s2, exec_lo
	v_cmpx_gt_i32_e64 s1, v1
	s_cbranch_execz .LBB2_28
; %bb.11:
	v_and_b32_e32 v2, 15, v0
	s_mov_b32 s3, 0
	s_delay_alu instid0(VALU_DEP_1)
	v_subrev_nc_u32_e32 v9, s25, v2
	s_branch .LBB2_13
.LBB2_12:                               ;   in Loop: Header=BB2_13 Depth=1
	s_or_b32 exec_lo, exec_lo, s15
	v_add_nc_u32_e32 v1, 8, v1
	s_delay_alu instid0(VALU_DEP_1) | instskip(SKIP_1) | instid1(SALU_CYCLE_1)
	v_cmp_le_i32_e32 vcc_lo, s1, v1
	s_or_b32 s3, vcc_lo, s3
	s_and_not1_b32 exec_lo, exec_lo, s3
	s_cbranch_execz .LBB2_28
.LBB2_13:                               ; =>This Loop Header: Depth=1
                                        ;     Child Loop BB2_16 Depth 2
                                        ;       Child Loop BB2_18 Depth 3
	v_ashrrev_i32_e32 v2, 31, v1
	s_mov_b32 s15, exec_lo
	s_delay_alu instid0(VALU_DEP_1) | instskip(NEXT) | instid1(VALU_DEP_1)
	v_lshlrev_b64 v[3:4], 2, v[1:2]
	v_add_co_u32 v10, vcc_lo, s18, v3
	s_delay_alu instid0(VALU_DEP_2) | instskip(SKIP_3) | instid1(VALU_DEP_1)
	v_add_co_ci_u32_e32 v11, vcc_lo, s19, v4, vcc_lo
	global_load_b32 v2, v[10:11], off
	s_waitcnt vmcnt(0)
	v_subrev_nc_u32_e32 v10, s24, v2
	v_ashrrev_i32_e32 v11, 31, v10
	s_delay_alu instid0(VALU_DEP_1) | instskip(NEXT) | instid1(VALU_DEP_1)
	v_lshlrev_b64 v[10:11], 2, v[10:11]
	v_add_co_u32 v10, vcc_lo, s22, v10
	s_delay_alu instid0(VALU_DEP_2) | instskip(SKIP_4) | instid1(VALU_DEP_1)
	v_add_co_ci_u32_e32 v11, vcc_lo, s23, v11, vcc_lo
	global_load_b64 v[11:12], v[10:11], off
	s_waitcnt vmcnt(0)
	v_subrev_nc_u32_e32 v10, s25, v12
	v_add_nc_u32_e32 v2, v11, v9
	v_cmpx_lt_i32_e64 v2, v10
	s_cbranch_execz .LBB2_12
; %bb.14:                               ;   in Loop: Header=BB2_13 Depth=1
	v_add_co_u32 v3, vcc_lo, s20, v3
	v_add_co_ci_u32_e32 v4, vcc_lo, s21, v4, vcc_lo
	s_mov_b32 s16, 0
	global_load_b32 v3, v[3:4], off
	s_waitcnt vmcnt(0)
	v_mul_f32_e32 v4, v8, v3
	s_branch .LBB2_16
.LBB2_15:                               ;   in Loop: Header=BB2_16 Depth=2
	s_or_b32 exec_lo, exec_lo, s17
	v_add_nc_u32_e32 v2, 16, v2
	s_delay_alu instid0(VALU_DEP_1) | instskip(SKIP_1) | instid1(SALU_CYCLE_1)
	v_cmp_ge_i32_e32 vcc_lo, v2, v10
	s_or_b32 s16, vcc_lo, s16
	s_and_not1_b32 exec_lo, exec_lo, s16
	s_cbranch_execz .LBB2_12
.LBB2_16:                               ;   Parent Loop BB2_13 Depth=1
                                        ; =>  This Loop Header: Depth=2
                                        ;       Child Loop BB2_18 Depth 3
	v_ashrrev_i32_e32 v3, 31, v2
	s_mov_b32 s17, 0
	s_delay_alu instid0(VALU_DEP_1) | instskip(NEXT) | instid1(VALU_DEP_1)
	v_lshlrev_b64 v[11:12], 2, v[2:3]
	v_add_co_u32 v13, vcc_lo, s28, v11
	s_delay_alu instid0(VALU_DEP_2)
	v_add_co_ci_u32_e32 v14, vcc_lo, s29, v12, vcc_lo
	v_add_co_u32 v11, vcc_lo, s30, v11
	v_add_co_ci_u32_e32 v12, vcc_lo, s31, v12, vcc_lo
	global_load_b32 v3, v[13:14], off
	global_load_b32 v11, v[11:12], off
	s_waitcnt vmcnt(1)
	v_subrev_nc_u32_e32 v3, s25, v3
	s_delay_alu instid0(VALU_DEP_1) | instskip(SKIP_1) | instid1(VALU_DEP_1)
	v_mul_lo_u32 v12, 0x89, v3
	s_waitcnt vmcnt(0)
	v_dual_mul_f32 v11, v4, v11 :: v_dual_and_b32 v12, 0xff, v12
	s_branch .LBB2_18
.LBB2_17:                               ;   in Loop: Header=BB2_18 Depth=3
	s_or_b32 exec_lo, exec_lo, s35
	s_xor_b32 s35, s36, -1
	s_delay_alu instid0(SALU_CYCLE_1) | instskip(NEXT) | instid1(SALU_CYCLE_1)
	s_and_b32 s35, exec_lo, s35
	s_or_b32 s17, s35, s17
	s_delay_alu instid0(SALU_CYCLE_1)
	s_and_not1_b32 exec_lo, exec_lo, s17
	s_cbranch_execz .LBB2_15
.LBB2_18:                               ;   Parent Loop BB2_13 Depth=1
                                        ;     Parent Loop BB2_16 Depth=2
                                        ; =>    This Inner Loop Header: Depth=3
	s_delay_alu instid0(VALU_DEP_1)
	v_lshl_add_u32 v13, v12, 2, 0
	s_mov_b32 s35, exec_lo
                                        ; implicit-def: $sgpr36
	ds_load_b32 v14, v13
	s_waitcnt lgkmcnt(0)
	v_cmpx_ne_u32_e64 v14, v3
	s_xor_b32 s35, exec_lo, s35
	s_cbranch_execz .LBB2_26
; %bb.19:                               ;   in Loop: Header=BB2_18 Depth=3
	s_mov_b32 s37, exec_lo
                                        ; implicit-def: $sgpr36
	v_cmpx_ne_u32_e64 s33, v14
	s_xor_b32 s37, exec_lo, s37
; %bb.20:                               ;   in Loop: Header=BB2_18 Depth=3
	v_add_nc_u32_e32 v12, 1, v12
	s_mov_b32 s36, -1
                                        ; implicit-def: $vgpr13
	s_delay_alu instid0(VALU_DEP_1)
	v_and_b32_e32 v12, 0xff, v12
; %bb.21:                               ;   in Loop: Header=BB2_18 Depth=3
	s_and_not1_saveexec_b32 s37, s37
	s_cbranch_execz .LBB2_25
; %bb.22:                               ;   in Loop: Header=BB2_18 Depth=3
	v_mov_b32_e32 v14, s33
	s_mov_b32 s38, -1
	s_mov_b32 s39, exec_lo
	ds_cmpstore_rtn_b32 v14, v13, v3, v14
	s_waitcnt lgkmcnt(0)
	v_cmpx_eq_u32_e64 s33, v14
	s_cbranch_execz .LBB2_24
; %bb.23:                               ;   in Loop: Header=BB2_18 Depth=3
	ds_add_f32 v13, v11 offset:1024
	s_xor_b32 s38, exec_lo, -1
.LBB2_24:                               ;   in Loop: Header=BB2_18 Depth=3
	s_or_b32 exec_lo, exec_lo, s39
	s_delay_alu instid0(SALU_CYCLE_1) | instskip(SKIP_1) | instid1(SALU_CYCLE_1)
	s_and_not1_b32 s36, s36, exec_lo
	s_and_b32 s38, s38, exec_lo
	s_or_b32 s36, s36, s38
.LBB2_25:                               ;   in Loop: Header=BB2_18 Depth=3
	s_or_b32 exec_lo, exec_lo, s37
	s_delay_alu instid0(SALU_CYCLE_1)
	s_and_b32 s36, s36, exec_lo
                                        ; implicit-def: $vgpr13
.LBB2_26:                               ;   in Loop: Header=BB2_18 Depth=3
	s_and_not1_saveexec_b32 s35, s35
	s_cbranch_execz .LBB2_17
; %bb.27:                               ;   in Loop: Header=BB2_18 Depth=3
	ds_add_f32 v13, v11 offset:1024
	s_and_not1_b32 s36, s36, exec_lo
	s_branch .LBB2_17
.LBB2_28:
	s_or_b32 exec_lo, exec_lo, s2
.LBB2_29:
	s_delay_alu instid0(SALU_CYCLE_1)
	s_and_not1_b32 vcc_lo, exec_lo, s34
	s_cbranch_vccnz .LBB2_46
; %bb.30:
	s_waitcnt lgkmcnt(0)
	s_ashr_i32 s15, s14, 31
	v_subrev_nc_u32_e32 v1, s27, v0
	s_lshl_b64 s[2:3], s[14:15], 2
	s_delay_alu instid0(SALU_CYCLE_1)
	s_add_u32 s2, s4, s2
	s_addc_u32 s3, s5, s3
	s_load_b64 s[2:3], s[2:3], 0x0
	s_waitcnt lgkmcnt(0)
	v_add_nc_u32_e32 v1, s2, v1
	s_sub_i32 s1, s3, s27
	s_mov_b32 s2, exec_lo
	s_delay_alu instid0(VALU_DEP_1)
	v_cmpx_gt_i32_e64 s1, v1
	s_cbranch_execz .LBB2_45
; %bb.31:
	s_mov_b32 s3, 0
	s_branch .LBB2_33
.LBB2_32:                               ;   in Loop: Header=BB2_33 Depth=1
	s_or_b32 exec_lo, exec_lo, s4
	v_add_nc_u32_e32 v1, 0x80, v1
	s_delay_alu instid0(VALU_DEP_1) | instskip(SKIP_1) | instid1(SALU_CYCLE_1)
	v_cmp_le_i32_e32 vcc_lo, s1, v1
	s_or_b32 s3, vcc_lo, s3
	s_and_not1_b32 exec_lo, exec_lo, s3
	s_cbranch_execz .LBB2_45
.LBB2_33:                               ; =>This Loop Header: Depth=1
                                        ;     Child Loop BB2_35 Depth 2
	v_ashrrev_i32_e32 v2, 31, v1
	s_mov_b32 s4, 0
	s_delay_alu instid0(VALU_DEP_1) | instskip(NEXT) | instid1(VALU_DEP_1)
	v_lshlrev_b64 v[2:3], 2, v[1:2]
	v_add_co_u32 v8, vcc_lo, s6, v2
	s_delay_alu instid0(VALU_DEP_2)
	v_add_co_ci_u32_e32 v9, vcc_lo, s7, v3, vcc_lo
	v_add_co_u32 v2, vcc_lo, s8, v2
	v_add_co_ci_u32_e32 v3, vcc_lo, s9, v3, vcc_lo
	global_load_b32 v4, v[8:9], off
	global_load_b32 v3, v[2:3], off
	s_waitcnt vmcnt(1)
	v_subrev_nc_u32_e32 v2, s27, v4
	s_delay_alu instid0(VALU_DEP_1) | instskip(SKIP_1) | instid1(VALU_DEP_1)
	v_mul_lo_u32 v4, 0x89, v2
	s_waitcnt vmcnt(0)
	v_dual_mul_f32 v3, v7, v3 :: v_dual_and_b32 v4, 0xff, v4
	s_branch .LBB2_35
.LBB2_34:                               ;   in Loop: Header=BB2_35 Depth=2
	s_or_b32 exec_lo, exec_lo, s5
	s_xor_b32 s5, s15, -1
	s_delay_alu instid0(SALU_CYCLE_1) | instskip(NEXT) | instid1(SALU_CYCLE_1)
	s_and_b32 s5, exec_lo, s5
	s_or_b32 s4, s5, s4
	s_delay_alu instid0(SALU_CYCLE_1)
	s_and_not1_b32 exec_lo, exec_lo, s4
	s_cbranch_execz .LBB2_32
.LBB2_35:                               ;   Parent Loop BB2_33 Depth=1
                                        ; =>  This Inner Loop Header: Depth=2
	s_delay_alu instid0(VALU_DEP_1)
	v_lshl_add_u32 v8, v4, 2, 0
	s_mov_b32 s5, exec_lo
                                        ; implicit-def: $sgpr15
	ds_load_b32 v9, v8
	s_waitcnt lgkmcnt(0)
	v_cmpx_ne_u32_e64 v9, v2
	s_xor_b32 s5, exec_lo, s5
	s_cbranch_execz .LBB2_43
; %bb.36:                               ;   in Loop: Header=BB2_35 Depth=2
	s_mov_b32 s16, exec_lo
                                        ; implicit-def: $sgpr15
	v_cmpx_ne_u32_e64 s33, v9
	s_xor_b32 s16, exec_lo, s16
; %bb.37:                               ;   in Loop: Header=BB2_35 Depth=2
	v_add_nc_u32_e32 v4, 1, v4
	s_mov_b32 s15, -1
                                        ; implicit-def: $vgpr8
	s_delay_alu instid0(VALU_DEP_1)
	v_and_b32_e32 v4, 0xff, v4
; %bb.38:                               ;   in Loop: Header=BB2_35 Depth=2
	s_and_not1_saveexec_b32 s16, s16
	s_cbranch_execz .LBB2_42
; %bb.39:                               ;   in Loop: Header=BB2_35 Depth=2
	v_mov_b32_e32 v9, s33
	s_mov_b32 s17, -1
	s_mov_b32 s18, exec_lo
	ds_cmpstore_rtn_b32 v9, v8, v2, v9
	s_waitcnt lgkmcnt(0)
	v_cmpx_eq_u32_e64 s33, v9
	s_cbranch_execz .LBB2_41
; %bb.40:                               ;   in Loop: Header=BB2_35 Depth=2
	ds_add_f32 v8, v3 offset:1024
	s_xor_b32 s17, exec_lo, -1
.LBB2_41:                               ;   in Loop: Header=BB2_35 Depth=2
	s_or_b32 exec_lo, exec_lo, s18
	s_delay_alu instid0(SALU_CYCLE_1) | instskip(SKIP_1) | instid1(SALU_CYCLE_1)
	s_and_not1_b32 s15, s15, exec_lo
	s_and_b32 s17, s17, exec_lo
	s_or_b32 s15, s15, s17
.LBB2_42:                               ;   in Loop: Header=BB2_35 Depth=2
	s_or_b32 exec_lo, exec_lo, s16
	s_delay_alu instid0(SALU_CYCLE_1)
	s_and_b32 s15, s15, exec_lo
                                        ; implicit-def: $vgpr8
.LBB2_43:                               ;   in Loop: Header=BB2_35 Depth=2
	s_and_not1_saveexec_b32 s5, s5
	s_cbranch_execz .LBB2_34
; %bb.44:                               ;   in Loop: Header=BB2_35 Depth=2
	ds_add_f32 v8, v3 offset:1024
	s_and_not1_b32 s15, s15, exec_lo
	s_branch .LBB2_34
.LBB2_45:
	s_or_b32 exec_lo, exec_lo, s2
.LBB2_46:
	s_waitcnt lgkmcnt(0)
	s_barrier
	buffer_gl0_inv
	s_and_saveexec_b32 s4, s0
	s_cbranch_execz .LBB2_59
; %bb.47:
	v_mbcnt_lo_u32_b32 v1, -1, 0
	v_lshrrev_b32_e32 v2, 3, v0
	v_cmp_eq_u32_e32 vcc_lo, 0x7f, v0
	v_cmp_lt_u32_e64 s0, 31, v0
	v_cmp_lt_u32_e64 s1, 63, v0
	v_xor_b32_e32 v1, 63, v1
	v_dual_mov_b32 v8, 0 :: v_dual_and_b32 v3, 12, v2
	v_cmp_lt_u32_e64 s2, 0x5f, v0
	s_mov_b32 s5, 0
	s_delay_alu instid0(VALU_DEP_3) | instskip(NEXT) | instid1(VALU_DEP_3)
	v_lshrrev_b64 v[1:2], v1, -1
	v_dual_mov_b32 v7, 0 :: v_dual_add_nc_u32 v4, 0, v3
	s_branch .LBB2_49
.LBB2_48:                               ;   in Loop: Header=BB2_49 Depth=1
	s_or_b32 exec_lo, exec_lo, s3
	s_waitcnt lgkmcnt(0)
	s_barrier
	buffer_gl0_inv
	ds_load_b32 v2, v7 offset:2060
	v_add_co_u32 v5, s3, 0x80, v5
	s_delay_alu instid0(VALU_DEP_1) | instskip(SKIP_2) | instid1(SALU_CYCLE_1)
	s_xor_b32 s3, s3, -1
	v_add_nc_u32_e32 v6, 0x200, v6
	s_and_b32 s3, exec_lo, s3
	s_or_b32 s5, s3, s5
	s_waitcnt lgkmcnt(0)
	v_add_nc_u32_e32 v8, v2, v8
	s_and_not1_b32 exec_lo, exec_lo, s5
	s_cbranch_execz .LBB2_59
.LBB2_49:                               ; =>This Inner Loop Header: Depth=1
	ds_load_2addr_stride64_b32 v[2:3], v6 offset1:4
	s_waitcnt lgkmcnt(0)
	s_barrier
	buffer_gl0_inv
	v_cmp_gt_i32_e64 s3, s33, v2
	s_delay_alu instid0(VALU_DEP_1) | instskip(NEXT) | instid1(SALU_CYCLE_1)
	s_bcnt1_i32_b32 s6, s3
	v_dual_mov_b32 v10, s6 :: v_dual_and_b32 v9, s3, v1
	s_delay_alu instid0(VALU_DEP_1)
	v_bcnt_u32_b32 v9, v9, 0
	ds_store_b32 v4, v10 offset:2048
	s_waitcnt lgkmcnt(0)
	s_barrier
	buffer_gl0_inv
	s_and_saveexec_b32 s6, s0
	s_cbranch_execnz .LBB2_54
; %bb.50:                               ;   in Loop: Header=BB2_49 Depth=1
	s_or_b32 exec_lo, exec_lo, s6
	s_and_saveexec_b32 s6, s1
	s_cbranch_execnz .LBB2_55
.LBB2_51:                               ;   in Loop: Header=BB2_49 Depth=1
	s_or_b32 exec_lo, exec_lo, s6
	s_and_saveexec_b32 s6, s2
	s_cbranch_execnz .LBB2_56
.LBB2_52:                               ;   in Loop: Header=BB2_49 Depth=1
	s_or_b32 exec_lo, exec_lo, s6
	s_and_saveexec_b32 s6, s3
	s_cbranch_execnz .LBB2_57
.LBB2_53:                               ;   in Loop: Header=BB2_49 Depth=1
	s_or_b32 exec_lo, exec_lo, s6
	s_and_saveexec_b32 s3, vcc_lo
	s_cbranch_execz .LBB2_48
	s_branch .LBB2_58
.LBB2_54:                               ;   in Loop: Header=BB2_49 Depth=1
	ds_load_b32 v10, v7 offset:2048
	s_waitcnt lgkmcnt(0)
	v_add_nc_u32_e32 v9, v10, v9
	s_or_b32 exec_lo, exec_lo, s6
	s_and_saveexec_b32 s6, s1
	s_cbranch_execz .LBB2_51
.LBB2_55:                               ;   in Loop: Header=BB2_49 Depth=1
	ds_load_b32 v10, v7 offset:2052
	s_waitcnt lgkmcnt(0)
	v_add_nc_u32_e32 v9, v10, v9
	s_or_b32 exec_lo, exec_lo, s6
	s_and_saveexec_b32 s6, s2
	s_cbranch_execz .LBB2_52
.LBB2_56:                               ;   in Loop: Header=BB2_49 Depth=1
	ds_load_b32 v10, v7 offset:2056
	s_waitcnt lgkmcnt(0)
	v_add_nc_u32_e32 v9, v10, v9
	s_or_b32 exec_lo, exec_lo, s6
	s_and_saveexec_b32 s6, s3
	s_cbranch_execz .LBB2_53
.LBB2_57:                               ;   in Loop: Header=BB2_49 Depth=1
	s_delay_alu instid0(VALU_DEP_1) | instskip(NEXT) | instid1(VALU_DEP_1)
	v_add3_u32 v10, v8, -1, v9
	v_lshl_add_u32 v10, v10, 2, 0
	ds_store_2addr_stride64_b32 v10, v2, v3 offset1:4
	s_or_b32 exec_lo, exec_lo, s6
	s_and_saveexec_b32 s3, vcc_lo
	s_cbranch_execz .LBB2_48
.LBB2_58:                               ;   in Loop: Header=BB2_49 Depth=1
	ds_store_b32 v7, v9 offset:2060
	s_branch .LBB2_48
.LBB2_59:
	s_or_b32 exec_lo, exec_lo, s4
	s_ashr_i32 s15, s14, 31
	s_mov_b32 s3, exec_lo
	s_lshl_b64 s[0:1], s[14:15], 2
	s_delay_alu instid0(SALU_CYCLE_1) | instskip(SKIP_4) | instid1(SALU_CYCLE_1)
	s_add_u32 s0, s10, s0
	s_addc_u32 s1, s11, s1
	s_load_b64 s[0:1], s[0:1], 0x0
	s_waitcnt lgkmcnt(0)
	s_sub_i32 s2, s1, s0
	v_cmpx_gt_i32_e64 s2, v0
	s_cbranch_execz .LBB2_69
; %bb.60:
	s_sub_i32 s3, s0, s26
	s_sub_i32 s0, s0, s1
	s_and_b32 s1, s2, 7
	s_cmp_lt_u32 s0, -7
	s_mov_b32 s7, 0
	s_cselect_b32 s4, -1, 0
	s_and_b32 s5, s2, -8
	s_cmp_lg_u32 s1, 0
	s_cselect_b32 s6, -1, 0
	s_branch .LBB2_62
.LBB2_61:                               ;   in Loop: Header=BB2_62 Depth=1
	s_delay_alu instid0(VALU_DEP_1) | instskip(SKIP_1) | instid1(VALU_DEP_2)
	v_ashrrev_i32_e32 v4, 31, v3
	v_add_nc_u32_e32 v0, 0x80, v0
	v_lshlrev_b64 v[3:4], 2, v[3:4]
	s_delay_alu instid0(VALU_DEP_2) | instskip(SKIP_1) | instid1(VALU_DEP_2)
	v_cmp_le_i32_e32 vcc_lo, s2, v0
	s_or_b32 s7, vcc_lo, s7
	v_add_co_u32 v3, s0, s12, v3
	s_delay_alu instid0(VALU_DEP_1)
	v_add_co_ci_u32_e64 v4, s0, s13, v4, s0
	s_waitcnt lgkmcnt(0)
	global_store_b32 v[3:4], v2, off
	s_and_not1_b32 exec_lo, exec_lo, s7
	s_cbranch_execz .LBB2_69
.LBB2_62:                               ; =>This Loop Header: Depth=1
                                        ;     Child Loop BB2_64 Depth 2
                                        ;     Child Loop BB2_68 Depth 2
	v_lshl_add_u32 v1, v0, 2, 0
	v_mov_b32_e32 v3, s3
	s_and_not1_b32 vcc_lo, exec_lo, s4
	s_mov_b32 s0, 0
	ds_load_2addr_stride64_b32 v[1:2], v1 offset1:4
	s_cbranch_vccnz .LBB2_66
; %bb.63:                               ;   in Loop: Header=BB2_62 Depth=1
	v_mov_b32_e32 v3, s3
	s_mov_b32 s8, 0
	s_set_inst_prefetch_distance 0x1
	.p2align	6
.LBB2_64:                               ;   Parent Loop BB2_62 Depth=1
                                        ; =>  This Inner Loop Header: Depth=2
	v_mov_b32_e32 v10, s8
	s_add_i32 s0, s0, 8
	s_add_i32 s8, s8, 32
	s_cmp_eq_u32 s5, s0
	ds_load_2addr_b32 v[4:5], v10 offset1:1
	ds_load_2addr_b32 v[6:7], v10 offset0:2 offset1:3
	ds_load_2addr_b32 v[8:9], v10 offset0:4 offset1:5
	;; [unrolled: 1-line block ×3, first 2 shown]
	s_waitcnt lgkmcnt(3)
	v_cmp_gt_i32_e32 vcc_lo, v1, v4
	v_cndmask_b32_e64 v4, 0, 1, vcc_lo
	s_waitcnt lgkmcnt(2)
	v_cmp_gt_i32_e32 vcc_lo, v1, v6
	v_cndmask_b32_e64 v6, 0, 1, vcc_lo
	v_cmp_gt_i32_e32 vcc_lo, v1, v5
	v_add_co_ci_u32_e32 v3, vcc_lo, v3, v4, vcc_lo
	s_waitcnt lgkmcnt(1)
	v_cmp_gt_i32_e32 vcc_lo, v1, v8
	v_cndmask_b32_e64 v4, 0, 1, vcc_lo
	v_cmp_gt_i32_e32 vcc_lo, v1, v7
	v_add_co_ci_u32_e32 v3, vcc_lo, v3, v6, vcc_lo
	s_waitcnt lgkmcnt(0)
	v_cmp_gt_i32_e32 vcc_lo, v1, v10
	v_cndmask_b32_e64 v5, 0, 1, vcc_lo
	v_cmp_gt_i32_e32 vcc_lo, v1, v9
	v_add_co_ci_u32_e32 v3, vcc_lo, v3, v4, vcc_lo
	v_cmp_gt_i32_e32 vcc_lo, v1, v11
	s_delay_alu instid0(VALU_DEP_2)
	v_add_co_ci_u32_e32 v3, vcc_lo, v3, v5, vcc_lo
	s_cbranch_scc0 .LBB2_64
; %bb.65:                               ;   in Loop: Header=BB2_62 Depth=1
	s_set_inst_prefetch_distance 0x2
	s_mov_b32 s0, s5
.LBB2_66:                               ;   in Loop: Header=BB2_62 Depth=1
	s_and_not1_b32 vcc_lo, exec_lo, s6
	s_cbranch_vccnz .LBB2_61
; %bb.67:                               ;   in Loop: Header=BB2_62 Depth=1
	s_lshl_b32 s0, s0, 2
	s_mov_b32 s8, s1
	s_add_i32 s0, s0, 0
.LBB2_68:                               ;   Parent Loop BB2_62 Depth=1
                                        ; =>  This Inner Loop Header: Depth=2
	s_delay_alu instid0(SALU_CYCLE_1)
	v_mov_b32_e32 v4, s0
	s_add_i32 s8, s8, -1
	s_add_i32 s0, s0, 4
	s_cmp_lg_u32 s8, 0
	ds_load_b32 v4, v4
	s_waitcnt lgkmcnt(0)
	v_cmp_gt_i32_e32 vcc_lo, v1, v4
	v_add_co_ci_u32_e32 v3, vcc_lo, 0, v3, vcc_lo
	s_cbranch_scc1 .LBB2_68
	s_branch .LBB2_61
.LBB2_69:
	s_nop 0
	s_sendmsg sendmsg(MSG_DEALLOC_VGPRS)
	s_endpgm
	.section	.rodata,"a",@progbits
	.p2align	6, 0x0
	.amdhsa_kernel _ZN9rocsparseL41csrgemm_numeric_fill_block_per_row_kernelILj128ELj16ELj256ELj137ELj32EiifEEvT5_PKS1_S3_NS_24const_host_device_scalarIT6_EEPKT4_S3_PKS5_S9_S3_SB_S6_S9_S3_SB_S9_S3_PS5_21rocsparse_index_base_SD_SD_SD_bbb
		.amdhsa_group_segment_fixed_size 0
		.amdhsa_private_segment_fixed_size 0
		.amdhsa_kernarg_size 156
		.amdhsa_user_sgpr_count 15
		.amdhsa_user_sgpr_dispatch_ptr 0
		.amdhsa_user_sgpr_queue_ptr 0
		.amdhsa_user_sgpr_kernarg_segment_ptr 1
		.amdhsa_user_sgpr_dispatch_id 0
		.amdhsa_user_sgpr_private_segment_size 0
		.amdhsa_wavefront_size32 1
		.amdhsa_uses_dynamic_stack 0
		.amdhsa_enable_private_segment 0
		.amdhsa_system_sgpr_workgroup_id_x 1
		.amdhsa_system_sgpr_workgroup_id_y 0
		.amdhsa_system_sgpr_workgroup_id_z 0
		.amdhsa_system_sgpr_workgroup_info 0
		.amdhsa_system_vgpr_workitem_id 0
		.amdhsa_next_free_vgpr 15
		.amdhsa_next_free_sgpr 40
		.amdhsa_reserve_vcc 1
		.amdhsa_float_round_mode_32 0
		.amdhsa_float_round_mode_16_64 0
		.amdhsa_float_denorm_mode_32 3
		.amdhsa_float_denorm_mode_16_64 3
		.amdhsa_dx10_clamp 1
		.amdhsa_ieee_mode 1
		.amdhsa_fp16_overflow 0
		.amdhsa_workgroup_processor_mode 1
		.amdhsa_memory_ordered 1
		.amdhsa_forward_progress 0
		.amdhsa_shared_vgpr_count 0
		.amdhsa_exception_fp_ieee_invalid_op 0
		.amdhsa_exception_fp_denorm_src 0
		.amdhsa_exception_fp_ieee_div_zero 0
		.amdhsa_exception_fp_ieee_overflow 0
		.amdhsa_exception_fp_ieee_underflow 0
		.amdhsa_exception_fp_ieee_inexact 0
		.amdhsa_exception_int_div_zero 0
	.end_amdhsa_kernel
	.section	.text._ZN9rocsparseL41csrgemm_numeric_fill_block_per_row_kernelILj128ELj16ELj256ELj137ELj32EiifEEvT5_PKS1_S3_NS_24const_host_device_scalarIT6_EEPKT4_S3_PKS5_S9_S3_SB_S6_S9_S3_SB_S9_S3_PS5_21rocsparse_index_base_SD_SD_SD_bbb,"axG",@progbits,_ZN9rocsparseL41csrgemm_numeric_fill_block_per_row_kernelILj128ELj16ELj256ELj137ELj32EiifEEvT5_PKS1_S3_NS_24const_host_device_scalarIT6_EEPKT4_S3_PKS5_S9_S3_SB_S6_S9_S3_SB_S9_S3_PS5_21rocsparse_index_base_SD_SD_SD_bbb,comdat
.Lfunc_end2:
	.size	_ZN9rocsparseL41csrgemm_numeric_fill_block_per_row_kernelILj128ELj16ELj256ELj137ELj32EiifEEvT5_PKS1_S3_NS_24const_host_device_scalarIT6_EEPKT4_S3_PKS5_S9_S3_SB_S6_S9_S3_SB_S9_S3_PS5_21rocsparse_index_base_SD_SD_SD_bbb, .Lfunc_end2-_ZN9rocsparseL41csrgemm_numeric_fill_block_per_row_kernelILj128ELj16ELj256ELj137ELj32EiifEEvT5_PKS1_S3_NS_24const_host_device_scalarIT6_EEPKT4_S3_PKS5_S9_S3_SB_S6_S9_S3_SB_S9_S3_PS5_21rocsparse_index_base_SD_SD_SD_bbb
                                        ; -- End function
	.section	.AMDGPU.csdata,"",@progbits
; Kernel info:
; codeLenInByte = 2436
; NumSgprs: 42
; NumVgprs: 15
; ScratchSize: 0
; MemoryBound: 0
; FloatMode: 240
; IeeeMode: 1
; LDSByteSize: 0 bytes/workgroup (compile time only)
; SGPRBlocks: 5
; VGPRBlocks: 1
; NumSGPRsForWavesPerEU: 42
; NumVGPRsForWavesPerEU: 15
; Occupancy: 16
; WaveLimiterHint : 1
; COMPUTE_PGM_RSRC2:SCRATCH_EN: 0
; COMPUTE_PGM_RSRC2:USER_SGPR: 15
; COMPUTE_PGM_RSRC2:TRAP_HANDLER: 0
; COMPUTE_PGM_RSRC2:TGID_X_EN: 1
; COMPUTE_PGM_RSRC2:TGID_Y_EN: 0
; COMPUTE_PGM_RSRC2:TGID_Z_EN: 0
; COMPUTE_PGM_RSRC2:TIDIG_COMP_CNT: 0
	.section	.text._ZN9rocsparseL41csrgemm_numeric_fill_block_per_row_kernelILj128ELj16ELj256ELj137ELj64EiifEEvT5_PKS1_S3_NS_24const_host_device_scalarIT6_EEPKT4_S3_PKS5_S9_S3_SB_S6_S9_S3_SB_S9_S3_PS5_21rocsparse_index_base_SD_SD_SD_bbb,"axG",@progbits,_ZN9rocsparseL41csrgemm_numeric_fill_block_per_row_kernelILj128ELj16ELj256ELj137ELj64EiifEEvT5_PKS1_S3_NS_24const_host_device_scalarIT6_EEPKT4_S3_PKS5_S9_S3_SB_S6_S9_S3_SB_S9_S3_PS5_21rocsparse_index_base_SD_SD_SD_bbb,comdat
	.globl	_ZN9rocsparseL41csrgemm_numeric_fill_block_per_row_kernelILj128ELj16ELj256ELj137ELj64EiifEEvT5_PKS1_S3_NS_24const_host_device_scalarIT6_EEPKT4_S3_PKS5_S9_S3_SB_S6_S9_S3_SB_S9_S3_PS5_21rocsparse_index_base_SD_SD_SD_bbb ; -- Begin function _ZN9rocsparseL41csrgemm_numeric_fill_block_per_row_kernelILj128ELj16ELj256ELj137ELj64EiifEEvT5_PKS1_S3_NS_24const_host_device_scalarIT6_EEPKT4_S3_PKS5_S9_S3_SB_S6_S9_S3_SB_S9_S3_PS5_21rocsparse_index_base_SD_SD_SD_bbb
	.p2align	8
	.type	_ZN9rocsparseL41csrgemm_numeric_fill_block_per_row_kernelILj128ELj16ELj256ELj137ELj64EiifEEvT5_PKS1_S3_NS_24const_host_device_scalarIT6_EEPKT4_S3_PKS5_S9_S3_SB_S6_S9_S3_SB_S9_S3_PS5_21rocsparse_index_base_SD_SD_SD_bbb,@function
_ZN9rocsparseL41csrgemm_numeric_fill_block_per_row_kernelILj128ELj16ELj256ELj137ELj64EiifEEvT5_PKS1_S3_NS_24const_host_device_scalarIT6_EEPKT4_S3_PKS5_S9_S3_SB_S6_S9_S3_SB_S9_S3_PS5_21rocsparse_index_base_SD_SD_SD_bbb: ; @_ZN9rocsparseL41csrgemm_numeric_fill_block_per_row_kernelILj128ELj16ELj256ELj137ELj64EiifEEvT5_PKS1_S3_NS_24const_host_device_scalarIT6_EEPKT4_S3_PKS5_S9_S3_SB_S6_S9_S3_SB_S9_S3_PS5_21rocsparse_index_base_SD_SD_SD_bbb
; %bb.0:
	s_clause 0x2
	s_load_b32 s6, s[0:1], 0x98
	s_load_b64 s[4:5], s[0:1], 0x18
	s_load_b64 s[2:3], s[0:1], 0x50
	s_waitcnt lgkmcnt(0)
	s_bitcmp1_b32 s6, 0
	s_cselect_b32 s13, -1, 0
	s_bitcmp1_b32 s6, 16
	s_cselect_b32 s7, -1, 0
	s_xor_b32 s8, s13, -1
	s_delay_alu instid0(SALU_CYCLE_1) | instskip(NEXT) | instid1(SALU_CYCLE_1)
	s_or_b32 s8, s8, s7
	s_and_b32 vcc_lo, exec_lo, s8
	s_cbranch_vccnz .LBB3_2
; %bb.1:
	s_load_b32 s4, s[4:5], 0x0
	s_waitcnt lgkmcnt(0)
	v_mov_b32_e32 v9, s4
	s_branch .LBB3_3
.LBB3_2:
	v_cndmask_b32_e64 v9, 0, s4, s13
.LBB3_3:
	s_load_b128 s[24:27], s[0:1], 0x88
	s_bitcmp1_b32 s6, 8
	s_cselect_b32 s33, -1, 0
	s_delay_alu instid0(SALU_CYCLE_1) | instskip(NEXT) | instid1(SALU_CYCLE_1)
	s_xor_b32 s4, s33, -1
	s_or_b32 s4, s4, s7
	s_delay_alu instid0(SALU_CYCLE_1)
	s_and_b32 vcc_lo, exec_lo, s4
	s_cbranch_vccnz .LBB3_5
; %bb.4:
	s_load_b32 s2, s[2:3], 0x0
	s_waitcnt lgkmcnt(0)
	v_mov_b32_e32 v7, s2
	s_branch .LBB3_6
.LBB3_5:
	v_cndmask_b32_e64 v7, 0, s2, s33
.LBB3_6:
	s_clause 0x5
	s_load_b64 s[2:3], s[0:1], 0x80
	s_load_b256 s[4:11], s[0:1], 0x58
	s_load_b128 s[28:31], s[0:1], 0x40
	s_load_b256 s[16:23], s[0:1], 0x20
	s_load_b128 s[36:39], s[0:1], 0x8
	s_load_b32 s14, s[0:1], 0x0
	v_cmp_gt_u32_e64 s0, 0x100, v0
	v_or_b32_e32 v5, 0xffffff80, v0
	v_lshl_add_u32 v6, v0, 2, 0
	s_delay_alu instid0(VALU_DEP_3)
	s_and_saveexec_b32 s1, s0
	s_cbranch_execz .LBB3_9
; %bb.7:
	v_or_b32_e32 v1, 0xffffff80, v0
	v_lshl_add_u32 v2, v0, 2, 0
	s_waitcnt lgkmcnt(0)
	v_dual_mov_b32 v3, s14 :: v_dual_mov_b32 v4, 0
	s_mov_b32 s12, 0
.LBB3_8:                                ; =>This Inner Loop Header: Depth=1
	v_add_co_u32 v1, s34, 0x80, v1
	s_delay_alu instid0(VALU_DEP_1) | instskip(SKIP_3) | instid1(SALU_CYCLE_1)
	s_xor_b32 s34, s34, -1
	ds_store_2addr_stride64_b32 v2, v3, v4 offset1:4
	v_add_nc_u32_e32 v2, 0x200, v2
	s_and_b32 s34, exec_lo, s34
	s_or_b32 s12, s34, s12
	s_delay_alu instid0(SALU_CYCLE_1)
	s_and_not1_b32 exec_lo, exec_lo, s12
	s_cbranch_execnz .LBB3_8
.LBB3_9:
	s_or_b32 exec_lo, exec_lo, s1
	s_waitcnt lgkmcnt(0)
	s_barrier
	buffer_gl0_inv
	s_load_b32 s1, s[36:37], 0x0
	s_mov_b32 s35, 0
	v_lshrrev_b32_e32 v8, 4, v0
	s_waitcnt lgkmcnt(0)
	s_add_i32 s34, s1, s15
	s_delay_alu instid0(SALU_CYCLE_1) | instskip(NEXT) | instid1(SALU_CYCLE_1)
	s_lshl_b64 s[34:35], s[34:35], 2
	s_add_u32 s34, s38, s34
	s_addc_u32 s35, s39, s35
	s_and_b32 vcc_lo, exec_lo, s13
	s_load_b32 s12, s[34:35], 0x0
	s_cbranch_vccz .LBB3_29
; %bb.10:
	s_waitcnt lgkmcnt(0)
	s_ashr_i32 s13, s12, 31
	v_subrev_nc_u32_e32 v1, s24, v8
	s_lshl_b64 s[34:35], s[12:13], 2
	s_mov_b32 s13, exec_lo
	s_add_u32 s16, s16, s34
	s_addc_u32 s17, s17, s35
	s_load_b64 s[16:17], s[16:17], 0x0
	s_waitcnt lgkmcnt(0)
	v_add_nc_u32_e32 v1, s16, v1
	s_sub_i32 s1, s17, s24
	s_delay_alu instid0(VALU_DEP_1) | instid1(SALU_CYCLE_1)
	v_cmpx_gt_i32_e64 s1, v1
	s_cbranch_execz .LBB3_28
; %bb.11:
	v_and_b32_e32 v2, 15, v0
	s_mov_b32 s15, 0
	s_delay_alu instid0(VALU_DEP_1)
	v_subrev_nc_u32_e32 v10, s25, v2
	s_branch .LBB3_13
.LBB3_12:                               ;   in Loop: Header=BB3_13 Depth=1
	s_or_b32 exec_lo, exec_lo, s16
	v_add_nc_u32_e32 v1, 8, v1
	s_delay_alu instid0(VALU_DEP_1) | instskip(SKIP_1) | instid1(SALU_CYCLE_1)
	v_cmp_le_i32_e32 vcc_lo, s1, v1
	s_or_b32 s15, vcc_lo, s15
	s_and_not1_b32 exec_lo, exec_lo, s15
	s_cbranch_execz .LBB3_28
.LBB3_13:                               ; =>This Loop Header: Depth=1
                                        ;     Child Loop BB3_16 Depth 2
                                        ;       Child Loop BB3_18 Depth 3
	v_ashrrev_i32_e32 v2, 31, v1
	s_mov_b32 s16, exec_lo
	s_delay_alu instid0(VALU_DEP_1) | instskip(NEXT) | instid1(VALU_DEP_1)
	v_lshlrev_b64 v[3:4], 2, v[1:2]
	v_add_co_u32 v11, vcc_lo, s18, v3
	s_delay_alu instid0(VALU_DEP_2) | instskip(SKIP_3) | instid1(VALU_DEP_1)
	v_add_co_ci_u32_e32 v12, vcc_lo, s19, v4, vcc_lo
	global_load_b32 v2, v[11:12], off
	s_waitcnt vmcnt(0)
	v_subrev_nc_u32_e32 v11, s24, v2
	v_ashrrev_i32_e32 v12, 31, v11
	s_delay_alu instid0(VALU_DEP_1) | instskip(NEXT) | instid1(VALU_DEP_1)
	v_lshlrev_b64 v[11:12], 2, v[11:12]
	v_add_co_u32 v11, vcc_lo, s22, v11
	s_delay_alu instid0(VALU_DEP_2) | instskip(SKIP_4) | instid1(VALU_DEP_1)
	v_add_co_ci_u32_e32 v12, vcc_lo, s23, v12, vcc_lo
	global_load_b64 v[12:13], v[11:12], off
	s_waitcnt vmcnt(0)
	v_subrev_nc_u32_e32 v11, s25, v13
	v_add_nc_u32_e32 v2, v12, v10
	v_cmpx_lt_i32_e64 v2, v11
	s_cbranch_execz .LBB3_12
; %bb.14:                               ;   in Loop: Header=BB3_13 Depth=1
	v_add_co_u32 v3, vcc_lo, s20, v3
	v_add_co_ci_u32_e32 v4, vcc_lo, s21, v4, vcc_lo
	s_mov_b32 s17, 0
	global_load_b32 v3, v[3:4], off
	s_waitcnt vmcnt(0)
	v_mul_f32_e32 v4, v9, v3
	s_branch .LBB3_16
.LBB3_15:                               ;   in Loop: Header=BB3_16 Depth=2
	s_or_b32 exec_lo, exec_lo, s34
	v_add_nc_u32_e32 v2, 16, v2
	s_delay_alu instid0(VALU_DEP_1) | instskip(SKIP_1) | instid1(SALU_CYCLE_1)
	v_cmp_ge_i32_e32 vcc_lo, v2, v11
	s_or_b32 s17, vcc_lo, s17
	s_and_not1_b32 exec_lo, exec_lo, s17
	s_cbranch_execz .LBB3_12
.LBB3_16:                               ;   Parent Loop BB3_13 Depth=1
                                        ; =>  This Loop Header: Depth=2
                                        ;       Child Loop BB3_18 Depth 3
	v_ashrrev_i32_e32 v3, 31, v2
	s_mov_b32 s34, 0
	s_delay_alu instid0(VALU_DEP_1) | instskip(NEXT) | instid1(VALU_DEP_1)
	v_lshlrev_b64 v[12:13], 2, v[2:3]
	v_add_co_u32 v14, vcc_lo, s28, v12
	s_delay_alu instid0(VALU_DEP_2)
	v_add_co_ci_u32_e32 v15, vcc_lo, s29, v13, vcc_lo
	v_add_co_u32 v12, vcc_lo, s30, v12
	v_add_co_ci_u32_e32 v13, vcc_lo, s31, v13, vcc_lo
	global_load_b32 v3, v[14:15], off
	global_load_b32 v12, v[12:13], off
	s_waitcnt vmcnt(1)
	v_subrev_nc_u32_e32 v3, s25, v3
	s_delay_alu instid0(VALU_DEP_1) | instskip(SKIP_1) | instid1(VALU_DEP_1)
	v_mul_lo_u32 v13, 0x89, v3
	s_waitcnt vmcnt(0)
	v_dual_mul_f32 v12, v4, v12 :: v_dual_and_b32 v13, 0xff, v13
	s_branch .LBB3_18
.LBB3_17:                               ;   in Loop: Header=BB3_18 Depth=3
	s_or_b32 exec_lo, exec_lo, s35
	s_xor_b32 s35, s36, -1
	s_delay_alu instid0(SALU_CYCLE_1) | instskip(NEXT) | instid1(SALU_CYCLE_1)
	s_and_b32 s35, exec_lo, s35
	s_or_b32 s34, s35, s34
	s_delay_alu instid0(SALU_CYCLE_1)
	s_and_not1_b32 exec_lo, exec_lo, s34
	s_cbranch_execz .LBB3_15
.LBB3_18:                               ;   Parent Loop BB3_13 Depth=1
                                        ;     Parent Loop BB3_16 Depth=2
                                        ; =>    This Inner Loop Header: Depth=3
	s_delay_alu instid0(VALU_DEP_1)
	v_lshl_add_u32 v14, v13, 2, 0
	s_mov_b32 s35, exec_lo
                                        ; implicit-def: $sgpr36
	ds_load_b32 v15, v14
	s_waitcnt lgkmcnt(0)
	v_cmpx_ne_u32_e64 v15, v3
	s_xor_b32 s35, exec_lo, s35
	s_cbranch_execz .LBB3_26
; %bb.19:                               ;   in Loop: Header=BB3_18 Depth=3
	s_mov_b32 s37, exec_lo
                                        ; implicit-def: $sgpr36
	v_cmpx_ne_u32_e64 s14, v15
	s_xor_b32 s37, exec_lo, s37
; %bb.20:                               ;   in Loop: Header=BB3_18 Depth=3
	v_add_nc_u32_e32 v13, 1, v13
	s_mov_b32 s36, -1
                                        ; implicit-def: $vgpr14
	s_delay_alu instid0(VALU_DEP_1)
	v_and_b32_e32 v13, 0xff, v13
; %bb.21:                               ;   in Loop: Header=BB3_18 Depth=3
	s_and_not1_saveexec_b32 s37, s37
	s_cbranch_execz .LBB3_25
; %bb.22:                               ;   in Loop: Header=BB3_18 Depth=3
	v_mov_b32_e32 v15, s14
	s_mov_b32 s38, -1
	s_mov_b32 s39, exec_lo
	ds_cmpstore_rtn_b32 v15, v14, v3, v15
	s_waitcnt lgkmcnt(0)
	v_cmpx_eq_u32_e64 s14, v15
	s_cbranch_execz .LBB3_24
; %bb.23:                               ;   in Loop: Header=BB3_18 Depth=3
	ds_add_f32 v14, v12 offset:1024
	s_xor_b32 s38, exec_lo, -1
.LBB3_24:                               ;   in Loop: Header=BB3_18 Depth=3
	s_or_b32 exec_lo, exec_lo, s39
	s_delay_alu instid0(SALU_CYCLE_1) | instskip(SKIP_1) | instid1(SALU_CYCLE_1)
	s_and_not1_b32 s36, s36, exec_lo
	s_and_b32 s38, s38, exec_lo
	s_or_b32 s36, s36, s38
.LBB3_25:                               ;   in Loop: Header=BB3_18 Depth=3
	s_or_b32 exec_lo, exec_lo, s37
	s_delay_alu instid0(SALU_CYCLE_1)
	s_and_b32 s36, s36, exec_lo
                                        ; implicit-def: $vgpr14
.LBB3_26:                               ;   in Loop: Header=BB3_18 Depth=3
	s_and_not1_saveexec_b32 s35, s35
	s_cbranch_execz .LBB3_17
; %bb.27:                               ;   in Loop: Header=BB3_18 Depth=3
	ds_add_f32 v14, v12 offset:1024
	s_and_not1_b32 s36, s36, exec_lo
	s_branch .LBB3_17
.LBB3_28:
	s_or_b32 exec_lo, exec_lo, s13
.LBB3_29:
	s_delay_alu instid0(SALU_CYCLE_1)
	s_and_not1_b32 vcc_lo, exec_lo, s33
	s_cbranch_vccnz .LBB3_46
; %bb.30:
	s_waitcnt lgkmcnt(0)
	s_ashr_i32 s13, s12, 31
	v_subrev_nc_u32_e32 v1, s27, v0
	s_lshl_b64 s[16:17], s[12:13], 2
	s_delay_alu instid0(SALU_CYCLE_1)
	s_add_u32 s4, s4, s16
	s_addc_u32 s5, s5, s17
	s_load_b64 s[4:5], s[4:5], 0x0
	s_waitcnt lgkmcnt(0)
	v_add_nc_u32_e32 v1, s4, v1
	s_sub_i32 s1, s5, s27
	s_mov_b32 s4, exec_lo
	s_delay_alu instid0(VALU_DEP_1)
	v_cmpx_gt_i32_e64 s1, v1
	s_cbranch_execz .LBB3_45
; %bb.31:
	s_mov_b32 s5, 0
	s_branch .LBB3_33
.LBB3_32:                               ;   in Loop: Header=BB3_33 Depth=1
	s_or_b32 exec_lo, exec_lo, s13
	v_add_nc_u32_e32 v1, 0x80, v1
	s_delay_alu instid0(VALU_DEP_1) | instskip(SKIP_1) | instid1(SALU_CYCLE_1)
	v_cmp_le_i32_e32 vcc_lo, s1, v1
	s_or_b32 s5, vcc_lo, s5
	s_and_not1_b32 exec_lo, exec_lo, s5
	s_cbranch_execz .LBB3_45
.LBB3_33:                               ; =>This Loop Header: Depth=1
                                        ;     Child Loop BB3_35 Depth 2
	v_ashrrev_i32_e32 v2, 31, v1
	s_mov_b32 s13, 0
	s_delay_alu instid0(VALU_DEP_1) | instskip(NEXT) | instid1(VALU_DEP_1)
	v_lshlrev_b64 v[2:3], 2, v[1:2]
	v_add_co_u32 v9, vcc_lo, s6, v2
	s_delay_alu instid0(VALU_DEP_2)
	v_add_co_ci_u32_e32 v10, vcc_lo, s7, v3, vcc_lo
	v_add_co_u32 v2, vcc_lo, s8, v2
	v_add_co_ci_u32_e32 v3, vcc_lo, s9, v3, vcc_lo
	global_load_b32 v4, v[9:10], off
	global_load_b32 v3, v[2:3], off
	s_waitcnt vmcnt(1)
	v_subrev_nc_u32_e32 v2, s27, v4
	s_delay_alu instid0(VALU_DEP_1) | instskip(SKIP_1) | instid1(VALU_DEP_1)
	v_mul_lo_u32 v4, 0x89, v2
	s_waitcnt vmcnt(0)
	v_dual_mul_f32 v3, v7, v3 :: v_dual_and_b32 v4, 0xff, v4
	s_branch .LBB3_35
.LBB3_34:                               ;   in Loop: Header=BB3_35 Depth=2
	s_or_b32 exec_lo, exec_lo, s15
	s_xor_b32 s15, s16, -1
	s_delay_alu instid0(SALU_CYCLE_1) | instskip(NEXT) | instid1(SALU_CYCLE_1)
	s_and_b32 s15, exec_lo, s15
	s_or_b32 s13, s15, s13
	s_delay_alu instid0(SALU_CYCLE_1)
	s_and_not1_b32 exec_lo, exec_lo, s13
	s_cbranch_execz .LBB3_32
.LBB3_35:                               ;   Parent Loop BB3_33 Depth=1
                                        ; =>  This Inner Loop Header: Depth=2
	s_delay_alu instid0(VALU_DEP_1)
	v_lshl_add_u32 v9, v4, 2, 0
	s_mov_b32 s15, exec_lo
                                        ; implicit-def: $sgpr16
	ds_load_b32 v10, v9
	s_waitcnt lgkmcnt(0)
	v_cmpx_ne_u32_e64 v10, v2
	s_xor_b32 s15, exec_lo, s15
	s_cbranch_execz .LBB3_43
; %bb.36:                               ;   in Loop: Header=BB3_35 Depth=2
	s_mov_b32 s17, exec_lo
                                        ; implicit-def: $sgpr16
	v_cmpx_ne_u32_e64 s14, v10
	s_xor_b32 s17, exec_lo, s17
; %bb.37:                               ;   in Loop: Header=BB3_35 Depth=2
	v_add_nc_u32_e32 v4, 1, v4
	s_mov_b32 s16, -1
                                        ; implicit-def: $vgpr9
	s_delay_alu instid0(VALU_DEP_1)
	v_and_b32_e32 v4, 0xff, v4
; %bb.38:                               ;   in Loop: Header=BB3_35 Depth=2
	s_and_not1_saveexec_b32 s17, s17
	s_cbranch_execz .LBB3_42
; %bb.39:                               ;   in Loop: Header=BB3_35 Depth=2
	v_mov_b32_e32 v10, s14
	s_mov_b32 s18, -1
	s_mov_b32 s19, exec_lo
	ds_cmpstore_rtn_b32 v10, v9, v2, v10
	s_waitcnt lgkmcnt(0)
	v_cmpx_eq_u32_e64 s14, v10
	s_cbranch_execz .LBB3_41
; %bb.40:                               ;   in Loop: Header=BB3_35 Depth=2
	ds_add_f32 v9, v3 offset:1024
	s_xor_b32 s18, exec_lo, -1
.LBB3_41:                               ;   in Loop: Header=BB3_35 Depth=2
	s_or_b32 exec_lo, exec_lo, s19
	s_delay_alu instid0(SALU_CYCLE_1) | instskip(SKIP_1) | instid1(SALU_CYCLE_1)
	s_and_not1_b32 s16, s16, exec_lo
	s_and_b32 s18, s18, exec_lo
	s_or_b32 s16, s16, s18
.LBB3_42:                               ;   in Loop: Header=BB3_35 Depth=2
	s_or_b32 exec_lo, exec_lo, s17
	s_delay_alu instid0(SALU_CYCLE_1)
	s_and_b32 s16, s16, exec_lo
                                        ; implicit-def: $vgpr9
.LBB3_43:                               ;   in Loop: Header=BB3_35 Depth=2
	s_and_not1_saveexec_b32 s15, s15
	s_cbranch_execz .LBB3_34
; %bb.44:                               ;   in Loop: Header=BB3_35 Depth=2
	ds_add_f32 v9, v3 offset:1024
	s_and_not1_b32 s16, s16, exec_lo
	s_branch .LBB3_34
.LBB3_45:
	s_or_b32 exec_lo, exec_lo, s4
.LBB3_46:
	s_waitcnt lgkmcnt(0)
	s_barrier
	buffer_gl0_inv
	s_and_saveexec_b32 s4, s0
	s_cbranch_execz .LBB3_55
; %bb.47:
	v_mbcnt_lo_u32_b32 v1, -1, 0
	v_dual_mov_b32 v7, 0 :: v_dual_and_b32 v2, 4, v8
	v_cmp_lt_u32_e32 vcc_lo, 63, v0
	v_cmp_eq_u32_e64 s0, 0x7f, v0
	s_delay_alu instid0(VALU_DEP_4) | instskip(NEXT) | instid1(VALU_DEP_4)
	v_xor_b32_e32 v1, 63, v1
	v_add_nc_u32_e32 v4, 0, v2
	v_mov_b32_e32 v8, 0
	s_mov_b32 s5, 0
	s_delay_alu instid0(VALU_DEP_3)
	v_lshrrev_b64 v[1:2], v1, -1
	s_branch .LBB3_49
.LBB3_48:                               ;   in Loop: Header=BB3_49 Depth=1
	s_or_b32 exec_lo, exec_lo, s1
	s_waitcnt lgkmcnt(0)
	s_barrier
	buffer_gl0_inv
	ds_load_b32 v2, v7 offset:2052
	v_add_co_u32 v5, s1, 0x80, v5
	s_delay_alu instid0(VALU_DEP_1) | instskip(SKIP_2) | instid1(SALU_CYCLE_1)
	s_xor_b32 s1, s1, -1
	v_add_nc_u32_e32 v6, 0x200, v6
	s_and_b32 s1, exec_lo, s1
	s_or_b32 s5, s1, s5
	s_waitcnt lgkmcnt(0)
	v_add_nc_u32_e32 v8, v2, v8
	s_and_not1_b32 exec_lo, exec_lo, s5
	s_cbranch_execz .LBB3_55
.LBB3_49:                               ; =>This Inner Loop Header: Depth=1
	ds_load_2addr_stride64_b32 v[2:3], v6 offset1:4
	s_waitcnt lgkmcnt(0)
	s_barrier
	buffer_gl0_inv
	v_cmp_gt_i32_e64 s1, s14, v2
	s_delay_alu instid0(VALU_DEP_1) | instskip(NEXT) | instid1(SALU_CYCLE_1)
	s_bcnt1_i32_b32 s6, s1
	v_dual_mov_b32 v10, s6 :: v_dual_and_b32 v9, s1, v1
	s_delay_alu instid0(VALU_DEP_1)
	v_bcnt_u32_b32 v9, v9, 0
	ds_store_b32 v4, v10 offset:2048
	s_waitcnt lgkmcnt(0)
	s_barrier
	buffer_gl0_inv
	s_and_saveexec_b32 s6, vcc_lo
	s_cbranch_execnz .LBB3_52
; %bb.50:                               ;   in Loop: Header=BB3_49 Depth=1
	s_or_b32 exec_lo, exec_lo, s6
	s_and_saveexec_b32 s6, s1
	s_cbranch_execnz .LBB3_53
.LBB3_51:                               ;   in Loop: Header=BB3_49 Depth=1
	s_or_b32 exec_lo, exec_lo, s6
	s_and_saveexec_b32 s1, s0
	s_cbranch_execz .LBB3_48
	s_branch .LBB3_54
.LBB3_52:                               ;   in Loop: Header=BB3_49 Depth=1
	ds_load_b32 v10, v7 offset:2048
	s_waitcnt lgkmcnt(0)
	v_add_nc_u32_e32 v9, v10, v9
	s_or_b32 exec_lo, exec_lo, s6
	s_and_saveexec_b32 s6, s1
	s_cbranch_execz .LBB3_51
.LBB3_53:                               ;   in Loop: Header=BB3_49 Depth=1
	s_delay_alu instid0(VALU_DEP_1) | instskip(NEXT) | instid1(VALU_DEP_1)
	v_add3_u32 v10, v8, -1, v9
	v_lshl_add_u32 v10, v10, 2, 0
	ds_store_2addr_stride64_b32 v10, v2, v3 offset1:4
	s_or_b32 exec_lo, exec_lo, s6
	s_and_saveexec_b32 s1, s0
	s_cbranch_execz .LBB3_48
.LBB3_54:                               ;   in Loop: Header=BB3_49 Depth=1
	ds_store_b32 v7, v9 offset:2052
	s_branch .LBB3_48
.LBB3_55:
	s_or_b32 exec_lo, exec_lo, s4
	s_ashr_i32 s13, s12, 31
	s_mov_b32 s5, exec_lo
	s_lshl_b64 s[0:1], s[12:13], 2
	s_delay_alu instid0(SALU_CYCLE_1) | instskip(SKIP_4) | instid1(SALU_CYCLE_1)
	s_add_u32 s0, s10, s0
	s_addc_u32 s1, s11, s1
	s_load_b64 s[0:1], s[0:1], 0x0
	s_waitcnt lgkmcnt(0)
	s_sub_i32 s4, s1, s0
	v_cmpx_gt_i32_e64 s4, v0
	s_cbranch_execz .LBB3_65
; %bb.56:
	s_sub_i32 s5, s0, s26
	s_sub_i32 s0, s0, s1
	s_and_b32 s1, s4, 7
	s_cmp_lt_u32 s0, -7
	s_mov_b32 s9, 0
	s_cselect_b32 s6, -1, 0
	s_and_b32 s7, s4, -8
	s_cmp_lg_u32 s1, 0
	s_cselect_b32 s8, -1, 0
	s_branch .LBB3_58
.LBB3_57:                               ;   in Loop: Header=BB3_58 Depth=1
	s_delay_alu instid0(VALU_DEP_1) | instskip(SKIP_1) | instid1(VALU_DEP_2)
	v_ashrrev_i32_e32 v4, 31, v3
	v_add_nc_u32_e32 v0, 0x80, v0
	v_lshlrev_b64 v[3:4], 2, v[3:4]
	s_delay_alu instid0(VALU_DEP_2) | instskip(SKIP_1) | instid1(VALU_DEP_2)
	v_cmp_le_i32_e32 vcc_lo, s4, v0
	s_or_b32 s9, vcc_lo, s9
	v_add_co_u32 v3, s0, s2, v3
	s_delay_alu instid0(VALU_DEP_1)
	v_add_co_ci_u32_e64 v4, s0, s3, v4, s0
	s_waitcnt lgkmcnt(0)
	global_store_b32 v[3:4], v2, off
	s_and_not1_b32 exec_lo, exec_lo, s9
	s_cbranch_execz .LBB3_65
.LBB3_58:                               ; =>This Loop Header: Depth=1
                                        ;     Child Loop BB3_60 Depth 2
                                        ;     Child Loop BB3_64 Depth 2
	v_lshl_add_u32 v1, v0, 2, 0
	v_mov_b32_e32 v3, s5
	s_and_not1_b32 vcc_lo, exec_lo, s6
	s_mov_b32 s0, 0
	ds_load_2addr_stride64_b32 v[1:2], v1 offset1:4
	s_cbranch_vccnz .LBB3_62
; %bb.59:                               ;   in Loop: Header=BB3_58 Depth=1
	v_mov_b32_e32 v3, s5
	s_mov_b32 s10, 0
	s_set_inst_prefetch_distance 0x1
	.p2align	6
.LBB3_60:                               ;   Parent Loop BB3_58 Depth=1
                                        ; =>  This Inner Loop Header: Depth=2
	v_mov_b32_e32 v10, s10
	s_add_i32 s0, s0, 8
	s_add_i32 s10, s10, 32
	s_cmp_eq_u32 s7, s0
	ds_load_2addr_b32 v[4:5], v10 offset1:1
	ds_load_2addr_b32 v[6:7], v10 offset0:2 offset1:3
	ds_load_2addr_b32 v[8:9], v10 offset0:4 offset1:5
	;; [unrolled: 1-line block ×3, first 2 shown]
	s_waitcnt lgkmcnt(3)
	v_cmp_gt_i32_e32 vcc_lo, v1, v4
	v_cndmask_b32_e64 v4, 0, 1, vcc_lo
	s_waitcnt lgkmcnt(2)
	v_cmp_gt_i32_e32 vcc_lo, v1, v6
	v_cndmask_b32_e64 v6, 0, 1, vcc_lo
	v_cmp_gt_i32_e32 vcc_lo, v1, v5
	v_add_co_ci_u32_e32 v3, vcc_lo, v3, v4, vcc_lo
	s_waitcnt lgkmcnt(1)
	v_cmp_gt_i32_e32 vcc_lo, v1, v8
	v_cndmask_b32_e64 v4, 0, 1, vcc_lo
	v_cmp_gt_i32_e32 vcc_lo, v1, v7
	v_add_co_ci_u32_e32 v3, vcc_lo, v3, v6, vcc_lo
	;; [unrolled: 5-line block ×3, first 2 shown]
	v_cmp_gt_i32_e32 vcc_lo, v1, v11
	s_delay_alu instid0(VALU_DEP_2)
	v_add_co_ci_u32_e32 v3, vcc_lo, v3, v5, vcc_lo
	s_cbranch_scc0 .LBB3_60
; %bb.61:                               ;   in Loop: Header=BB3_58 Depth=1
	s_set_inst_prefetch_distance 0x2
	s_mov_b32 s0, s7
.LBB3_62:                               ;   in Loop: Header=BB3_58 Depth=1
	s_and_not1_b32 vcc_lo, exec_lo, s8
	s_cbranch_vccnz .LBB3_57
; %bb.63:                               ;   in Loop: Header=BB3_58 Depth=1
	s_lshl_b32 s0, s0, 2
	s_mov_b32 s10, s1
	s_add_i32 s0, s0, 0
.LBB3_64:                               ;   Parent Loop BB3_58 Depth=1
                                        ; =>  This Inner Loop Header: Depth=2
	s_delay_alu instid0(SALU_CYCLE_1)
	v_mov_b32_e32 v4, s0
	s_add_i32 s10, s10, -1
	s_add_i32 s0, s0, 4
	s_cmp_lg_u32 s10, 0
	ds_load_b32 v4, v4
	s_waitcnt lgkmcnt(0)
	v_cmp_gt_i32_e32 vcc_lo, v1, v4
	v_add_co_ci_u32_e32 v3, vcc_lo, 0, v3, vcc_lo
	s_cbranch_scc1 .LBB3_64
	s_branch .LBB3_57
.LBB3_65:
	s_nop 0
	s_sendmsg sendmsg(MSG_DEALLOC_VGPRS)
	s_endpgm
	.section	.rodata,"a",@progbits
	.p2align	6, 0x0
	.amdhsa_kernel _ZN9rocsparseL41csrgemm_numeric_fill_block_per_row_kernelILj128ELj16ELj256ELj137ELj64EiifEEvT5_PKS1_S3_NS_24const_host_device_scalarIT6_EEPKT4_S3_PKS5_S9_S3_SB_S6_S9_S3_SB_S9_S3_PS5_21rocsparse_index_base_SD_SD_SD_bbb
		.amdhsa_group_segment_fixed_size 0
		.amdhsa_private_segment_fixed_size 0
		.amdhsa_kernarg_size 156
		.amdhsa_user_sgpr_count 15
		.amdhsa_user_sgpr_dispatch_ptr 0
		.amdhsa_user_sgpr_queue_ptr 0
		.amdhsa_user_sgpr_kernarg_segment_ptr 1
		.amdhsa_user_sgpr_dispatch_id 0
		.amdhsa_user_sgpr_private_segment_size 0
		.amdhsa_wavefront_size32 1
		.amdhsa_uses_dynamic_stack 0
		.amdhsa_enable_private_segment 0
		.amdhsa_system_sgpr_workgroup_id_x 1
		.amdhsa_system_sgpr_workgroup_id_y 0
		.amdhsa_system_sgpr_workgroup_id_z 0
		.amdhsa_system_sgpr_workgroup_info 0
		.amdhsa_system_vgpr_workitem_id 0
		.amdhsa_next_free_vgpr 16
		.amdhsa_next_free_sgpr 40
		.amdhsa_reserve_vcc 1
		.amdhsa_float_round_mode_32 0
		.amdhsa_float_round_mode_16_64 0
		.amdhsa_float_denorm_mode_32 3
		.amdhsa_float_denorm_mode_16_64 3
		.amdhsa_dx10_clamp 1
		.amdhsa_ieee_mode 1
		.amdhsa_fp16_overflow 0
		.amdhsa_workgroup_processor_mode 1
		.amdhsa_memory_ordered 1
		.amdhsa_forward_progress 0
		.amdhsa_shared_vgpr_count 0
		.amdhsa_exception_fp_ieee_invalid_op 0
		.amdhsa_exception_fp_denorm_src 0
		.amdhsa_exception_fp_ieee_div_zero 0
		.amdhsa_exception_fp_ieee_overflow 0
		.amdhsa_exception_fp_ieee_underflow 0
		.amdhsa_exception_fp_ieee_inexact 0
		.amdhsa_exception_int_div_zero 0
	.end_amdhsa_kernel
	.section	.text._ZN9rocsparseL41csrgemm_numeric_fill_block_per_row_kernelILj128ELj16ELj256ELj137ELj64EiifEEvT5_PKS1_S3_NS_24const_host_device_scalarIT6_EEPKT4_S3_PKS5_S9_S3_SB_S6_S9_S3_SB_S9_S3_PS5_21rocsparse_index_base_SD_SD_SD_bbb,"axG",@progbits,_ZN9rocsparseL41csrgemm_numeric_fill_block_per_row_kernelILj128ELj16ELj256ELj137ELj64EiifEEvT5_PKS1_S3_NS_24const_host_device_scalarIT6_EEPKT4_S3_PKS5_S9_S3_SB_S6_S9_S3_SB_S9_S3_PS5_21rocsparse_index_base_SD_SD_SD_bbb,comdat
.Lfunc_end3:
	.size	_ZN9rocsparseL41csrgemm_numeric_fill_block_per_row_kernelILj128ELj16ELj256ELj137ELj64EiifEEvT5_PKS1_S3_NS_24const_host_device_scalarIT6_EEPKT4_S3_PKS5_S9_S3_SB_S6_S9_S3_SB_S9_S3_PS5_21rocsparse_index_base_SD_SD_SD_bbb, .Lfunc_end3-_ZN9rocsparseL41csrgemm_numeric_fill_block_per_row_kernelILj128ELj16ELj256ELj137ELj64EiifEEvT5_PKS1_S3_NS_24const_host_device_scalarIT6_EEPKT4_S3_PKS5_S9_S3_SB_S6_S9_S3_SB_S9_S3_PS5_21rocsparse_index_base_SD_SD_SD_bbb
                                        ; -- End function
	.section	.AMDGPU.csdata,"",@progbits
; Kernel info:
; codeLenInByte = 2332
; NumSgprs: 42
; NumVgprs: 16
; ScratchSize: 0
; MemoryBound: 0
; FloatMode: 240
; IeeeMode: 1
; LDSByteSize: 0 bytes/workgroup (compile time only)
; SGPRBlocks: 5
; VGPRBlocks: 1
; NumSGPRsForWavesPerEU: 42
; NumVGPRsForWavesPerEU: 16
; Occupancy: 16
; WaveLimiterHint : 1
; COMPUTE_PGM_RSRC2:SCRATCH_EN: 0
; COMPUTE_PGM_RSRC2:USER_SGPR: 15
; COMPUTE_PGM_RSRC2:TRAP_HANDLER: 0
; COMPUTE_PGM_RSRC2:TGID_X_EN: 1
; COMPUTE_PGM_RSRC2:TGID_Y_EN: 0
; COMPUTE_PGM_RSRC2:TGID_Z_EN: 0
; COMPUTE_PGM_RSRC2:TIDIG_COMP_CNT: 0
	.section	.text._ZN9rocsparseL41csrgemm_numeric_fill_block_per_row_kernelILj256ELj32ELj512ELj137ELj32EiifEEvT5_PKS1_S3_NS_24const_host_device_scalarIT6_EEPKT4_S3_PKS5_S9_S3_SB_S6_S9_S3_SB_S9_S3_PS5_21rocsparse_index_base_SD_SD_SD_bbb,"axG",@progbits,_ZN9rocsparseL41csrgemm_numeric_fill_block_per_row_kernelILj256ELj32ELj512ELj137ELj32EiifEEvT5_PKS1_S3_NS_24const_host_device_scalarIT6_EEPKT4_S3_PKS5_S9_S3_SB_S6_S9_S3_SB_S9_S3_PS5_21rocsparse_index_base_SD_SD_SD_bbb,comdat
	.globl	_ZN9rocsparseL41csrgemm_numeric_fill_block_per_row_kernelILj256ELj32ELj512ELj137ELj32EiifEEvT5_PKS1_S3_NS_24const_host_device_scalarIT6_EEPKT4_S3_PKS5_S9_S3_SB_S6_S9_S3_SB_S9_S3_PS5_21rocsparse_index_base_SD_SD_SD_bbb ; -- Begin function _ZN9rocsparseL41csrgemm_numeric_fill_block_per_row_kernelILj256ELj32ELj512ELj137ELj32EiifEEvT5_PKS1_S3_NS_24const_host_device_scalarIT6_EEPKT4_S3_PKS5_S9_S3_SB_S6_S9_S3_SB_S9_S3_PS5_21rocsparse_index_base_SD_SD_SD_bbb
	.p2align	8
	.type	_ZN9rocsparseL41csrgemm_numeric_fill_block_per_row_kernelILj256ELj32ELj512ELj137ELj32EiifEEvT5_PKS1_S3_NS_24const_host_device_scalarIT6_EEPKT4_S3_PKS5_S9_S3_SB_S6_S9_S3_SB_S9_S3_PS5_21rocsparse_index_base_SD_SD_SD_bbb,@function
_ZN9rocsparseL41csrgemm_numeric_fill_block_per_row_kernelILj256ELj32ELj512ELj137ELj32EiifEEvT5_PKS1_S3_NS_24const_host_device_scalarIT6_EEPKT4_S3_PKS5_S9_S3_SB_S6_S9_S3_SB_S9_S3_PS5_21rocsparse_index_base_SD_SD_SD_bbb: ; @_ZN9rocsparseL41csrgemm_numeric_fill_block_per_row_kernelILj256ELj32ELj512ELj137ELj32EiifEEvT5_PKS1_S3_NS_24const_host_device_scalarIT6_EEPKT4_S3_PKS5_S9_S3_SB_S6_S9_S3_SB_S9_S3_PS5_21rocsparse_index_base_SD_SD_SD_bbb
; %bb.0:
	s_clause 0x2
	s_load_b32 s6, s[0:1], 0x98
	s_load_b64 s[4:5], s[0:1], 0x18
	s_load_b64 s[2:3], s[0:1], 0x50
	s_waitcnt lgkmcnt(0)
	s_bitcmp1_b32 s6, 0
	s_cselect_b32 s35, -1, 0
	s_bitcmp1_b32 s6, 16
	s_cselect_b32 s7, -1, 0
	s_xor_b32 s8, s35, -1
	s_delay_alu instid0(SALU_CYCLE_1) | instskip(NEXT) | instid1(SALU_CYCLE_1)
	s_or_b32 s8, s8, s7
	s_and_b32 vcc_lo, exec_lo, s8
	s_cbranch_vccnz .LBB4_2
; %bb.1:
	s_load_b32 s4, s[4:5], 0x0
	s_waitcnt lgkmcnt(0)
	v_mov_b32_e32 v9, s4
	s_branch .LBB4_3
.LBB4_2:
	v_cndmask_b32_e64 v9, 0, s4, s35
.LBB4_3:
	s_load_b128 s[24:27], s[0:1], 0x88
	s_bitcmp1_b32 s6, 8
	s_cselect_b32 s34, -1, 0
	s_delay_alu instid0(SALU_CYCLE_1) | instskip(NEXT) | instid1(SALU_CYCLE_1)
	s_xor_b32 s4, s34, -1
	s_or_b32 s4, s4, s7
	s_delay_alu instid0(SALU_CYCLE_1)
	s_and_b32 vcc_lo, exec_lo, s4
	s_cbranch_vccnz .LBB4_5
; %bb.4:
	s_load_b32 s2, s[2:3], 0x0
	s_waitcnt lgkmcnt(0)
	v_mov_b32_e32 v7, s2
	s_branch .LBB4_6
.LBB4_5:
	v_cndmask_b32_e64 v7, 0, s2, s34
.LBB4_6:
	s_clause 0x5
	s_load_b64 s[12:13], s[0:1], 0x80
	s_load_b256 s[4:11], s[0:1], 0x58
	s_load_b128 s[28:31], s[0:1], 0x40
	s_load_b256 s[16:23], s[0:1], 0x20
	s_load_b128 s[36:39], s[0:1], 0x8
	s_load_b32 s33, s[0:1], 0x0
	v_cmp_gt_u32_e64 s0, 0x200, v0
	v_or_b32_e32 v5, 0xffffff00, v0
	v_lshl_add_u32 v6, v0, 2, 0
	s_delay_alu instid0(VALU_DEP_3)
	s_and_saveexec_b32 s1, s0
	s_cbranch_execz .LBB4_9
; %bb.7:
	v_or_b32_e32 v1, 0xffffff00, v0
	v_lshl_add_u32 v2, v0, 2, 0
	s_waitcnt lgkmcnt(0)
	v_dual_mov_b32 v3, s33 :: v_dual_mov_b32 v4, 0
	s_mov_b32 s2, 0
.LBB4_8:                                ; =>This Inner Loop Header: Depth=1
	v_add_co_u32 v1, s3, 0x100, v1
	s_delay_alu instid0(VALU_DEP_1) | instskip(SKIP_3) | instid1(SALU_CYCLE_1)
	s_xor_b32 s3, s3, -1
	ds_store_2addr_stride64_b32 v2, v3, v4 offset1:8
	v_add_nc_u32_e32 v2, 0x400, v2
	s_and_b32 s3, exec_lo, s3
	s_or_b32 s2, s3, s2
	s_delay_alu instid0(SALU_CYCLE_1)
	s_and_not1_b32 exec_lo, exec_lo, s2
	s_cbranch_execnz .LBB4_8
.LBB4_9:
	s_or_b32 exec_lo, exec_lo, s1
	s_waitcnt lgkmcnt(0)
	s_barrier
	buffer_gl0_inv
	s_load_b32 s1, s[36:37], 0x0
	s_mov_b32 s3, 0
	v_lshrrev_b32_e32 v8, 5, v0
	s_waitcnt lgkmcnt(0)
	s_add_i32 s2, s1, s15
	s_delay_alu instid0(SALU_CYCLE_1) | instskip(NEXT) | instid1(SALU_CYCLE_1)
	s_lshl_b64 s[2:3], s[2:3], 2
	s_add_u32 s2, s38, s2
	s_addc_u32 s3, s39, s3
	s_and_b32 vcc_lo, exec_lo, s35
	s_load_b32 s14, s[2:3], 0x0
	s_cbranch_vccz .LBB4_29
; %bb.10:
	s_waitcnt lgkmcnt(0)
	s_ashr_i32 s15, s14, 31
	v_subrev_nc_u32_e32 v1, s24, v8
	s_lshl_b64 s[2:3], s[14:15], 2
	s_delay_alu instid0(SALU_CYCLE_1)
	s_add_u32 s2, s16, s2
	s_addc_u32 s3, s17, s3
	s_load_b64 s[2:3], s[2:3], 0x0
	s_waitcnt lgkmcnt(0)
	v_add_nc_u32_e32 v1, s2, v1
	s_sub_i32 s1, s3, s24
	s_mov_b32 s2, exec_lo
	s_delay_alu instid0(VALU_DEP_1)
	v_cmpx_gt_i32_e64 s1, v1
	s_cbranch_execz .LBB4_28
; %bb.11:
	v_and_b32_e32 v2, 31, v0
	s_mov_b32 s3, 0
	s_delay_alu instid0(VALU_DEP_1)
	v_subrev_nc_u32_e32 v10, s25, v2
	s_branch .LBB4_13
.LBB4_12:                               ;   in Loop: Header=BB4_13 Depth=1
	s_or_b32 exec_lo, exec_lo, s15
	v_add_nc_u32_e32 v1, 8, v1
	s_delay_alu instid0(VALU_DEP_1) | instskip(SKIP_1) | instid1(SALU_CYCLE_1)
	v_cmp_le_i32_e32 vcc_lo, s1, v1
	s_or_b32 s3, vcc_lo, s3
	s_and_not1_b32 exec_lo, exec_lo, s3
	s_cbranch_execz .LBB4_28
.LBB4_13:                               ; =>This Loop Header: Depth=1
                                        ;     Child Loop BB4_16 Depth 2
                                        ;       Child Loop BB4_18 Depth 3
	v_ashrrev_i32_e32 v2, 31, v1
	s_mov_b32 s15, exec_lo
	s_delay_alu instid0(VALU_DEP_1) | instskip(NEXT) | instid1(VALU_DEP_1)
	v_lshlrev_b64 v[3:4], 2, v[1:2]
	v_add_co_u32 v11, vcc_lo, s18, v3
	s_delay_alu instid0(VALU_DEP_2) | instskip(SKIP_3) | instid1(VALU_DEP_1)
	v_add_co_ci_u32_e32 v12, vcc_lo, s19, v4, vcc_lo
	global_load_b32 v2, v[11:12], off
	s_waitcnt vmcnt(0)
	v_subrev_nc_u32_e32 v11, s24, v2
	v_ashrrev_i32_e32 v12, 31, v11
	s_delay_alu instid0(VALU_DEP_1) | instskip(NEXT) | instid1(VALU_DEP_1)
	v_lshlrev_b64 v[11:12], 2, v[11:12]
	v_add_co_u32 v11, vcc_lo, s22, v11
	s_delay_alu instid0(VALU_DEP_2) | instskip(SKIP_4) | instid1(VALU_DEP_1)
	v_add_co_ci_u32_e32 v12, vcc_lo, s23, v12, vcc_lo
	global_load_b64 v[12:13], v[11:12], off
	s_waitcnt vmcnt(0)
	v_subrev_nc_u32_e32 v11, s25, v13
	v_add_nc_u32_e32 v2, v12, v10
	v_cmpx_lt_i32_e64 v2, v11
	s_cbranch_execz .LBB4_12
; %bb.14:                               ;   in Loop: Header=BB4_13 Depth=1
	v_add_co_u32 v3, vcc_lo, s20, v3
	v_add_co_ci_u32_e32 v4, vcc_lo, s21, v4, vcc_lo
	s_mov_b32 s16, 0
	global_load_b32 v3, v[3:4], off
	s_waitcnt vmcnt(0)
	v_mul_f32_e32 v4, v9, v3
	s_branch .LBB4_16
.LBB4_15:                               ;   in Loop: Header=BB4_16 Depth=2
	s_or_b32 exec_lo, exec_lo, s17
	v_add_nc_u32_e32 v2, 32, v2
	s_delay_alu instid0(VALU_DEP_1) | instskip(SKIP_1) | instid1(SALU_CYCLE_1)
	v_cmp_ge_i32_e32 vcc_lo, v2, v11
	s_or_b32 s16, vcc_lo, s16
	s_and_not1_b32 exec_lo, exec_lo, s16
	s_cbranch_execz .LBB4_12
.LBB4_16:                               ;   Parent Loop BB4_13 Depth=1
                                        ; =>  This Loop Header: Depth=2
                                        ;       Child Loop BB4_18 Depth 3
	v_ashrrev_i32_e32 v3, 31, v2
	s_mov_b32 s17, 0
	s_delay_alu instid0(VALU_DEP_1) | instskip(NEXT) | instid1(VALU_DEP_1)
	v_lshlrev_b64 v[12:13], 2, v[2:3]
	v_add_co_u32 v14, vcc_lo, s28, v12
	s_delay_alu instid0(VALU_DEP_2)
	v_add_co_ci_u32_e32 v15, vcc_lo, s29, v13, vcc_lo
	v_add_co_u32 v12, vcc_lo, s30, v12
	v_add_co_ci_u32_e32 v13, vcc_lo, s31, v13, vcc_lo
	global_load_b32 v3, v[14:15], off
	global_load_b32 v12, v[12:13], off
	s_waitcnt vmcnt(1)
	v_subrev_nc_u32_e32 v3, s25, v3
	s_delay_alu instid0(VALU_DEP_1) | instskip(SKIP_1) | instid1(VALU_DEP_1)
	v_mul_lo_u32 v13, 0x89, v3
	s_waitcnt vmcnt(0)
	v_dual_mul_f32 v12, v4, v12 :: v_dual_and_b32 v13, 0x1ff, v13
	s_branch .LBB4_18
.LBB4_17:                               ;   in Loop: Header=BB4_18 Depth=3
	s_or_b32 exec_lo, exec_lo, s35
	s_xor_b32 s35, s36, -1
	s_delay_alu instid0(SALU_CYCLE_1) | instskip(NEXT) | instid1(SALU_CYCLE_1)
	s_and_b32 s35, exec_lo, s35
	s_or_b32 s17, s35, s17
	s_delay_alu instid0(SALU_CYCLE_1)
	s_and_not1_b32 exec_lo, exec_lo, s17
	s_cbranch_execz .LBB4_15
.LBB4_18:                               ;   Parent Loop BB4_13 Depth=1
                                        ;     Parent Loop BB4_16 Depth=2
                                        ; =>    This Inner Loop Header: Depth=3
	s_delay_alu instid0(VALU_DEP_1)
	v_lshl_add_u32 v14, v13, 2, 0
	s_mov_b32 s35, exec_lo
                                        ; implicit-def: $sgpr36
	ds_load_b32 v15, v14
	s_waitcnt lgkmcnt(0)
	v_cmpx_ne_u32_e64 v15, v3
	s_xor_b32 s35, exec_lo, s35
	s_cbranch_execz .LBB4_26
; %bb.19:                               ;   in Loop: Header=BB4_18 Depth=3
	s_mov_b32 s37, exec_lo
                                        ; implicit-def: $sgpr36
	v_cmpx_ne_u32_e64 s33, v15
	s_xor_b32 s37, exec_lo, s37
; %bb.20:                               ;   in Loop: Header=BB4_18 Depth=3
	v_add_nc_u32_e32 v13, 1, v13
	s_mov_b32 s36, -1
                                        ; implicit-def: $vgpr14
	s_delay_alu instid0(VALU_DEP_1)
	v_and_b32_e32 v13, 0x1ff, v13
; %bb.21:                               ;   in Loop: Header=BB4_18 Depth=3
	s_and_not1_saveexec_b32 s37, s37
	s_cbranch_execz .LBB4_25
; %bb.22:                               ;   in Loop: Header=BB4_18 Depth=3
	v_mov_b32_e32 v15, s33
	s_mov_b32 s38, -1
	s_mov_b32 s39, exec_lo
	ds_cmpstore_rtn_b32 v15, v14, v3, v15
	s_waitcnt lgkmcnt(0)
	v_cmpx_eq_u32_e64 s33, v15
	s_cbranch_execz .LBB4_24
; %bb.23:                               ;   in Loop: Header=BB4_18 Depth=3
	ds_add_f32 v14, v12 offset:2048
	s_xor_b32 s38, exec_lo, -1
.LBB4_24:                               ;   in Loop: Header=BB4_18 Depth=3
	s_or_b32 exec_lo, exec_lo, s39
	s_delay_alu instid0(SALU_CYCLE_1) | instskip(SKIP_1) | instid1(SALU_CYCLE_1)
	s_and_not1_b32 s36, s36, exec_lo
	s_and_b32 s38, s38, exec_lo
	s_or_b32 s36, s36, s38
.LBB4_25:                               ;   in Loop: Header=BB4_18 Depth=3
	s_or_b32 exec_lo, exec_lo, s37
	s_delay_alu instid0(SALU_CYCLE_1)
	s_and_b32 s36, s36, exec_lo
                                        ; implicit-def: $vgpr14
.LBB4_26:                               ;   in Loop: Header=BB4_18 Depth=3
	s_and_not1_saveexec_b32 s35, s35
	s_cbranch_execz .LBB4_17
; %bb.27:                               ;   in Loop: Header=BB4_18 Depth=3
	ds_add_f32 v14, v12 offset:2048
	s_and_not1_b32 s36, s36, exec_lo
	s_branch .LBB4_17
.LBB4_28:
	s_or_b32 exec_lo, exec_lo, s2
.LBB4_29:
	s_delay_alu instid0(SALU_CYCLE_1)
	s_and_not1_b32 vcc_lo, exec_lo, s34
	s_cbranch_vccnz .LBB4_46
; %bb.30:
	s_waitcnt lgkmcnt(0)
	s_ashr_i32 s15, s14, 31
	v_subrev_nc_u32_e32 v1, s27, v0
	s_lshl_b64 s[2:3], s[14:15], 2
	s_delay_alu instid0(SALU_CYCLE_1)
	s_add_u32 s2, s4, s2
	s_addc_u32 s3, s5, s3
	s_load_b64 s[2:3], s[2:3], 0x0
	s_waitcnt lgkmcnt(0)
	v_add_nc_u32_e32 v1, s2, v1
	s_sub_i32 s1, s3, s27
	s_mov_b32 s2, exec_lo
	s_delay_alu instid0(VALU_DEP_1)
	v_cmpx_gt_i32_e64 s1, v1
	s_cbranch_execz .LBB4_45
; %bb.31:
	s_mov_b32 s3, 0
	s_branch .LBB4_33
.LBB4_32:                               ;   in Loop: Header=BB4_33 Depth=1
	s_or_b32 exec_lo, exec_lo, s4
	v_add_nc_u32_e32 v1, 0x100, v1
	s_delay_alu instid0(VALU_DEP_1) | instskip(SKIP_1) | instid1(SALU_CYCLE_1)
	v_cmp_le_i32_e32 vcc_lo, s1, v1
	s_or_b32 s3, vcc_lo, s3
	s_and_not1_b32 exec_lo, exec_lo, s3
	s_cbranch_execz .LBB4_45
.LBB4_33:                               ; =>This Loop Header: Depth=1
                                        ;     Child Loop BB4_35 Depth 2
	v_ashrrev_i32_e32 v2, 31, v1
	s_mov_b32 s4, 0
	s_delay_alu instid0(VALU_DEP_1) | instskip(NEXT) | instid1(VALU_DEP_1)
	v_lshlrev_b64 v[2:3], 2, v[1:2]
	v_add_co_u32 v9, vcc_lo, s6, v2
	s_delay_alu instid0(VALU_DEP_2)
	v_add_co_ci_u32_e32 v10, vcc_lo, s7, v3, vcc_lo
	v_add_co_u32 v2, vcc_lo, s8, v2
	v_add_co_ci_u32_e32 v3, vcc_lo, s9, v3, vcc_lo
	global_load_b32 v4, v[9:10], off
	global_load_b32 v3, v[2:3], off
	s_waitcnt vmcnt(1)
	v_subrev_nc_u32_e32 v2, s27, v4
	s_delay_alu instid0(VALU_DEP_1) | instskip(SKIP_1) | instid1(VALU_DEP_1)
	v_mul_lo_u32 v4, 0x89, v2
	s_waitcnt vmcnt(0)
	v_dual_mul_f32 v3, v7, v3 :: v_dual_and_b32 v4, 0x1ff, v4
	s_branch .LBB4_35
.LBB4_34:                               ;   in Loop: Header=BB4_35 Depth=2
	s_or_b32 exec_lo, exec_lo, s5
	s_xor_b32 s5, s15, -1
	s_delay_alu instid0(SALU_CYCLE_1) | instskip(NEXT) | instid1(SALU_CYCLE_1)
	s_and_b32 s5, exec_lo, s5
	s_or_b32 s4, s5, s4
	s_delay_alu instid0(SALU_CYCLE_1)
	s_and_not1_b32 exec_lo, exec_lo, s4
	s_cbranch_execz .LBB4_32
.LBB4_35:                               ;   Parent Loop BB4_33 Depth=1
                                        ; =>  This Inner Loop Header: Depth=2
	s_delay_alu instid0(VALU_DEP_1)
	v_lshl_add_u32 v9, v4, 2, 0
	s_mov_b32 s5, exec_lo
                                        ; implicit-def: $sgpr15
	ds_load_b32 v10, v9
	s_waitcnt lgkmcnt(0)
	v_cmpx_ne_u32_e64 v10, v2
	s_xor_b32 s5, exec_lo, s5
	s_cbranch_execz .LBB4_43
; %bb.36:                               ;   in Loop: Header=BB4_35 Depth=2
	s_mov_b32 s16, exec_lo
                                        ; implicit-def: $sgpr15
	v_cmpx_ne_u32_e64 s33, v10
	s_xor_b32 s16, exec_lo, s16
; %bb.37:                               ;   in Loop: Header=BB4_35 Depth=2
	v_add_nc_u32_e32 v4, 1, v4
	s_mov_b32 s15, -1
                                        ; implicit-def: $vgpr9
	s_delay_alu instid0(VALU_DEP_1)
	v_and_b32_e32 v4, 0x1ff, v4
; %bb.38:                               ;   in Loop: Header=BB4_35 Depth=2
	s_and_not1_saveexec_b32 s16, s16
	s_cbranch_execz .LBB4_42
; %bb.39:                               ;   in Loop: Header=BB4_35 Depth=2
	v_mov_b32_e32 v10, s33
	s_mov_b32 s17, -1
	s_mov_b32 s18, exec_lo
	ds_cmpstore_rtn_b32 v10, v9, v2, v10
	s_waitcnt lgkmcnt(0)
	v_cmpx_eq_u32_e64 s33, v10
	s_cbranch_execz .LBB4_41
; %bb.40:                               ;   in Loop: Header=BB4_35 Depth=2
	ds_add_f32 v9, v3 offset:2048
	s_xor_b32 s17, exec_lo, -1
.LBB4_41:                               ;   in Loop: Header=BB4_35 Depth=2
	s_or_b32 exec_lo, exec_lo, s18
	s_delay_alu instid0(SALU_CYCLE_1) | instskip(SKIP_1) | instid1(SALU_CYCLE_1)
	s_and_not1_b32 s15, s15, exec_lo
	s_and_b32 s17, s17, exec_lo
	s_or_b32 s15, s15, s17
.LBB4_42:                               ;   in Loop: Header=BB4_35 Depth=2
	s_or_b32 exec_lo, exec_lo, s16
	s_delay_alu instid0(SALU_CYCLE_1)
	s_and_b32 s15, s15, exec_lo
                                        ; implicit-def: $vgpr9
.LBB4_43:                               ;   in Loop: Header=BB4_35 Depth=2
	s_and_not1_saveexec_b32 s5, s5
	s_cbranch_execz .LBB4_34
; %bb.44:                               ;   in Loop: Header=BB4_35 Depth=2
	ds_add_f32 v9, v3 offset:2048
	s_and_not1_b32 s15, s15, exec_lo
	s_branch .LBB4_34
.LBB4_45:
	s_or_b32 exec_lo, exec_lo, s2
.LBB4_46:
	s_waitcnt lgkmcnt(0)
	s_barrier
	buffer_gl0_inv
	s_and_saveexec_b32 s8, s0
	s_cbranch_execz .LBB4_67
; %bb.47:
	v_mbcnt_lo_u32_b32 v1, -1, 0
	v_lshl_add_u32 v4, v8, 2, 0
	v_cmp_eq_u32_e32 vcc_lo, 0xff, v0
	v_cmp_lt_u32_e64 s0, 31, v0
	v_cmp_lt_u32_e64 s1, 63, v0
	v_xor_b32_e32 v1, 63, v1
	v_cmp_lt_u32_e64 s2, 0x5f, v0
	v_cmp_lt_u32_e64 s3, 0x7f, v0
	;; [unrolled: 1-line block ×4, first 2 shown]
	v_lshrrev_b64 v[1:2], v1, -1
	v_cmp_lt_u32_e64 s6, 0xdf, v0
	v_dual_mov_b32 v7, 0 :: v_dual_mov_b32 v8, 0
	s_mov_b32 s9, 0
	s_branch .LBB4_49
.LBB4_48:                               ;   in Loop: Header=BB4_49 Depth=1
	s_or_b32 exec_lo, exec_lo, s7
	s_waitcnt lgkmcnt(0)
	s_barrier
	buffer_gl0_inv
	ds_load_b32 v2, v7 offset:4124
	v_add_co_u32 v5, s7, 0x100, v5
	s_delay_alu instid0(VALU_DEP_1) | instskip(SKIP_2) | instid1(SALU_CYCLE_1)
	s_xor_b32 s7, s7, -1
	v_add_nc_u32_e32 v6, 0x400, v6
	s_and_b32 s7, exec_lo, s7
	s_or_b32 s9, s7, s9
	s_waitcnt lgkmcnt(0)
	v_add_nc_u32_e32 v8, v2, v8
	s_and_not1_b32 exec_lo, exec_lo, s9
	s_cbranch_execz .LBB4_67
.LBB4_49:                               ; =>This Inner Loop Header: Depth=1
	ds_load_2addr_stride64_b32 v[2:3], v6 offset1:8
	s_waitcnt lgkmcnt(0)
	s_barrier
	buffer_gl0_inv
	v_cmp_gt_i32_e64 s7, s33, v2
	s_delay_alu instid0(VALU_DEP_1) | instskip(NEXT) | instid1(SALU_CYCLE_1)
	s_bcnt1_i32_b32 s15, s7
	v_dual_mov_b32 v10, s15 :: v_dual_and_b32 v9, s7, v1
	s_delay_alu instid0(VALU_DEP_1)
	v_bcnt_u32_b32 v9, v9, 0
	ds_store_b32 v4, v10 offset:4096
	s_waitcnt lgkmcnt(0)
	s_barrier
	buffer_gl0_inv
	s_and_saveexec_b32 s15, s0
	s_cbranch_execnz .LBB4_58
; %bb.50:                               ;   in Loop: Header=BB4_49 Depth=1
	s_or_b32 exec_lo, exec_lo, s15
	s_and_saveexec_b32 s15, s1
	s_cbranch_execnz .LBB4_59
.LBB4_51:                               ;   in Loop: Header=BB4_49 Depth=1
	s_or_b32 exec_lo, exec_lo, s15
	s_and_saveexec_b32 s15, s2
	s_cbranch_execnz .LBB4_60
.LBB4_52:                               ;   in Loop: Header=BB4_49 Depth=1
	s_or_b32 exec_lo, exec_lo, s15
	s_and_saveexec_b32 s15, s3
	s_cbranch_execnz .LBB4_61
.LBB4_53:                               ;   in Loop: Header=BB4_49 Depth=1
	s_or_b32 exec_lo, exec_lo, s15
	s_and_saveexec_b32 s15, s4
	s_cbranch_execnz .LBB4_62
.LBB4_54:                               ;   in Loop: Header=BB4_49 Depth=1
	s_or_b32 exec_lo, exec_lo, s15
	s_and_saveexec_b32 s15, s5
	s_cbranch_execnz .LBB4_63
.LBB4_55:                               ;   in Loop: Header=BB4_49 Depth=1
	s_or_b32 exec_lo, exec_lo, s15
	s_and_saveexec_b32 s15, s6
	s_cbranch_execnz .LBB4_64
.LBB4_56:                               ;   in Loop: Header=BB4_49 Depth=1
	s_or_b32 exec_lo, exec_lo, s15
	s_and_saveexec_b32 s15, s7
	s_cbranch_execnz .LBB4_65
.LBB4_57:                               ;   in Loop: Header=BB4_49 Depth=1
	s_or_b32 exec_lo, exec_lo, s15
	s_and_saveexec_b32 s7, vcc_lo
	s_cbranch_execz .LBB4_48
	s_branch .LBB4_66
.LBB4_58:                               ;   in Loop: Header=BB4_49 Depth=1
	ds_load_b32 v10, v7 offset:4096
	s_waitcnt lgkmcnt(0)
	v_add_nc_u32_e32 v9, v10, v9
	s_or_b32 exec_lo, exec_lo, s15
	s_and_saveexec_b32 s15, s1
	s_cbranch_execz .LBB4_51
.LBB4_59:                               ;   in Loop: Header=BB4_49 Depth=1
	ds_load_b32 v10, v7 offset:4100
	s_waitcnt lgkmcnt(0)
	v_add_nc_u32_e32 v9, v10, v9
	s_or_b32 exec_lo, exec_lo, s15
	s_and_saveexec_b32 s15, s2
	s_cbranch_execz .LBB4_52
.LBB4_60:                               ;   in Loop: Header=BB4_49 Depth=1
	ds_load_b32 v10, v7 offset:4104
	s_waitcnt lgkmcnt(0)
	v_add_nc_u32_e32 v9, v10, v9
	s_or_b32 exec_lo, exec_lo, s15
	s_and_saveexec_b32 s15, s3
	s_cbranch_execz .LBB4_53
.LBB4_61:                               ;   in Loop: Header=BB4_49 Depth=1
	ds_load_b32 v10, v7 offset:4108
	s_waitcnt lgkmcnt(0)
	v_add_nc_u32_e32 v9, v10, v9
	s_or_b32 exec_lo, exec_lo, s15
	s_and_saveexec_b32 s15, s4
	s_cbranch_execz .LBB4_54
.LBB4_62:                               ;   in Loop: Header=BB4_49 Depth=1
	ds_load_b32 v10, v7 offset:4112
	s_waitcnt lgkmcnt(0)
	v_add_nc_u32_e32 v9, v10, v9
	s_or_b32 exec_lo, exec_lo, s15
	s_and_saveexec_b32 s15, s5
	s_cbranch_execz .LBB4_55
.LBB4_63:                               ;   in Loop: Header=BB4_49 Depth=1
	ds_load_b32 v10, v7 offset:4116
	s_waitcnt lgkmcnt(0)
	v_add_nc_u32_e32 v9, v10, v9
	s_or_b32 exec_lo, exec_lo, s15
	s_and_saveexec_b32 s15, s6
	s_cbranch_execz .LBB4_56
.LBB4_64:                               ;   in Loop: Header=BB4_49 Depth=1
	ds_load_b32 v10, v7 offset:4120
	s_waitcnt lgkmcnt(0)
	v_add_nc_u32_e32 v9, v10, v9
	s_or_b32 exec_lo, exec_lo, s15
	s_and_saveexec_b32 s15, s7
	s_cbranch_execz .LBB4_57
.LBB4_65:                               ;   in Loop: Header=BB4_49 Depth=1
	s_delay_alu instid0(VALU_DEP_1) | instskip(NEXT) | instid1(VALU_DEP_1)
	v_add3_u32 v10, v8, -1, v9
	v_lshl_add_u32 v10, v10, 2, 0
	ds_store_2addr_stride64_b32 v10, v2, v3 offset1:8
	s_or_b32 exec_lo, exec_lo, s15
	s_and_saveexec_b32 s7, vcc_lo
	s_cbranch_execz .LBB4_48
.LBB4_66:                               ;   in Loop: Header=BB4_49 Depth=1
	ds_store_b32 v7, v9 offset:4124
	s_branch .LBB4_48
.LBB4_67:
	s_or_b32 exec_lo, exec_lo, s8
	s_ashr_i32 s15, s14, 31
	s_mov_b32 s3, exec_lo
	s_lshl_b64 s[0:1], s[14:15], 2
	s_delay_alu instid0(SALU_CYCLE_1) | instskip(SKIP_4) | instid1(SALU_CYCLE_1)
	s_add_u32 s0, s10, s0
	s_addc_u32 s1, s11, s1
	s_load_b64 s[0:1], s[0:1], 0x0
	s_waitcnt lgkmcnt(0)
	s_sub_i32 s2, s1, s0
	v_cmpx_gt_i32_e64 s2, v0
	s_cbranch_execz .LBB4_77
; %bb.68:
	s_sub_i32 s3, s0, s26
	s_sub_i32 s0, s0, s1
	s_and_b32 s1, s2, 7
	s_cmp_lt_u32 s0, -7
	s_mov_b32 s7, 0
	s_cselect_b32 s4, -1, 0
	s_and_b32 s5, s2, -8
	s_cmp_lg_u32 s1, 0
	s_cselect_b32 s6, -1, 0
	s_branch .LBB4_70
.LBB4_69:                               ;   in Loop: Header=BB4_70 Depth=1
	s_delay_alu instid0(VALU_DEP_1) | instskip(SKIP_1) | instid1(VALU_DEP_2)
	v_ashrrev_i32_e32 v4, 31, v3
	v_add_nc_u32_e32 v0, 0x100, v0
	v_lshlrev_b64 v[3:4], 2, v[3:4]
	s_delay_alu instid0(VALU_DEP_2) | instskip(SKIP_1) | instid1(VALU_DEP_2)
	v_cmp_le_i32_e32 vcc_lo, s2, v0
	s_or_b32 s7, vcc_lo, s7
	v_add_co_u32 v3, s0, s12, v3
	s_delay_alu instid0(VALU_DEP_1)
	v_add_co_ci_u32_e64 v4, s0, s13, v4, s0
	s_waitcnt lgkmcnt(0)
	global_store_b32 v[3:4], v2, off
	s_and_not1_b32 exec_lo, exec_lo, s7
	s_cbranch_execz .LBB4_77
.LBB4_70:                               ; =>This Loop Header: Depth=1
                                        ;     Child Loop BB4_72 Depth 2
                                        ;     Child Loop BB4_76 Depth 2
	v_lshl_add_u32 v1, v0, 2, 0
	v_mov_b32_e32 v3, s3
	s_and_not1_b32 vcc_lo, exec_lo, s4
	s_mov_b32 s0, 0
	ds_load_2addr_stride64_b32 v[1:2], v1 offset1:8
	s_cbranch_vccnz .LBB4_74
; %bb.71:                               ;   in Loop: Header=BB4_70 Depth=1
	v_mov_b32_e32 v3, s3
	s_mov_b32 s8, 0
	s_set_inst_prefetch_distance 0x1
	.p2align	6
.LBB4_72:                               ;   Parent Loop BB4_70 Depth=1
                                        ; =>  This Inner Loop Header: Depth=2
	v_mov_b32_e32 v10, s8
	s_add_i32 s0, s0, 8
	s_add_i32 s8, s8, 32
	s_cmp_eq_u32 s5, s0
	ds_load_2addr_b32 v[4:5], v10 offset1:1
	ds_load_2addr_b32 v[6:7], v10 offset0:2 offset1:3
	ds_load_2addr_b32 v[8:9], v10 offset0:4 offset1:5
	;; [unrolled: 1-line block ×3, first 2 shown]
	s_waitcnt lgkmcnt(3)
	v_cmp_gt_i32_e32 vcc_lo, v1, v4
	v_cndmask_b32_e64 v4, 0, 1, vcc_lo
	s_waitcnt lgkmcnt(2)
	v_cmp_gt_i32_e32 vcc_lo, v1, v6
	v_cndmask_b32_e64 v6, 0, 1, vcc_lo
	v_cmp_gt_i32_e32 vcc_lo, v1, v5
	v_add_co_ci_u32_e32 v3, vcc_lo, v3, v4, vcc_lo
	s_waitcnt lgkmcnt(1)
	v_cmp_gt_i32_e32 vcc_lo, v1, v8
	v_cndmask_b32_e64 v4, 0, 1, vcc_lo
	v_cmp_gt_i32_e32 vcc_lo, v1, v7
	v_add_co_ci_u32_e32 v3, vcc_lo, v3, v6, vcc_lo
	;; [unrolled: 5-line block ×3, first 2 shown]
	v_cmp_gt_i32_e32 vcc_lo, v1, v11
	s_delay_alu instid0(VALU_DEP_2)
	v_add_co_ci_u32_e32 v3, vcc_lo, v3, v5, vcc_lo
	s_cbranch_scc0 .LBB4_72
; %bb.73:                               ;   in Loop: Header=BB4_70 Depth=1
	s_set_inst_prefetch_distance 0x2
	s_mov_b32 s0, s5
.LBB4_74:                               ;   in Loop: Header=BB4_70 Depth=1
	s_and_not1_b32 vcc_lo, exec_lo, s6
	s_cbranch_vccnz .LBB4_69
; %bb.75:                               ;   in Loop: Header=BB4_70 Depth=1
	s_lshl_b32 s0, s0, 2
	s_mov_b32 s8, s1
	s_add_i32 s0, s0, 0
.LBB4_76:                               ;   Parent Loop BB4_70 Depth=1
                                        ; =>  This Inner Loop Header: Depth=2
	s_delay_alu instid0(SALU_CYCLE_1)
	v_mov_b32_e32 v4, s0
	s_add_i32 s8, s8, -1
	s_add_i32 s0, s0, 4
	s_cmp_lg_u32 s8, 0
	ds_load_b32 v4, v4
	s_waitcnt lgkmcnt(0)
	v_cmp_gt_i32_e32 vcc_lo, v1, v4
	v_add_co_ci_u32_e32 v3, vcc_lo, 0, v3, vcc_lo
	s_cbranch_scc1 .LBB4_76
	s_branch .LBB4_69
.LBB4_77:
	s_nop 0
	s_sendmsg sendmsg(MSG_DEALLOC_VGPRS)
	s_endpgm
	.section	.rodata,"a",@progbits
	.p2align	6, 0x0
	.amdhsa_kernel _ZN9rocsparseL41csrgemm_numeric_fill_block_per_row_kernelILj256ELj32ELj512ELj137ELj32EiifEEvT5_PKS1_S3_NS_24const_host_device_scalarIT6_EEPKT4_S3_PKS5_S9_S3_SB_S6_S9_S3_SB_S9_S3_PS5_21rocsparse_index_base_SD_SD_SD_bbb
		.amdhsa_group_segment_fixed_size 0
		.amdhsa_private_segment_fixed_size 0
		.amdhsa_kernarg_size 156
		.amdhsa_user_sgpr_count 15
		.amdhsa_user_sgpr_dispatch_ptr 0
		.amdhsa_user_sgpr_queue_ptr 0
		.amdhsa_user_sgpr_kernarg_segment_ptr 1
		.amdhsa_user_sgpr_dispatch_id 0
		.amdhsa_user_sgpr_private_segment_size 0
		.amdhsa_wavefront_size32 1
		.amdhsa_uses_dynamic_stack 0
		.amdhsa_enable_private_segment 0
		.amdhsa_system_sgpr_workgroup_id_x 1
		.amdhsa_system_sgpr_workgroup_id_y 0
		.amdhsa_system_sgpr_workgroup_id_z 0
		.amdhsa_system_sgpr_workgroup_info 0
		.amdhsa_system_vgpr_workitem_id 0
		.amdhsa_next_free_vgpr 16
		.amdhsa_next_free_sgpr 40
		.amdhsa_reserve_vcc 1
		.amdhsa_float_round_mode_32 0
		.amdhsa_float_round_mode_16_64 0
		.amdhsa_float_denorm_mode_32 3
		.amdhsa_float_denorm_mode_16_64 3
		.amdhsa_dx10_clamp 1
		.amdhsa_ieee_mode 1
		.amdhsa_fp16_overflow 0
		.amdhsa_workgroup_processor_mode 1
		.amdhsa_memory_ordered 1
		.amdhsa_forward_progress 0
		.amdhsa_shared_vgpr_count 0
		.amdhsa_exception_fp_ieee_invalid_op 0
		.amdhsa_exception_fp_denorm_src 0
		.amdhsa_exception_fp_ieee_div_zero 0
		.amdhsa_exception_fp_ieee_overflow 0
		.amdhsa_exception_fp_ieee_underflow 0
		.amdhsa_exception_fp_ieee_inexact 0
		.amdhsa_exception_int_div_zero 0
	.end_amdhsa_kernel
	.section	.text._ZN9rocsparseL41csrgemm_numeric_fill_block_per_row_kernelILj256ELj32ELj512ELj137ELj32EiifEEvT5_PKS1_S3_NS_24const_host_device_scalarIT6_EEPKT4_S3_PKS5_S9_S3_SB_S6_S9_S3_SB_S9_S3_PS5_21rocsparse_index_base_SD_SD_SD_bbb,"axG",@progbits,_ZN9rocsparseL41csrgemm_numeric_fill_block_per_row_kernelILj256ELj32ELj512ELj137ELj32EiifEEvT5_PKS1_S3_NS_24const_host_device_scalarIT6_EEPKT4_S3_PKS5_S9_S3_SB_S6_S9_S3_SB_S9_S3_PS5_21rocsparse_index_base_SD_SD_SD_bbb,comdat
.Lfunc_end4:
	.size	_ZN9rocsparseL41csrgemm_numeric_fill_block_per_row_kernelILj256ELj32ELj512ELj137ELj32EiifEEvT5_PKS1_S3_NS_24const_host_device_scalarIT6_EEPKT4_S3_PKS5_S9_S3_SB_S6_S9_S3_SB_S9_S3_PS5_21rocsparse_index_base_SD_SD_SD_bbb, .Lfunc_end4-_ZN9rocsparseL41csrgemm_numeric_fill_block_per_row_kernelILj256ELj32ELj512ELj137ELj32EiifEEvT5_PKS1_S3_NS_24const_host_device_scalarIT6_EEPKT4_S3_PKS5_S9_S3_SB_S6_S9_S3_SB_S9_S3_PS5_21rocsparse_index_base_SD_SD_SD_bbb
                                        ; -- End function
	.section	.AMDGPU.csdata,"",@progbits
; Kernel info:
; codeLenInByte = 2636
; NumSgprs: 42
; NumVgprs: 16
; ScratchSize: 0
; MemoryBound: 0
; FloatMode: 240
; IeeeMode: 1
; LDSByteSize: 0 bytes/workgroup (compile time only)
; SGPRBlocks: 5
; VGPRBlocks: 1
; NumSGPRsForWavesPerEU: 42
; NumVGPRsForWavesPerEU: 16
; Occupancy: 16
; WaveLimiterHint : 1
; COMPUTE_PGM_RSRC2:SCRATCH_EN: 0
; COMPUTE_PGM_RSRC2:USER_SGPR: 15
; COMPUTE_PGM_RSRC2:TRAP_HANDLER: 0
; COMPUTE_PGM_RSRC2:TGID_X_EN: 1
; COMPUTE_PGM_RSRC2:TGID_Y_EN: 0
; COMPUTE_PGM_RSRC2:TGID_Z_EN: 0
; COMPUTE_PGM_RSRC2:TIDIG_COMP_CNT: 0
	.section	.text._ZN9rocsparseL41csrgemm_numeric_fill_block_per_row_kernelILj256ELj32ELj512ELj137ELj64EiifEEvT5_PKS1_S3_NS_24const_host_device_scalarIT6_EEPKT4_S3_PKS5_S9_S3_SB_S6_S9_S3_SB_S9_S3_PS5_21rocsparse_index_base_SD_SD_SD_bbb,"axG",@progbits,_ZN9rocsparseL41csrgemm_numeric_fill_block_per_row_kernelILj256ELj32ELj512ELj137ELj64EiifEEvT5_PKS1_S3_NS_24const_host_device_scalarIT6_EEPKT4_S3_PKS5_S9_S3_SB_S6_S9_S3_SB_S9_S3_PS5_21rocsparse_index_base_SD_SD_SD_bbb,comdat
	.globl	_ZN9rocsparseL41csrgemm_numeric_fill_block_per_row_kernelILj256ELj32ELj512ELj137ELj64EiifEEvT5_PKS1_S3_NS_24const_host_device_scalarIT6_EEPKT4_S3_PKS5_S9_S3_SB_S6_S9_S3_SB_S9_S3_PS5_21rocsparse_index_base_SD_SD_SD_bbb ; -- Begin function _ZN9rocsparseL41csrgemm_numeric_fill_block_per_row_kernelILj256ELj32ELj512ELj137ELj64EiifEEvT5_PKS1_S3_NS_24const_host_device_scalarIT6_EEPKT4_S3_PKS5_S9_S3_SB_S6_S9_S3_SB_S9_S3_PS5_21rocsparse_index_base_SD_SD_SD_bbb
	.p2align	8
	.type	_ZN9rocsparseL41csrgemm_numeric_fill_block_per_row_kernelILj256ELj32ELj512ELj137ELj64EiifEEvT5_PKS1_S3_NS_24const_host_device_scalarIT6_EEPKT4_S3_PKS5_S9_S3_SB_S6_S9_S3_SB_S9_S3_PS5_21rocsparse_index_base_SD_SD_SD_bbb,@function
_ZN9rocsparseL41csrgemm_numeric_fill_block_per_row_kernelILj256ELj32ELj512ELj137ELj64EiifEEvT5_PKS1_S3_NS_24const_host_device_scalarIT6_EEPKT4_S3_PKS5_S9_S3_SB_S6_S9_S3_SB_S9_S3_PS5_21rocsparse_index_base_SD_SD_SD_bbb: ; @_ZN9rocsparseL41csrgemm_numeric_fill_block_per_row_kernelILj256ELj32ELj512ELj137ELj64EiifEEvT5_PKS1_S3_NS_24const_host_device_scalarIT6_EEPKT4_S3_PKS5_S9_S3_SB_S6_S9_S3_SB_S9_S3_PS5_21rocsparse_index_base_SD_SD_SD_bbb
; %bb.0:
	s_clause 0x2
	s_load_b32 s6, s[0:1], 0x98
	s_load_b64 s[4:5], s[0:1], 0x18
	s_load_b64 s[2:3], s[0:1], 0x50
	s_waitcnt lgkmcnt(0)
	s_bitcmp1_b32 s6, 0
	s_cselect_b32 s35, -1, 0
	s_bitcmp1_b32 s6, 16
	s_cselect_b32 s7, -1, 0
	s_xor_b32 s8, s35, -1
	s_delay_alu instid0(SALU_CYCLE_1) | instskip(NEXT) | instid1(SALU_CYCLE_1)
	s_or_b32 s8, s8, s7
	s_and_b32 vcc_lo, exec_lo, s8
	s_cbranch_vccnz .LBB5_2
; %bb.1:
	s_load_b32 s4, s[4:5], 0x0
	s_waitcnt lgkmcnt(0)
	v_mov_b32_e32 v8, s4
	s_branch .LBB5_3
.LBB5_2:
	v_cndmask_b32_e64 v8, 0, s4, s35
.LBB5_3:
	s_load_b128 s[24:27], s[0:1], 0x88
	s_bitcmp1_b32 s6, 8
	s_cselect_b32 s34, -1, 0
	s_delay_alu instid0(SALU_CYCLE_1) | instskip(NEXT) | instid1(SALU_CYCLE_1)
	s_xor_b32 s4, s34, -1
	s_or_b32 s4, s4, s7
	s_delay_alu instid0(SALU_CYCLE_1)
	s_and_b32 vcc_lo, exec_lo, s4
	s_cbranch_vccnz .LBB5_5
; %bb.4:
	s_load_b32 s2, s[2:3], 0x0
	s_waitcnt lgkmcnt(0)
	v_mov_b32_e32 v7, s2
	s_branch .LBB5_6
.LBB5_5:
	v_cndmask_b32_e64 v7, 0, s2, s34
.LBB5_6:
	s_clause 0x5
	s_load_b64 s[12:13], s[0:1], 0x80
	s_load_b256 s[4:11], s[0:1], 0x58
	s_load_b128 s[28:31], s[0:1], 0x40
	s_load_b256 s[16:23], s[0:1], 0x20
	s_load_b128 s[36:39], s[0:1], 0x8
	s_load_b32 s33, s[0:1], 0x0
	v_cmp_gt_u32_e64 s0, 0x200, v0
	v_or_b32_e32 v5, 0xffffff00, v0
	v_lshl_add_u32 v6, v0, 2, 0
	s_delay_alu instid0(VALU_DEP_3)
	s_and_saveexec_b32 s1, s0
	s_cbranch_execz .LBB5_9
; %bb.7:
	v_or_b32_e32 v1, 0xffffff00, v0
	v_lshl_add_u32 v2, v0, 2, 0
	s_waitcnt lgkmcnt(0)
	v_dual_mov_b32 v3, s33 :: v_dual_mov_b32 v4, 0
	s_mov_b32 s2, 0
.LBB5_8:                                ; =>This Inner Loop Header: Depth=1
	v_add_co_u32 v1, s3, 0x100, v1
	s_delay_alu instid0(VALU_DEP_1) | instskip(SKIP_3) | instid1(SALU_CYCLE_1)
	s_xor_b32 s3, s3, -1
	ds_store_2addr_stride64_b32 v2, v3, v4 offset1:8
	v_add_nc_u32_e32 v2, 0x400, v2
	s_and_b32 s3, exec_lo, s3
	s_or_b32 s2, s3, s2
	s_delay_alu instid0(SALU_CYCLE_1)
	s_and_not1_b32 exec_lo, exec_lo, s2
	s_cbranch_execnz .LBB5_8
.LBB5_9:
	s_or_b32 exec_lo, exec_lo, s1
	s_waitcnt lgkmcnt(0)
	s_barrier
	buffer_gl0_inv
	s_load_b32 s1, s[36:37], 0x0
	s_mov_b32 s3, 0
	s_waitcnt lgkmcnt(0)
	s_add_i32 s2, s1, s15
	s_delay_alu instid0(SALU_CYCLE_1) | instskip(NEXT) | instid1(SALU_CYCLE_1)
	s_lshl_b64 s[2:3], s[2:3], 2
	s_add_u32 s2, s38, s2
	s_addc_u32 s3, s39, s3
	s_and_b32 vcc_lo, exec_lo, s35
	s_load_b32 s14, s[2:3], 0x0
	s_cbranch_vccz .LBB5_29
; %bb.10:
	s_waitcnt lgkmcnt(0)
	s_ashr_i32 s15, s14, 31
	v_lshrrev_b32_e32 v1, 5, v0
	s_lshl_b64 s[2:3], s[14:15], 2
	s_delay_alu instid0(SALU_CYCLE_1) | instskip(SKIP_1) | instid1(VALU_DEP_1)
	s_add_u32 s2, s16, s2
	s_addc_u32 s3, s17, s3
	v_subrev_nc_u32_e32 v1, s24, v1
	s_load_b64 s[2:3], s[2:3], 0x0
	s_waitcnt lgkmcnt(0)
	s_delay_alu instid0(VALU_DEP_1) | instskip(SKIP_2) | instid1(VALU_DEP_1)
	v_add_nc_u32_e32 v1, s2, v1
	s_sub_i32 s1, s3, s24
	s_mov_b32 s2, exec_lo
	v_cmpx_gt_i32_e64 s1, v1
	s_cbranch_execz .LBB5_28
; %bb.11:
	v_and_b32_e32 v2, 31, v0
	s_mov_b32 s3, 0
	s_delay_alu instid0(VALU_DEP_1)
	v_subrev_nc_u32_e32 v9, s25, v2
	s_branch .LBB5_13
.LBB5_12:                               ;   in Loop: Header=BB5_13 Depth=1
	s_or_b32 exec_lo, exec_lo, s15
	v_add_nc_u32_e32 v1, 8, v1
	s_delay_alu instid0(VALU_DEP_1) | instskip(SKIP_1) | instid1(SALU_CYCLE_1)
	v_cmp_le_i32_e32 vcc_lo, s1, v1
	s_or_b32 s3, vcc_lo, s3
	s_and_not1_b32 exec_lo, exec_lo, s3
	s_cbranch_execz .LBB5_28
.LBB5_13:                               ; =>This Loop Header: Depth=1
                                        ;     Child Loop BB5_16 Depth 2
                                        ;       Child Loop BB5_18 Depth 3
	v_ashrrev_i32_e32 v2, 31, v1
	s_mov_b32 s15, exec_lo
	s_delay_alu instid0(VALU_DEP_1) | instskip(NEXT) | instid1(VALU_DEP_1)
	v_lshlrev_b64 v[3:4], 2, v[1:2]
	v_add_co_u32 v10, vcc_lo, s18, v3
	s_delay_alu instid0(VALU_DEP_2) | instskip(SKIP_3) | instid1(VALU_DEP_1)
	v_add_co_ci_u32_e32 v11, vcc_lo, s19, v4, vcc_lo
	global_load_b32 v2, v[10:11], off
	s_waitcnt vmcnt(0)
	v_subrev_nc_u32_e32 v10, s24, v2
	v_ashrrev_i32_e32 v11, 31, v10
	s_delay_alu instid0(VALU_DEP_1) | instskip(NEXT) | instid1(VALU_DEP_1)
	v_lshlrev_b64 v[10:11], 2, v[10:11]
	v_add_co_u32 v10, vcc_lo, s22, v10
	s_delay_alu instid0(VALU_DEP_2) | instskip(SKIP_4) | instid1(VALU_DEP_1)
	v_add_co_ci_u32_e32 v11, vcc_lo, s23, v11, vcc_lo
	global_load_b64 v[11:12], v[10:11], off
	s_waitcnt vmcnt(0)
	v_subrev_nc_u32_e32 v10, s25, v12
	v_add_nc_u32_e32 v2, v11, v9
	v_cmpx_lt_i32_e64 v2, v10
	s_cbranch_execz .LBB5_12
; %bb.14:                               ;   in Loop: Header=BB5_13 Depth=1
	v_add_co_u32 v3, vcc_lo, s20, v3
	v_add_co_ci_u32_e32 v4, vcc_lo, s21, v4, vcc_lo
	s_mov_b32 s16, 0
	global_load_b32 v3, v[3:4], off
	s_waitcnt vmcnt(0)
	v_mul_f32_e32 v4, v8, v3
	s_branch .LBB5_16
.LBB5_15:                               ;   in Loop: Header=BB5_16 Depth=2
	s_or_b32 exec_lo, exec_lo, s17
	v_add_nc_u32_e32 v2, 32, v2
	s_delay_alu instid0(VALU_DEP_1) | instskip(SKIP_1) | instid1(SALU_CYCLE_1)
	v_cmp_ge_i32_e32 vcc_lo, v2, v10
	s_or_b32 s16, vcc_lo, s16
	s_and_not1_b32 exec_lo, exec_lo, s16
	s_cbranch_execz .LBB5_12
.LBB5_16:                               ;   Parent Loop BB5_13 Depth=1
                                        ; =>  This Loop Header: Depth=2
                                        ;       Child Loop BB5_18 Depth 3
	v_ashrrev_i32_e32 v3, 31, v2
	s_mov_b32 s17, 0
	s_delay_alu instid0(VALU_DEP_1) | instskip(NEXT) | instid1(VALU_DEP_1)
	v_lshlrev_b64 v[11:12], 2, v[2:3]
	v_add_co_u32 v13, vcc_lo, s28, v11
	s_delay_alu instid0(VALU_DEP_2)
	v_add_co_ci_u32_e32 v14, vcc_lo, s29, v12, vcc_lo
	v_add_co_u32 v11, vcc_lo, s30, v11
	v_add_co_ci_u32_e32 v12, vcc_lo, s31, v12, vcc_lo
	global_load_b32 v3, v[13:14], off
	global_load_b32 v11, v[11:12], off
	s_waitcnt vmcnt(1)
	v_subrev_nc_u32_e32 v3, s25, v3
	s_delay_alu instid0(VALU_DEP_1) | instskip(SKIP_1) | instid1(VALU_DEP_1)
	v_mul_lo_u32 v12, 0x89, v3
	s_waitcnt vmcnt(0)
	v_dual_mul_f32 v11, v4, v11 :: v_dual_and_b32 v12, 0x1ff, v12
	s_branch .LBB5_18
.LBB5_17:                               ;   in Loop: Header=BB5_18 Depth=3
	s_or_b32 exec_lo, exec_lo, s35
	s_xor_b32 s35, s36, -1
	s_delay_alu instid0(SALU_CYCLE_1) | instskip(NEXT) | instid1(SALU_CYCLE_1)
	s_and_b32 s35, exec_lo, s35
	s_or_b32 s17, s35, s17
	s_delay_alu instid0(SALU_CYCLE_1)
	s_and_not1_b32 exec_lo, exec_lo, s17
	s_cbranch_execz .LBB5_15
.LBB5_18:                               ;   Parent Loop BB5_13 Depth=1
                                        ;     Parent Loop BB5_16 Depth=2
                                        ; =>    This Inner Loop Header: Depth=3
	s_delay_alu instid0(VALU_DEP_1)
	v_lshl_add_u32 v13, v12, 2, 0
	s_mov_b32 s35, exec_lo
                                        ; implicit-def: $sgpr36
	ds_load_b32 v14, v13
	s_waitcnt lgkmcnt(0)
	v_cmpx_ne_u32_e64 v14, v3
	s_xor_b32 s35, exec_lo, s35
	s_cbranch_execz .LBB5_26
; %bb.19:                               ;   in Loop: Header=BB5_18 Depth=3
	s_mov_b32 s37, exec_lo
                                        ; implicit-def: $sgpr36
	v_cmpx_ne_u32_e64 s33, v14
	s_xor_b32 s37, exec_lo, s37
; %bb.20:                               ;   in Loop: Header=BB5_18 Depth=3
	v_add_nc_u32_e32 v12, 1, v12
	s_mov_b32 s36, -1
                                        ; implicit-def: $vgpr13
	s_delay_alu instid0(VALU_DEP_1)
	v_and_b32_e32 v12, 0x1ff, v12
; %bb.21:                               ;   in Loop: Header=BB5_18 Depth=3
	s_and_not1_saveexec_b32 s37, s37
	s_cbranch_execz .LBB5_25
; %bb.22:                               ;   in Loop: Header=BB5_18 Depth=3
	v_mov_b32_e32 v14, s33
	s_mov_b32 s38, -1
	s_mov_b32 s39, exec_lo
	ds_cmpstore_rtn_b32 v14, v13, v3, v14
	s_waitcnt lgkmcnt(0)
	v_cmpx_eq_u32_e64 s33, v14
	s_cbranch_execz .LBB5_24
; %bb.23:                               ;   in Loop: Header=BB5_18 Depth=3
	ds_add_f32 v13, v11 offset:2048
	s_xor_b32 s38, exec_lo, -1
.LBB5_24:                               ;   in Loop: Header=BB5_18 Depth=3
	s_or_b32 exec_lo, exec_lo, s39
	s_delay_alu instid0(SALU_CYCLE_1) | instskip(SKIP_1) | instid1(SALU_CYCLE_1)
	s_and_not1_b32 s36, s36, exec_lo
	s_and_b32 s38, s38, exec_lo
	s_or_b32 s36, s36, s38
.LBB5_25:                               ;   in Loop: Header=BB5_18 Depth=3
	s_or_b32 exec_lo, exec_lo, s37
	s_delay_alu instid0(SALU_CYCLE_1)
	s_and_b32 s36, s36, exec_lo
                                        ; implicit-def: $vgpr13
.LBB5_26:                               ;   in Loop: Header=BB5_18 Depth=3
	s_and_not1_saveexec_b32 s35, s35
	s_cbranch_execz .LBB5_17
; %bb.27:                               ;   in Loop: Header=BB5_18 Depth=3
	ds_add_f32 v13, v11 offset:2048
	s_and_not1_b32 s36, s36, exec_lo
	s_branch .LBB5_17
.LBB5_28:
	s_or_b32 exec_lo, exec_lo, s2
.LBB5_29:
	s_delay_alu instid0(SALU_CYCLE_1)
	s_and_not1_b32 vcc_lo, exec_lo, s34
	s_cbranch_vccnz .LBB5_46
; %bb.30:
	s_waitcnt lgkmcnt(0)
	s_ashr_i32 s15, s14, 31
	v_subrev_nc_u32_e32 v1, s27, v0
	s_lshl_b64 s[2:3], s[14:15], 2
	s_delay_alu instid0(SALU_CYCLE_1)
	s_add_u32 s2, s4, s2
	s_addc_u32 s3, s5, s3
	s_load_b64 s[2:3], s[2:3], 0x0
	s_waitcnt lgkmcnt(0)
	v_add_nc_u32_e32 v1, s2, v1
	s_sub_i32 s1, s3, s27
	s_mov_b32 s2, exec_lo
	s_delay_alu instid0(VALU_DEP_1)
	v_cmpx_gt_i32_e64 s1, v1
	s_cbranch_execz .LBB5_45
; %bb.31:
	s_mov_b32 s3, 0
	s_branch .LBB5_33
.LBB5_32:                               ;   in Loop: Header=BB5_33 Depth=1
	s_or_b32 exec_lo, exec_lo, s4
	v_add_nc_u32_e32 v1, 0x100, v1
	s_delay_alu instid0(VALU_DEP_1) | instskip(SKIP_1) | instid1(SALU_CYCLE_1)
	v_cmp_le_i32_e32 vcc_lo, s1, v1
	s_or_b32 s3, vcc_lo, s3
	s_and_not1_b32 exec_lo, exec_lo, s3
	s_cbranch_execz .LBB5_45
.LBB5_33:                               ; =>This Loop Header: Depth=1
                                        ;     Child Loop BB5_35 Depth 2
	v_ashrrev_i32_e32 v2, 31, v1
	s_mov_b32 s4, 0
	s_delay_alu instid0(VALU_DEP_1) | instskip(NEXT) | instid1(VALU_DEP_1)
	v_lshlrev_b64 v[2:3], 2, v[1:2]
	v_add_co_u32 v8, vcc_lo, s6, v2
	s_delay_alu instid0(VALU_DEP_2)
	v_add_co_ci_u32_e32 v9, vcc_lo, s7, v3, vcc_lo
	v_add_co_u32 v2, vcc_lo, s8, v2
	v_add_co_ci_u32_e32 v3, vcc_lo, s9, v3, vcc_lo
	global_load_b32 v4, v[8:9], off
	global_load_b32 v3, v[2:3], off
	s_waitcnt vmcnt(1)
	v_subrev_nc_u32_e32 v2, s27, v4
	s_delay_alu instid0(VALU_DEP_1) | instskip(SKIP_1) | instid1(VALU_DEP_1)
	v_mul_lo_u32 v4, 0x89, v2
	s_waitcnt vmcnt(0)
	v_dual_mul_f32 v3, v7, v3 :: v_dual_and_b32 v4, 0x1ff, v4
	s_branch .LBB5_35
.LBB5_34:                               ;   in Loop: Header=BB5_35 Depth=2
	s_or_b32 exec_lo, exec_lo, s5
	s_xor_b32 s5, s15, -1
	s_delay_alu instid0(SALU_CYCLE_1) | instskip(NEXT) | instid1(SALU_CYCLE_1)
	s_and_b32 s5, exec_lo, s5
	s_or_b32 s4, s5, s4
	s_delay_alu instid0(SALU_CYCLE_1)
	s_and_not1_b32 exec_lo, exec_lo, s4
	s_cbranch_execz .LBB5_32
.LBB5_35:                               ;   Parent Loop BB5_33 Depth=1
                                        ; =>  This Inner Loop Header: Depth=2
	s_delay_alu instid0(VALU_DEP_1)
	v_lshl_add_u32 v8, v4, 2, 0
	s_mov_b32 s5, exec_lo
                                        ; implicit-def: $sgpr15
	ds_load_b32 v9, v8
	s_waitcnt lgkmcnt(0)
	v_cmpx_ne_u32_e64 v9, v2
	s_xor_b32 s5, exec_lo, s5
	s_cbranch_execz .LBB5_43
; %bb.36:                               ;   in Loop: Header=BB5_35 Depth=2
	s_mov_b32 s16, exec_lo
                                        ; implicit-def: $sgpr15
	v_cmpx_ne_u32_e64 s33, v9
	s_xor_b32 s16, exec_lo, s16
; %bb.37:                               ;   in Loop: Header=BB5_35 Depth=2
	v_add_nc_u32_e32 v4, 1, v4
	s_mov_b32 s15, -1
                                        ; implicit-def: $vgpr8
	s_delay_alu instid0(VALU_DEP_1)
	v_and_b32_e32 v4, 0x1ff, v4
; %bb.38:                               ;   in Loop: Header=BB5_35 Depth=2
	s_and_not1_saveexec_b32 s16, s16
	s_cbranch_execz .LBB5_42
; %bb.39:                               ;   in Loop: Header=BB5_35 Depth=2
	v_mov_b32_e32 v9, s33
	s_mov_b32 s17, -1
	s_mov_b32 s18, exec_lo
	ds_cmpstore_rtn_b32 v9, v8, v2, v9
	s_waitcnt lgkmcnt(0)
	v_cmpx_eq_u32_e64 s33, v9
	s_cbranch_execz .LBB5_41
; %bb.40:                               ;   in Loop: Header=BB5_35 Depth=2
	ds_add_f32 v8, v3 offset:2048
	s_xor_b32 s17, exec_lo, -1
.LBB5_41:                               ;   in Loop: Header=BB5_35 Depth=2
	s_or_b32 exec_lo, exec_lo, s18
	s_delay_alu instid0(SALU_CYCLE_1) | instskip(SKIP_1) | instid1(SALU_CYCLE_1)
	s_and_not1_b32 s15, s15, exec_lo
	s_and_b32 s17, s17, exec_lo
	s_or_b32 s15, s15, s17
.LBB5_42:                               ;   in Loop: Header=BB5_35 Depth=2
	s_or_b32 exec_lo, exec_lo, s16
	s_delay_alu instid0(SALU_CYCLE_1)
	s_and_b32 s15, s15, exec_lo
                                        ; implicit-def: $vgpr8
.LBB5_43:                               ;   in Loop: Header=BB5_35 Depth=2
	s_and_not1_saveexec_b32 s5, s5
	s_cbranch_execz .LBB5_34
; %bb.44:                               ;   in Loop: Header=BB5_35 Depth=2
	ds_add_f32 v8, v3 offset:2048
	s_and_not1_b32 s15, s15, exec_lo
	s_branch .LBB5_34
.LBB5_45:
	s_or_b32 exec_lo, exec_lo, s2
.LBB5_46:
	s_waitcnt lgkmcnt(0)
	s_barrier
	buffer_gl0_inv
	s_and_saveexec_b32 s4, s0
	s_cbranch_execz .LBB5_59
; %bb.47:
	v_mbcnt_lo_u32_b32 v1, -1, 0
	v_lshrrev_b32_e32 v2, 4, v0
	v_cmp_eq_u32_e32 vcc_lo, 0xff, v0
	v_cmp_lt_u32_e64 s0, 63, v0
	v_cmp_lt_u32_e64 s1, 0x7f, v0
	v_xor_b32_e32 v1, 63, v1
	v_dual_mov_b32 v8, 0 :: v_dual_and_b32 v3, 12, v2
	v_cmp_lt_u32_e64 s2, 0xbf, v0
	s_mov_b32 s5, 0
	s_delay_alu instid0(VALU_DEP_3) | instskip(NEXT) | instid1(VALU_DEP_3)
	v_lshrrev_b64 v[1:2], v1, -1
	v_dual_mov_b32 v7, 0 :: v_dual_add_nc_u32 v4, 0, v3
	s_branch .LBB5_49
.LBB5_48:                               ;   in Loop: Header=BB5_49 Depth=1
	s_or_b32 exec_lo, exec_lo, s3
	s_waitcnt lgkmcnt(0)
	s_barrier
	buffer_gl0_inv
	ds_load_b32 v2, v7 offset:4108
	v_add_co_u32 v5, s3, 0x100, v5
	s_delay_alu instid0(VALU_DEP_1) | instskip(SKIP_2) | instid1(SALU_CYCLE_1)
	s_xor_b32 s3, s3, -1
	v_add_nc_u32_e32 v6, 0x400, v6
	s_and_b32 s3, exec_lo, s3
	s_or_b32 s5, s3, s5
	s_waitcnt lgkmcnt(0)
	v_add_nc_u32_e32 v8, v2, v8
	s_and_not1_b32 exec_lo, exec_lo, s5
	s_cbranch_execz .LBB5_59
.LBB5_49:                               ; =>This Inner Loop Header: Depth=1
	ds_load_2addr_stride64_b32 v[2:3], v6 offset1:8
	s_waitcnt lgkmcnt(0)
	s_barrier
	buffer_gl0_inv
	v_cmp_gt_i32_e64 s3, s33, v2
	s_delay_alu instid0(VALU_DEP_1) | instskip(NEXT) | instid1(SALU_CYCLE_1)
	s_bcnt1_i32_b32 s6, s3
	v_dual_mov_b32 v10, s6 :: v_dual_and_b32 v9, s3, v1
	s_delay_alu instid0(VALU_DEP_1)
	v_bcnt_u32_b32 v9, v9, 0
	ds_store_b32 v4, v10 offset:4096
	s_waitcnt lgkmcnt(0)
	s_barrier
	buffer_gl0_inv
	s_and_saveexec_b32 s6, s0
	s_cbranch_execnz .LBB5_54
; %bb.50:                               ;   in Loop: Header=BB5_49 Depth=1
	s_or_b32 exec_lo, exec_lo, s6
	s_and_saveexec_b32 s6, s1
	s_cbranch_execnz .LBB5_55
.LBB5_51:                               ;   in Loop: Header=BB5_49 Depth=1
	s_or_b32 exec_lo, exec_lo, s6
	s_and_saveexec_b32 s6, s2
	s_cbranch_execnz .LBB5_56
.LBB5_52:                               ;   in Loop: Header=BB5_49 Depth=1
	s_or_b32 exec_lo, exec_lo, s6
	s_and_saveexec_b32 s6, s3
	s_cbranch_execnz .LBB5_57
.LBB5_53:                               ;   in Loop: Header=BB5_49 Depth=1
	s_or_b32 exec_lo, exec_lo, s6
	s_and_saveexec_b32 s3, vcc_lo
	s_cbranch_execz .LBB5_48
	s_branch .LBB5_58
.LBB5_54:                               ;   in Loop: Header=BB5_49 Depth=1
	ds_load_b32 v10, v7 offset:4096
	s_waitcnt lgkmcnt(0)
	v_add_nc_u32_e32 v9, v10, v9
	s_or_b32 exec_lo, exec_lo, s6
	s_and_saveexec_b32 s6, s1
	s_cbranch_execz .LBB5_51
.LBB5_55:                               ;   in Loop: Header=BB5_49 Depth=1
	ds_load_b32 v10, v7 offset:4100
	s_waitcnt lgkmcnt(0)
	v_add_nc_u32_e32 v9, v10, v9
	s_or_b32 exec_lo, exec_lo, s6
	s_and_saveexec_b32 s6, s2
	s_cbranch_execz .LBB5_52
.LBB5_56:                               ;   in Loop: Header=BB5_49 Depth=1
	ds_load_b32 v10, v7 offset:4104
	s_waitcnt lgkmcnt(0)
	v_add_nc_u32_e32 v9, v10, v9
	s_or_b32 exec_lo, exec_lo, s6
	s_and_saveexec_b32 s6, s3
	s_cbranch_execz .LBB5_53
.LBB5_57:                               ;   in Loop: Header=BB5_49 Depth=1
	s_delay_alu instid0(VALU_DEP_1) | instskip(NEXT) | instid1(VALU_DEP_1)
	v_add3_u32 v10, v8, -1, v9
	v_lshl_add_u32 v10, v10, 2, 0
	ds_store_2addr_stride64_b32 v10, v2, v3 offset1:8
	s_or_b32 exec_lo, exec_lo, s6
	s_and_saveexec_b32 s3, vcc_lo
	s_cbranch_execz .LBB5_48
.LBB5_58:                               ;   in Loop: Header=BB5_49 Depth=1
	ds_store_b32 v7, v9 offset:4108
	s_branch .LBB5_48
.LBB5_59:
	s_or_b32 exec_lo, exec_lo, s4
	s_ashr_i32 s15, s14, 31
	s_mov_b32 s3, exec_lo
	s_lshl_b64 s[0:1], s[14:15], 2
	s_delay_alu instid0(SALU_CYCLE_1) | instskip(SKIP_4) | instid1(SALU_CYCLE_1)
	s_add_u32 s0, s10, s0
	s_addc_u32 s1, s11, s1
	s_load_b64 s[0:1], s[0:1], 0x0
	s_waitcnt lgkmcnt(0)
	s_sub_i32 s2, s1, s0
	v_cmpx_gt_i32_e64 s2, v0
	s_cbranch_execz .LBB5_69
; %bb.60:
	s_sub_i32 s3, s0, s26
	s_sub_i32 s0, s0, s1
	s_and_b32 s1, s2, 7
	s_cmp_lt_u32 s0, -7
	s_mov_b32 s7, 0
	s_cselect_b32 s4, -1, 0
	s_and_b32 s5, s2, -8
	s_cmp_lg_u32 s1, 0
	s_cselect_b32 s6, -1, 0
	s_branch .LBB5_62
.LBB5_61:                               ;   in Loop: Header=BB5_62 Depth=1
	s_delay_alu instid0(VALU_DEP_1) | instskip(SKIP_1) | instid1(VALU_DEP_2)
	v_ashrrev_i32_e32 v4, 31, v3
	v_add_nc_u32_e32 v0, 0x100, v0
	v_lshlrev_b64 v[3:4], 2, v[3:4]
	s_delay_alu instid0(VALU_DEP_2) | instskip(SKIP_1) | instid1(VALU_DEP_2)
	v_cmp_le_i32_e32 vcc_lo, s2, v0
	s_or_b32 s7, vcc_lo, s7
	v_add_co_u32 v3, s0, s12, v3
	s_delay_alu instid0(VALU_DEP_1)
	v_add_co_ci_u32_e64 v4, s0, s13, v4, s0
	s_waitcnt lgkmcnt(0)
	global_store_b32 v[3:4], v2, off
	s_and_not1_b32 exec_lo, exec_lo, s7
	s_cbranch_execz .LBB5_69
.LBB5_62:                               ; =>This Loop Header: Depth=1
                                        ;     Child Loop BB5_64 Depth 2
                                        ;     Child Loop BB5_68 Depth 2
	v_lshl_add_u32 v1, v0, 2, 0
	v_mov_b32_e32 v3, s3
	s_and_not1_b32 vcc_lo, exec_lo, s4
	s_mov_b32 s0, 0
	ds_load_2addr_stride64_b32 v[1:2], v1 offset1:8
	s_cbranch_vccnz .LBB5_66
; %bb.63:                               ;   in Loop: Header=BB5_62 Depth=1
	v_mov_b32_e32 v3, s3
	s_mov_b32 s8, 0
	s_set_inst_prefetch_distance 0x1
	.p2align	6
.LBB5_64:                               ;   Parent Loop BB5_62 Depth=1
                                        ; =>  This Inner Loop Header: Depth=2
	v_mov_b32_e32 v10, s8
	s_add_i32 s0, s0, 8
	s_add_i32 s8, s8, 32
	s_cmp_eq_u32 s5, s0
	ds_load_2addr_b32 v[4:5], v10 offset1:1
	ds_load_2addr_b32 v[6:7], v10 offset0:2 offset1:3
	ds_load_2addr_b32 v[8:9], v10 offset0:4 offset1:5
	;; [unrolled: 1-line block ×3, first 2 shown]
	s_waitcnt lgkmcnt(3)
	v_cmp_gt_i32_e32 vcc_lo, v1, v4
	v_cndmask_b32_e64 v4, 0, 1, vcc_lo
	s_waitcnt lgkmcnt(2)
	v_cmp_gt_i32_e32 vcc_lo, v1, v6
	v_cndmask_b32_e64 v6, 0, 1, vcc_lo
	v_cmp_gt_i32_e32 vcc_lo, v1, v5
	v_add_co_ci_u32_e32 v3, vcc_lo, v3, v4, vcc_lo
	s_waitcnt lgkmcnt(1)
	v_cmp_gt_i32_e32 vcc_lo, v1, v8
	v_cndmask_b32_e64 v4, 0, 1, vcc_lo
	v_cmp_gt_i32_e32 vcc_lo, v1, v7
	v_add_co_ci_u32_e32 v3, vcc_lo, v3, v6, vcc_lo
	;; [unrolled: 5-line block ×3, first 2 shown]
	v_cmp_gt_i32_e32 vcc_lo, v1, v11
	s_delay_alu instid0(VALU_DEP_2)
	v_add_co_ci_u32_e32 v3, vcc_lo, v3, v5, vcc_lo
	s_cbranch_scc0 .LBB5_64
; %bb.65:                               ;   in Loop: Header=BB5_62 Depth=1
	s_set_inst_prefetch_distance 0x2
	s_mov_b32 s0, s5
.LBB5_66:                               ;   in Loop: Header=BB5_62 Depth=1
	s_and_not1_b32 vcc_lo, exec_lo, s6
	s_cbranch_vccnz .LBB5_61
; %bb.67:                               ;   in Loop: Header=BB5_62 Depth=1
	s_lshl_b32 s0, s0, 2
	s_mov_b32 s8, s1
	s_add_i32 s0, s0, 0
.LBB5_68:                               ;   Parent Loop BB5_62 Depth=1
                                        ; =>  This Inner Loop Header: Depth=2
	s_delay_alu instid0(SALU_CYCLE_1)
	v_mov_b32_e32 v4, s0
	s_add_i32 s8, s8, -1
	s_add_i32 s0, s0, 4
	s_cmp_lg_u32 s8, 0
	ds_load_b32 v4, v4
	s_waitcnt lgkmcnt(0)
	v_cmp_gt_i32_e32 vcc_lo, v1, v4
	v_add_co_ci_u32_e32 v3, vcc_lo, 0, v3, vcc_lo
	s_cbranch_scc1 .LBB5_68
	s_branch .LBB5_61
.LBB5_69:
	s_nop 0
	s_sendmsg sendmsg(MSG_DEALLOC_VGPRS)
	s_endpgm
	.section	.rodata,"a",@progbits
	.p2align	6, 0x0
	.amdhsa_kernel _ZN9rocsparseL41csrgemm_numeric_fill_block_per_row_kernelILj256ELj32ELj512ELj137ELj64EiifEEvT5_PKS1_S3_NS_24const_host_device_scalarIT6_EEPKT4_S3_PKS5_S9_S3_SB_S6_S9_S3_SB_S9_S3_PS5_21rocsparse_index_base_SD_SD_SD_bbb
		.amdhsa_group_segment_fixed_size 0
		.amdhsa_private_segment_fixed_size 0
		.amdhsa_kernarg_size 156
		.amdhsa_user_sgpr_count 15
		.amdhsa_user_sgpr_dispatch_ptr 0
		.amdhsa_user_sgpr_queue_ptr 0
		.amdhsa_user_sgpr_kernarg_segment_ptr 1
		.amdhsa_user_sgpr_dispatch_id 0
		.amdhsa_user_sgpr_private_segment_size 0
		.amdhsa_wavefront_size32 1
		.amdhsa_uses_dynamic_stack 0
		.amdhsa_enable_private_segment 0
		.amdhsa_system_sgpr_workgroup_id_x 1
		.amdhsa_system_sgpr_workgroup_id_y 0
		.amdhsa_system_sgpr_workgroup_id_z 0
		.amdhsa_system_sgpr_workgroup_info 0
		.amdhsa_system_vgpr_workitem_id 0
		.amdhsa_next_free_vgpr 15
		.amdhsa_next_free_sgpr 40
		.amdhsa_reserve_vcc 1
		.amdhsa_float_round_mode_32 0
		.amdhsa_float_round_mode_16_64 0
		.amdhsa_float_denorm_mode_32 3
		.amdhsa_float_denorm_mode_16_64 3
		.amdhsa_dx10_clamp 1
		.amdhsa_ieee_mode 1
		.amdhsa_fp16_overflow 0
		.amdhsa_workgroup_processor_mode 1
		.amdhsa_memory_ordered 1
		.amdhsa_forward_progress 0
		.amdhsa_shared_vgpr_count 0
		.amdhsa_exception_fp_ieee_invalid_op 0
		.amdhsa_exception_fp_denorm_src 0
		.amdhsa_exception_fp_ieee_div_zero 0
		.amdhsa_exception_fp_ieee_overflow 0
		.amdhsa_exception_fp_ieee_underflow 0
		.amdhsa_exception_fp_ieee_inexact 0
		.amdhsa_exception_int_div_zero 0
	.end_amdhsa_kernel
	.section	.text._ZN9rocsparseL41csrgemm_numeric_fill_block_per_row_kernelILj256ELj32ELj512ELj137ELj64EiifEEvT5_PKS1_S3_NS_24const_host_device_scalarIT6_EEPKT4_S3_PKS5_S9_S3_SB_S6_S9_S3_SB_S9_S3_PS5_21rocsparse_index_base_SD_SD_SD_bbb,"axG",@progbits,_ZN9rocsparseL41csrgemm_numeric_fill_block_per_row_kernelILj256ELj32ELj512ELj137ELj64EiifEEvT5_PKS1_S3_NS_24const_host_device_scalarIT6_EEPKT4_S3_PKS5_S9_S3_SB_S6_S9_S3_SB_S9_S3_PS5_21rocsparse_index_base_SD_SD_SD_bbb,comdat
.Lfunc_end5:
	.size	_ZN9rocsparseL41csrgemm_numeric_fill_block_per_row_kernelILj256ELj32ELj512ELj137ELj64EiifEEvT5_PKS1_S3_NS_24const_host_device_scalarIT6_EEPKT4_S3_PKS5_S9_S3_SB_S6_S9_S3_SB_S9_S3_PS5_21rocsparse_index_base_SD_SD_SD_bbb, .Lfunc_end5-_ZN9rocsparseL41csrgemm_numeric_fill_block_per_row_kernelILj256ELj32ELj512ELj137ELj64EiifEEvT5_PKS1_S3_NS_24const_host_device_scalarIT6_EEPKT4_S3_PKS5_S9_S3_SB_S6_S9_S3_SB_S9_S3_PS5_21rocsparse_index_base_SD_SD_SD_bbb
                                        ; -- End function
	.section	.AMDGPU.csdata,"",@progbits
; Kernel info:
; codeLenInByte = 2440
; NumSgprs: 42
; NumVgprs: 15
; ScratchSize: 0
; MemoryBound: 0
; FloatMode: 240
; IeeeMode: 1
; LDSByteSize: 0 bytes/workgroup (compile time only)
; SGPRBlocks: 5
; VGPRBlocks: 1
; NumSGPRsForWavesPerEU: 42
; NumVGPRsForWavesPerEU: 15
; Occupancy: 16
; WaveLimiterHint : 1
; COMPUTE_PGM_RSRC2:SCRATCH_EN: 0
; COMPUTE_PGM_RSRC2:USER_SGPR: 15
; COMPUTE_PGM_RSRC2:TRAP_HANDLER: 0
; COMPUTE_PGM_RSRC2:TGID_X_EN: 1
; COMPUTE_PGM_RSRC2:TGID_Y_EN: 0
; COMPUTE_PGM_RSRC2:TGID_Z_EN: 0
; COMPUTE_PGM_RSRC2:TIDIG_COMP_CNT: 0
	.section	.text._ZN9rocsparseL41csrgemm_numeric_fill_block_per_row_kernelILj512ELj32ELj1024ELj137ELj32EiifEEvT5_PKS1_S3_NS_24const_host_device_scalarIT6_EEPKT4_S3_PKS5_S9_S3_SB_S6_S9_S3_SB_S9_S3_PS5_21rocsparse_index_base_SD_SD_SD_bbb,"axG",@progbits,_ZN9rocsparseL41csrgemm_numeric_fill_block_per_row_kernelILj512ELj32ELj1024ELj137ELj32EiifEEvT5_PKS1_S3_NS_24const_host_device_scalarIT6_EEPKT4_S3_PKS5_S9_S3_SB_S6_S9_S3_SB_S9_S3_PS5_21rocsparse_index_base_SD_SD_SD_bbb,comdat
	.globl	_ZN9rocsparseL41csrgemm_numeric_fill_block_per_row_kernelILj512ELj32ELj1024ELj137ELj32EiifEEvT5_PKS1_S3_NS_24const_host_device_scalarIT6_EEPKT4_S3_PKS5_S9_S3_SB_S6_S9_S3_SB_S9_S3_PS5_21rocsparse_index_base_SD_SD_SD_bbb ; -- Begin function _ZN9rocsparseL41csrgemm_numeric_fill_block_per_row_kernelILj512ELj32ELj1024ELj137ELj32EiifEEvT5_PKS1_S3_NS_24const_host_device_scalarIT6_EEPKT4_S3_PKS5_S9_S3_SB_S6_S9_S3_SB_S9_S3_PS5_21rocsparse_index_base_SD_SD_SD_bbb
	.p2align	8
	.type	_ZN9rocsparseL41csrgemm_numeric_fill_block_per_row_kernelILj512ELj32ELj1024ELj137ELj32EiifEEvT5_PKS1_S3_NS_24const_host_device_scalarIT6_EEPKT4_S3_PKS5_S9_S3_SB_S6_S9_S3_SB_S9_S3_PS5_21rocsparse_index_base_SD_SD_SD_bbb,@function
_ZN9rocsparseL41csrgemm_numeric_fill_block_per_row_kernelILj512ELj32ELj1024ELj137ELj32EiifEEvT5_PKS1_S3_NS_24const_host_device_scalarIT6_EEPKT4_S3_PKS5_S9_S3_SB_S6_S9_S3_SB_S9_S3_PS5_21rocsparse_index_base_SD_SD_SD_bbb: ; @_ZN9rocsparseL41csrgemm_numeric_fill_block_per_row_kernelILj512ELj32ELj1024ELj137ELj32EiifEEvT5_PKS1_S3_NS_24const_host_device_scalarIT6_EEPKT4_S3_PKS5_S9_S3_SB_S6_S9_S3_SB_S9_S3_PS5_21rocsparse_index_base_SD_SD_SD_bbb
; %bb.0:
	s_clause 0x3
	s_load_b32 s12, s[0:1], 0x98
	s_load_b128 s[24:27], s[0:1], 0x88
	s_load_b64 s[4:5], s[0:1], 0x18
	s_load_b64 s[2:3], s[0:1], 0x50
	s_waitcnt lgkmcnt(0)
	s_bitcmp1_b32 s12, 0
	s_cselect_b32 s13, -1, 0
	s_bitcmp1_b32 s12, 16
	s_cselect_b32 s14, -1, 0
	s_xor_b32 s6, s13, -1
	s_delay_alu instid0(SALU_CYCLE_1) | instskip(NEXT) | instid1(SALU_CYCLE_1)
	s_or_b32 s6, s6, s14
	s_and_b32 vcc_lo, exec_lo, s6
	s_cbranch_vccnz .LBB6_2
; %bb.1:
	s_load_b32 s4, s[4:5], 0x0
	s_waitcnt lgkmcnt(0)
	v_mov_b32_e32 v9, s4
	s_branch .LBB6_3
.LBB6_2:
	v_cndmask_b32_e64 v9, 0, s4, s13
.LBB6_3:
	s_clause 0x4
	s_load_b64 s[34:35], s[0:1], 0x80
	s_load_b256 s[16:23], s[0:1], 0x58
	s_load_b128 s[28:31], s[0:1], 0x40
	s_load_b128 s[36:39], s[0:1], 0x8
	s_load_b256 s[4:11], s[0:1], 0x20
	s_bitcmp1_b32 s12, 8
	s_cselect_b32 s12, -1, 0
	s_delay_alu instid0(SALU_CYCLE_1) | instskip(NEXT) | instid1(SALU_CYCLE_1)
	s_xor_b32 s33, s12, -1
	s_or_b32 s14, s33, s14
	s_delay_alu instid0(SALU_CYCLE_1)
	s_and_b32 vcc_lo, exec_lo, s14
	s_cbranch_vccnz .LBB6_5
; %bb.4:
	s_load_b32 s2, s[2:3], 0x0
	s_waitcnt lgkmcnt(0)
	v_mov_b32_e32 v7, s2
	s_branch .LBB6_6
.LBB6_5:
	v_cndmask_b32_e64 v7, 0, s2, s12
.LBB6_6:
	s_load_b32 s33, s[0:1], 0x0
	v_lshl_add_u32 v5, v0, 2, 0
	v_or_b32_e32 v6, 0xfffffe00, v0
	v_mov_b32_e32 v1, 0
	s_mov_b32 s0, 0
	s_delay_alu instid0(VALU_DEP_3)
	v_mov_b32_e32 v2, v5
	s_waitcnt lgkmcnt(0)
	v_dual_mov_b32 v4, v6 :: v_dual_mov_b32 v3, s33
.LBB6_7:                                ; =>This Inner Loop Header: Depth=1
	s_delay_alu instid0(VALU_DEP_1) | instskip(NEXT) | instid1(VALU_DEP_1)
	v_add_co_u32 v4, s1, 0x200, v4
	s_xor_b32 s1, s1, -1
	ds_store_2addr_stride64_b32 v2, v3, v1 offset1:16
	v_add_nc_u32_e32 v2, 0x800, v2
	s_and_b32 s1, exec_lo, s1
	s_delay_alu instid0(SALU_CYCLE_1) | instskip(NEXT) | instid1(SALU_CYCLE_1)
	s_or_b32 s0, s1, s0
	s_and_not1_b32 exec_lo, exec_lo, s0
	s_cbranch_execnz .LBB6_7
; %bb.8:
	s_or_b32 exec_lo, exec_lo, s0
	s_waitcnt lgkmcnt(0)
	s_barrier
	buffer_gl0_inv
	s_load_b32 s0, s[36:37], 0x0
	s_mov_b32 s1, 0
	v_lshrrev_b32_e32 v8, 5, v0
	s_waitcnt lgkmcnt(0)
	s_add_i32 s0, s0, s15
	s_delay_alu instid0(SALU_CYCLE_1) | instskip(NEXT) | instid1(SALU_CYCLE_1)
	s_lshl_b64 s[0:1], s[0:1], 2
	s_add_u32 s0, s38, s0
	s_addc_u32 s1, s39, s1
	s_and_b32 vcc_lo, exec_lo, s13
	s_load_b32 s36, s[0:1], 0x0
	s_cbranch_vccz .LBB6_28
; %bb.9:
	s_waitcnt lgkmcnt(0)
	s_ashr_i32 s37, s36, 31
	v_subrev_nc_u32_e32 v1, s24, v8
	s_lshl_b64 s[0:1], s[36:37], 2
	s_delay_alu instid0(SALU_CYCLE_1)
	s_add_u32 s0, s4, s0
	s_addc_u32 s1, s5, s1
	s_load_b64 s[0:1], s[0:1], 0x0
	s_waitcnt lgkmcnt(0)
	v_add_nc_u32_e32 v1, s0, v1
	s_sub_i32 s0, s1, s24
	s_mov_b32 s1, exec_lo
	s_delay_alu instid0(VALU_DEP_1)
	v_cmpx_gt_i32_e64 s0, v1
	s_cbranch_execz .LBB6_27
; %bb.10:
	v_and_b32_e32 v2, 31, v0
	s_mov_b32 s2, 0
	s_delay_alu instid0(VALU_DEP_1)
	v_subrev_nc_u32_e32 v10, s25, v2
	s_branch .LBB6_12
.LBB6_11:                               ;   in Loop: Header=BB6_12 Depth=1
	s_or_b32 exec_lo, exec_lo, s3
	v_add_nc_u32_e32 v1, 16, v1
	s_delay_alu instid0(VALU_DEP_1) | instskip(SKIP_1) | instid1(SALU_CYCLE_1)
	v_cmp_le_i32_e32 vcc_lo, s0, v1
	s_or_b32 s2, vcc_lo, s2
	s_and_not1_b32 exec_lo, exec_lo, s2
	s_cbranch_execz .LBB6_27
.LBB6_12:                               ; =>This Loop Header: Depth=1
                                        ;     Child Loop BB6_15 Depth 2
                                        ;       Child Loop BB6_17 Depth 3
	v_ashrrev_i32_e32 v2, 31, v1
	s_mov_b32 s3, exec_lo
	s_delay_alu instid0(VALU_DEP_1) | instskip(NEXT) | instid1(VALU_DEP_1)
	v_lshlrev_b64 v[3:4], 2, v[1:2]
	v_add_co_u32 v11, vcc_lo, s6, v3
	s_delay_alu instid0(VALU_DEP_2) | instskip(SKIP_3) | instid1(VALU_DEP_1)
	v_add_co_ci_u32_e32 v12, vcc_lo, s7, v4, vcc_lo
	global_load_b32 v2, v[11:12], off
	s_waitcnt vmcnt(0)
	v_subrev_nc_u32_e32 v11, s24, v2
	v_ashrrev_i32_e32 v12, 31, v11
	s_delay_alu instid0(VALU_DEP_1) | instskip(NEXT) | instid1(VALU_DEP_1)
	v_lshlrev_b64 v[11:12], 2, v[11:12]
	v_add_co_u32 v11, vcc_lo, s10, v11
	s_delay_alu instid0(VALU_DEP_2) | instskip(SKIP_4) | instid1(VALU_DEP_1)
	v_add_co_ci_u32_e32 v12, vcc_lo, s11, v12, vcc_lo
	global_load_b64 v[12:13], v[11:12], off
	s_waitcnt vmcnt(0)
	v_subrev_nc_u32_e32 v11, s25, v13
	v_add_nc_u32_e32 v2, v12, v10
	v_cmpx_lt_i32_e64 v2, v11
	s_cbranch_execz .LBB6_11
; %bb.13:                               ;   in Loop: Header=BB6_12 Depth=1
	v_add_co_u32 v3, vcc_lo, s8, v3
	v_add_co_ci_u32_e32 v4, vcc_lo, s9, v4, vcc_lo
	s_mov_b32 s4, 0
	global_load_b32 v3, v[3:4], off
	s_waitcnt vmcnt(0)
	v_mul_f32_e32 v4, v9, v3
	s_branch .LBB6_15
.LBB6_14:                               ;   in Loop: Header=BB6_15 Depth=2
	s_or_b32 exec_lo, exec_lo, s5
	v_add_nc_u32_e32 v2, 32, v2
	s_delay_alu instid0(VALU_DEP_1) | instskip(SKIP_1) | instid1(SALU_CYCLE_1)
	v_cmp_ge_i32_e32 vcc_lo, v2, v11
	s_or_b32 s4, vcc_lo, s4
	s_and_not1_b32 exec_lo, exec_lo, s4
	s_cbranch_execz .LBB6_11
.LBB6_15:                               ;   Parent Loop BB6_12 Depth=1
                                        ; =>  This Loop Header: Depth=2
                                        ;       Child Loop BB6_17 Depth 3
	v_ashrrev_i32_e32 v3, 31, v2
	s_mov_b32 s5, 0
	s_delay_alu instid0(VALU_DEP_1) | instskip(NEXT) | instid1(VALU_DEP_1)
	v_lshlrev_b64 v[12:13], 2, v[2:3]
	v_add_co_u32 v14, vcc_lo, s28, v12
	s_delay_alu instid0(VALU_DEP_2)
	v_add_co_ci_u32_e32 v15, vcc_lo, s29, v13, vcc_lo
	v_add_co_u32 v12, vcc_lo, s30, v12
	v_add_co_ci_u32_e32 v13, vcc_lo, s31, v13, vcc_lo
	global_load_b32 v3, v[14:15], off
	global_load_b32 v12, v[12:13], off
	s_waitcnt vmcnt(1)
	v_subrev_nc_u32_e32 v3, s25, v3
	s_delay_alu instid0(VALU_DEP_1) | instskip(SKIP_1) | instid1(VALU_DEP_1)
	v_mul_lo_u32 v13, 0x89, v3
	s_waitcnt vmcnt(0)
	v_dual_mul_f32 v12, v4, v12 :: v_dual_and_b32 v13, 0x3ff, v13
	s_branch .LBB6_17
.LBB6_16:                               ;   in Loop: Header=BB6_17 Depth=3
	s_or_b32 exec_lo, exec_lo, s13
	s_xor_b32 s13, s14, -1
	s_delay_alu instid0(SALU_CYCLE_1) | instskip(NEXT) | instid1(SALU_CYCLE_1)
	s_and_b32 s13, exec_lo, s13
	s_or_b32 s5, s13, s5
	s_delay_alu instid0(SALU_CYCLE_1)
	s_and_not1_b32 exec_lo, exec_lo, s5
	s_cbranch_execz .LBB6_14
.LBB6_17:                               ;   Parent Loop BB6_12 Depth=1
                                        ;     Parent Loop BB6_15 Depth=2
                                        ; =>    This Inner Loop Header: Depth=3
	s_delay_alu instid0(VALU_DEP_1)
	v_lshl_add_u32 v14, v13, 2, 0
	s_mov_b32 s13, exec_lo
                                        ; implicit-def: $sgpr14
	ds_load_b32 v15, v14
	s_waitcnt lgkmcnt(0)
	v_cmpx_ne_u32_e64 v15, v3
	s_xor_b32 s13, exec_lo, s13
	s_cbranch_execz .LBB6_25
; %bb.18:                               ;   in Loop: Header=BB6_17 Depth=3
	s_mov_b32 s15, exec_lo
                                        ; implicit-def: $sgpr14
	v_cmpx_ne_u32_e64 s33, v15
	s_xor_b32 s15, exec_lo, s15
; %bb.19:                               ;   in Loop: Header=BB6_17 Depth=3
	v_add_nc_u32_e32 v13, 1, v13
	s_mov_b32 s14, -1
                                        ; implicit-def: $vgpr14
	s_delay_alu instid0(VALU_DEP_1)
	v_and_b32_e32 v13, 0x3ff, v13
; %bb.20:                               ;   in Loop: Header=BB6_17 Depth=3
	s_and_not1_saveexec_b32 s15, s15
	s_cbranch_execz .LBB6_24
; %bb.21:                               ;   in Loop: Header=BB6_17 Depth=3
	v_mov_b32_e32 v15, s33
	s_mov_b32 s37, -1
	s_mov_b32 s38, exec_lo
	ds_cmpstore_rtn_b32 v15, v14, v3, v15
	s_waitcnt lgkmcnt(0)
	v_cmpx_eq_u32_e64 s33, v15
	s_cbranch_execz .LBB6_23
; %bb.22:                               ;   in Loop: Header=BB6_17 Depth=3
	ds_add_f32 v14, v12 offset:4096
	s_xor_b32 s37, exec_lo, -1
.LBB6_23:                               ;   in Loop: Header=BB6_17 Depth=3
	s_or_b32 exec_lo, exec_lo, s38
	s_delay_alu instid0(SALU_CYCLE_1) | instskip(SKIP_1) | instid1(SALU_CYCLE_1)
	s_and_not1_b32 s14, s14, exec_lo
	s_and_b32 s37, s37, exec_lo
	s_or_b32 s14, s14, s37
.LBB6_24:                               ;   in Loop: Header=BB6_17 Depth=3
	s_or_b32 exec_lo, exec_lo, s15
	s_delay_alu instid0(SALU_CYCLE_1)
	s_and_b32 s14, s14, exec_lo
                                        ; implicit-def: $vgpr14
.LBB6_25:                               ;   in Loop: Header=BB6_17 Depth=3
	s_and_not1_saveexec_b32 s13, s13
	s_cbranch_execz .LBB6_16
; %bb.26:                               ;   in Loop: Header=BB6_17 Depth=3
	ds_add_f32 v14, v12 offset:4096
	s_and_not1_b32 s14, s14, exec_lo
	s_branch .LBB6_16
.LBB6_27:
	s_or_b32 exec_lo, exec_lo, s1
.LBB6_28:
	s_delay_alu instid0(SALU_CYCLE_1)
	s_and_not1_b32 vcc_lo, exec_lo, s12
	s_cbranch_vccnz .LBB6_45
; %bb.29:
	s_waitcnt lgkmcnt(0)
	s_ashr_i32 s37, s36, 31
	v_subrev_nc_u32_e32 v1, s27, v0
	s_lshl_b64 s[0:1], s[36:37], 2
	s_delay_alu instid0(SALU_CYCLE_1)
	s_add_u32 s0, s16, s0
	s_addc_u32 s1, s17, s1
	s_load_b64 s[0:1], s[0:1], 0x0
	s_waitcnt lgkmcnt(0)
	v_add_nc_u32_e32 v1, s0, v1
	s_sub_i32 s0, s1, s27
	s_mov_b32 s1, exec_lo
	s_delay_alu instid0(VALU_DEP_1)
	v_cmpx_gt_i32_e64 s0, v1
	s_cbranch_execz .LBB6_44
; %bb.30:
	s_mov_b32 s2, 0
	s_branch .LBB6_32
.LBB6_31:                               ;   in Loop: Header=BB6_32 Depth=1
	s_or_b32 exec_lo, exec_lo, s3
	v_add_nc_u32_e32 v1, 0x200, v1
	s_delay_alu instid0(VALU_DEP_1) | instskip(SKIP_1) | instid1(SALU_CYCLE_1)
	v_cmp_le_i32_e32 vcc_lo, s0, v1
	s_or_b32 s2, vcc_lo, s2
	s_and_not1_b32 exec_lo, exec_lo, s2
	s_cbranch_execz .LBB6_44
.LBB6_32:                               ; =>This Loop Header: Depth=1
                                        ;     Child Loop BB6_34 Depth 2
	v_ashrrev_i32_e32 v2, 31, v1
	s_mov_b32 s3, 0
	s_delay_alu instid0(VALU_DEP_1) | instskip(NEXT) | instid1(VALU_DEP_1)
	v_lshlrev_b64 v[2:3], 2, v[1:2]
	v_add_co_u32 v9, vcc_lo, s18, v2
	s_delay_alu instid0(VALU_DEP_2)
	v_add_co_ci_u32_e32 v10, vcc_lo, s19, v3, vcc_lo
	v_add_co_u32 v2, vcc_lo, s20, v2
	v_add_co_ci_u32_e32 v3, vcc_lo, s21, v3, vcc_lo
	global_load_b32 v4, v[9:10], off
	global_load_b32 v3, v[2:3], off
	s_waitcnt vmcnt(1)
	v_subrev_nc_u32_e32 v2, s27, v4
	s_delay_alu instid0(VALU_DEP_1) | instskip(SKIP_1) | instid1(VALU_DEP_1)
	v_mul_lo_u32 v4, 0x89, v2
	s_waitcnt vmcnt(0)
	v_dual_mul_f32 v3, v7, v3 :: v_dual_and_b32 v4, 0x3ff, v4
	s_branch .LBB6_34
.LBB6_33:                               ;   in Loop: Header=BB6_34 Depth=2
	s_or_b32 exec_lo, exec_lo, s4
	s_xor_b32 s4, s5, -1
	s_delay_alu instid0(SALU_CYCLE_1) | instskip(NEXT) | instid1(SALU_CYCLE_1)
	s_and_b32 s4, exec_lo, s4
	s_or_b32 s3, s4, s3
	s_delay_alu instid0(SALU_CYCLE_1)
	s_and_not1_b32 exec_lo, exec_lo, s3
	s_cbranch_execz .LBB6_31
.LBB6_34:                               ;   Parent Loop BB6_32 Depth=1
                                        ; =>  This Inner Loop Header: Depth=2
	s_delay_alu instid0(VALU_DEP_1)
	v_lshl_add_u32 v9, v4, 2, 0
	s_mov_b32 s4, exec_lo
                                        ; implicit-def: $sgpr5
	ds_load_b32 v10, v9
	s_waitcnt lgkmcnt(0)
	v_cmpx_ne_u32_e64 v10, v2
	s_xor_b32 s4, exec_lo, s4
	s_cbranch_execz .LBB6_42
; %bb.35:                               ;   in Loop: Header=BB6_34 Depth=2
	s_mov_b32 s6, exec_lo
                                        ; implicit-def: $sgpr5
	v_cmpx_ne_u32_e64 s33, v10
	s_xor_b32 s6, exec_lo, s6
; %bb.36:                               ;   in Loop: Header=BB6_34 Depth=2
	v_add_nc_u32_e32 v4, 1, v4
	s_mov_b32 s5, -1
                                        ; implicit-def: $vgpr9
	s_delay_alu instid0(VALU_DEP_1)
	v_and_b32_e32 v4, 0x3ff, v4
; %bb.37:                               ;   in Loop: Header=BB6_34 Depth=2
	s_and_not1_saveexec_b32 s6, s6
	s_cbranch_execz .LBB6_41
; %bb.38:                               ;   in Loop: Header=BB6_34 Depth=2
	v_mov_b32_e32 v10, s33
	s_mov_b32 s7, -1
	s_mov_b32 s8, exec_lo
	ds_cmpstore_rtn_b32 v10, v9, v2, v10
	s_waitcnt lgkmcnt(0)
	v_cmpx_eq_u32_e64 s33, v10
	s_cbranch_execz .LBB6_40
; %bb.39:                               ;   in Loop: Header=BB6_34 Depth=2
	ds_add_f32 v9, v3 offset:4096
	s_xor_b32 s7, exec_lo, -1
.LBB6_40:                               ;   in Loop: Header=BB6_34 Depth=2
	s_or_b32 exec_lo, exec_lo, s8
	s_delay_alu instid0(SALU_CYCLE_1) | instskip(SKIP_1) | instid1(SALU_CYCLE_1)
	s_and_not1_b32 s5, s5, exec_lo
	s_and_b32 s7, s7, exec_lo
	s_or_b32 s5, s5, s7
.LBB6_41:                               ;   in Loop: Header=BB6_34 Depth=2
	s_or_b32 exec_lo, exec_lo, s6
	s_delay_alu instid0(SALU_CYCLE_1)
	s_and_b32 s5, s5, exec_lo
                                        ; implicit-def: $vgpr9
.LBB6_42:                               ;   in Loop: Header=BB6_34 Depth=2
	s_and_not1_saveexec_b32 s4, s4
	s_cbranch_execz .LBB6_33
; %bb.43:                               ;   in Loop: Header=BB6_34 Depth=2
	ds_add_f32 v9, v3 offset:4096
	s_and_not1_b32 s5, s5, exec_lo
	s_branch .LBB6_33
.LBB6_44:
	s_or_b32 exec_lo, exec_lo, s1
.LBB6_45:
	v_mbcnt_lo_u32_b32 v1, -1, 0
	v_lshl_add_u32 v4, v8, 2, 0
	v_cmp_eq_u32_e32 vcc_lo, 0x1ff, v0
	v_cmp_lt_u32_e64 s0, 31, v0
	v_cmp_lt_u32_e64 s1, 63, v0
	v_xor_b32_e32 v1, 63, v1
	v_cmp_lt_u32_e64 s2, 0x5f, v0
	v_cmp_lt_u32_e64 s3, 0x7f, v0
	;; [unrolled: 1-line block ×4, first 2 shown]
	v_lshrrev_b64 v[1:2], v1, -1
	v_cmp_lt_u32_e64 s6, 0xdf, v0
	v_cmp_lt_u32_e64 s7, 0xff, v0
	v_cmp_lt_u32_e64 s8, 0x11f, v0
	v_cmp_lt_u32_e64 s9, 0x13f, v0
	v_cmp_lt_u32_e64 s10, 0x15f, v0
	v_cmp_lt_u32_e64 s11, 0x17f, v0
	v_cmp_lt_u32_e64 s12, 0x19f, v0
	v_cmp_lt_u32_e64 s13, 0x1bf, v0
	v_cmp_lt_u32_e64 s14, 0x1df, v0
	v_dual_mov_b32 v7, 0 :: v_dual_mov_b32 v8, 0
	s_mov_b32 s16, 0
	s_waitcnt lgkmcnt(0)
	s_barrier
	buffer_gl0_inv
	s_branch .LBB6_47
.LBB6_46:                               ;   in Loop: Header=BB6_47 Depth=1
	s_or_b32 exec_lo, exec_lo, s15
	s_waitcnt lgkmcnt(0)
	s_barrier
	buffer_gl0_inv
	ds_load_b32 v2, v7 offset:8252
	v_add_co_u32 v6, s15, 0x200, v6
	s_delay_alu instid0(VALU_DEP_1) | instskip(SKIP_2) | instid1(SALU_CYCLE_1)
	s_xor_b32 s15, s15, -1
	v_add_nc_u32_e32 v5, 0x800, v5
	s_and_b32 s15, exec_lo, s15
	s_or_b32 s16, s15, s16
	s_waitcnt lgkmcnt(0)
	v_add_nc_u32_e32 v8, v2, v8
	s_and_not1_b32 exec_lo, exec_lo, s16
	s_cbranch_execz .LBB6_81
.LBB6_47:                               ; =>This Inner Loop Header: Depth=1
	ds_load_2addr_stride64_b32 v[2:3], v5 offset1:16
	s_waitcnt lgkmcnt(0)
	s_barrier
	buffer_gl0_inv
	v_cmp_gt_i32_e64 s15, s33, v2
	s_delay_alu instid0(VALU_DEP_1) | instskip(NEXT) | instid1(SALU_CYCLE_1)
	s_bcnt1_i32_b32 s17, s15
	v_dual_mov_b32 v10, s17 :: v_dual_and_b32 v9, s15, v1
	s_delay_alu instid0(VALU_DEP_1)
	v_bcnt_u32_b32 v9, v9, 0
	ds_store_b32 v4, v10 offset:8192
	s_waitcnt lgkmcnt(0)
	s_barrier
	buffer_gl0_inv
	s_and_saveexec_b32 s17, s0
	s_cbranch_execnz .LBB6_64
; %bb.48:                               ;   in Loop: Header=BB6_47 Depth=1
	s_or_b32 exec_lo, exec_lo, s17
	s_and_saveexec_b32 s17, s1
	s_cbranch_execnz .LBB6_65
.LBB6_49:                               ;   in Loop: Header=BB6_47 Depth=1
	s_or_b32 exec_lo, exec_lo, s17
	s_and_saveexec_b32 s17, s2
	s_cbranch_execnz .LBB6_66
.LBB6_50:                               ;   in Loop: Header=BB6_47 Depth=1
	s_or_b32 exec_lo, exec_lo, s17
	s_and_saveexec_b32 s17, s3
	s_cbranch_execnz .LBB6_67
.LBB6_51:                               ;   in Loop: Header=BB6_47 Depth=1
	s_or_b32 exec_lo, exec_lo, s17
	s_and_saveexec_b32 s17, s4
	s_cbranch_execnz .LBB6_68
.LBB6_52:                               ;   in Loop: Header=BB6_47 Depth=1
	s_or_b32 exec_lo, exec_lo, s17
	s_and_saveexec_b32 s17, s5
	s_cbranch_execnz .LBB6_69
.LBB6_53:                               ;   in Loop: Header=BB6_47 Depth=1
	s_or_b32 exec_lo, exec_lo, s17
	s_and_saveexec_b32 s17, s6
	s_cbranch_execnz .LBB6_70
.LBB6_54:                               ;   in Loop: Header=BB6_47 Depth=1
	s_or_b32 exec_lo, exec_lo, s17
	s_and_saveexec_b32 s17, s7
	s_cbranch_execnz .LBB6_71
.LBB6_55:                               ;   in Loop: Header=BB6_47 Depth=1
	s_or_b32 exec_lo, exec_lo, s17
	s_and_saveexec_b32 s17, s8
	s_cbranch_execnz .LBB6_72
.LBB6_56:                               ;   in Loop: Header=BB6_47 Depth=1
	s_or_b32 exec_lo, exec_lo, s17
	s_and_saveexec_b32 s17, s9
	s_cbranch_execnz .LBB6_73
.LBB6_57:                               ;   in Loop: Header=BB6_47 Depth=1
	s_or_b32 exec_lo, exec_lo, s17
	s_and_saveexec_b32 s17, s10
	s_cbranch_execnz .LBB6_74
.LBB6_58:                               ;   in Loop: Header=BB6_47 Depth=1
	s_or_b32 exec_lo, exec_lo, s17
	s_and_saveexec_b32 s17, s11
	s_cbranch_execnz .LBB6_75
.LBB6_59:                               ;   in Loop: Header=BB6_47 Depth=1
	s_or_b32 exec_lo, exec_lo, s17
	s_and_saveexec_b32 s17, s12
	s_cbranch_execnz .LBB6_76
.LBB6_60:                               ;   in Loop: Header=BB6_47 Depth=1
	s_or_b32 exec_lo, exec_lo, s17
	s_and_saveexec_b32 s17, s13
	s_cbranch_execnz .LBB6_77
.LBB6_61:                               ;   in Loop: Header=BB6_47 Depth=1
	s_or_b32 exec_lo, exec_lo, s17
	s_and_saveexec_b32 s17, s14
	s_cbranch_execnz .LBB6_78
.LBB6_62:                               ;   in Loop: Header=BB6_47 Depth=1
	s_or_b32 exec_lo, exec_lo, s17
	s_and_saveexec_b32 s17, s15
	s_cbranch_execnz .LBB6_79
.LBB6_63:                               ;   in Loop: Header=BB6_47 Depth=1
	s_or_b32 exec_lo, exec_lo, s17
	s_and_saveexec_b32 s15, vcc_lo
	s_cbranch_execz .LBB6_46
	s_branch .LBB6_80
.LBB6_64:                               ;   in Loop: Header=BB6_47 Depth=1
	ds_load_b32 v10, v7 offset:8192
	s_waitcnt lgkmcnt(0)
	v_add_nc_u32_e32 v9, v10, v9
	s_or_b32 exec_lo, exec_lo, s17
	s_and_saveexec_b32 s17, s1
	s_cbranch_execz .LBB6_49
.LBB6_65:                               ;   in Loop: Header=BB6_47 Depth=1
	ds_load_b32 v10, v7 offset:8196
	s_waitcnt lgkmcnt(0)
	v_add_nc_u32_e32 v9, v10, v9
	s_or_b32 exec_lo, exec_lo, s17
	s_and_saveexec_b32 s17, s2
	s_cbranch_execz .LBB6_50
.LBB6_66:                               ;   in Loop: Header=BB6_47 Depth=1
	ds_load_b32 v10, v7 offset:8200
	s_waitcnt lgkmcnt(0)
	v_add_nc_u32_e32 v9, v10, v9
	s_or_b32 exec_lo, exec_lo, s17
	s_and_saveexec_b32 s17, s3
	s_cbranch_execz .LBB6_51
.LBB6_67:                               ;   in Loop: Header=BB6_47 Depth=1
	ds_load_b32 v10, v7 offset:8204
	s_waitcnt lgkmcnt(0)
	v_add_nc_u32_e32 v9, v10, v9
	s_or_b32 exec_lo, exec_lo, s17
	s_and_saveexec_b32 s17, s4
	s_cbranch_execz .LBB6_52
.LBB6_68:                               ;   in Loop: Header=BB6_47 Depth=1
	ds_load_b32 v10, v7 offset:8208
	s_waitcnt lgkmcnt(0)
	v_add_nc_u32_e32 v9, v10, v9
	s_or_b32 exec_lo, exec_lo, s17
	s_and_saveexec_b32 s17, s5
	s_cbranch_execz .LBB6_53
.LBB6_69:                               ;   in Loop: Header=BB6_47 Depth=1
	ds_load_b32 v10, v7 offset:8212
	s_waitcnt lgkmcnt(0)
	v_add_nc_u32_e32 v9, v10, v9
	s_or_b32 exec_lo, exec_lo, s17
	s_and_saveexec_b32 s17, s6
	s_cbranch_execz .LBB6_54
.LBB6_70:                               ;   in Loop: Header=BB6_47 Depth=1
	ds_load_b32 v10, v7 offset:8216
	s_waitcnt lgkmcnt(0)
	v_add_nc_u32_e32 v9, v10, v9
	s_or_b32 exec_lo, exec_lo, s17
	s_and_saveexec_b32 s17, s7
	s_cbranch_execz .LBB6_55
.LBB6_71:                               ;   in Loop: Header=BB6_47 Depth=1
	ds_load_b32 v10, v7 offset:8220
	s_waitcnt lgkmcnt(0)
	v_add_nc_u32_e32 v9, v10, v9
	s_or_b32 exec_lo, exec_lo, s17
	s_and_saveexec_b32 s17, s8
	s_cbranch_execz .LBB6_56
.LBB6_72:                               ;   in Loop: Header=BB6_47 Depth=1
	ds_load_b32 v10, v7 offset:8224
	s_waitcnt lgkmcnt(0)
	v_add_nc_u32_e32 v9, v10, v9
	s_or_b32 exec_lo, exec_lo, s17
	s_and_saveexec_b32 s17, s9
	s_cbranch_execz .LBB6_57
.LBB6_73:                               ;   in Loop: Header=BB6_47 Depth=1
	ds_load_b32 v10, v7 offset:8228
	s_waitcnt lgkmcnt(0)
	v_add_nc_u32_e32 v9, v10, v9
	s_or_b32 exec_lo, exec_lo, s17
	s_and_saveexec_b32 s17, s10
	s_cbranch_execz .LBB6_58
.LBB6_74:                               ;   in Loop: Header=BB6_47 Depth=1
	ds_load_b32 v10, v7 offset:8232
	s_waitcnt lgkmcnt(0)
	v_add_nc_u32_e32 v9, v10, v9
	s_or_b32 exec_lo, exec_lo, s17
	s_and_saveexec_b32 s17, s11
	s_cbranch_execz .LBB6_59
.LBB6_75:                               ;   in Loop: Header=BB6_47 Depth=1
	ds_load_b32 v10, v7 offset:8236
	s_waitcnt lgkmcnt(0)
	v_add_nc_u32_e32 v9, v10, v9
	s_or_b32 exec_lo, exec_lo, s17
	s_and_saveexec_b32 s17, s12
	s_cbranch_execz .LBB6_60
.LBB6_76:                               ;   in Loop: Header=BB6_47 Depth=1
	ds_load_b32 v10, v7 offset:8240
	s_waitcnt lgkmcnt(0)
	v_add_nc_u32_e32 v9, v10, v9
	s_or_b32 exec_lo, exec_lo, s17
	s_and_saveexec_b32 s17, s13
	s_cbranch_execz .LBB6_61
.LBB6_77:                               ;   in Loop: Header=BB6_47 Depth=1
	ds_load_b32 v10, v7 offset:8244
	s_waitcnt lgkmcnt(0)
	v_add_nc_u32_e32 v9, v10, v9
	s_or_b32 exec_lo, exec_lo, s17
	s_and_saveexec_b32 s17, s14
	s_cbranch_execz .LBB6_62
.LBB6_78:                               ;   in Loop: Header=BB6_47 Depth=1
	ds_load_b32 v10, v7 offset:8248
	s_waitcnt lgkmcnt(0)
	v_add_nc_u32_e32 v9, v10, v9
	s_or_b32 exec_lo, exec_lo, s17
	s_and_saveexec_b32 s17, s15
	s_cbranch_execz .LBB6_63
.LBB6_79:                               ;   in Loop: Header=BB6_47 Depth=1
	s_delay_alu instid0(VALU_DEP_1) | instskip(NEXT) | instid1(VALU_DEP_1)
	v_add3_u32 v10, v8, -1, v9
	v_lshl_add_u32 v10, v10, 2, 0
	ds_store_2addr_stride64_b32 v10, v2, v3 offset1:16
	s_or_b32 exec_lo, exec_lo, s17
	s_and_saveexec_b32 s15, vcc_lo
	s_cbranch_execz .LBB6_46
.LBB6_80:                               ;   in Loop: Header=BB6_47 Depth=1
	ds_store_b32 v7, v9 offset:8252
	s_branch .LBB6_46
.LBB6_81:
	s_or_b32 exec_lo, exec_lo, s16
	s_ashr_i32 s37, s36, 31
	s_mov_b32 s3, exec_lo
	s_lshl_b64 s[0:1], s[36:37], 2
	s_delay_alu instid0(SALU_CYCLE_1) | instskip(SKIP_4) | instid1(SALU_CYCLE_1)
	s_add_u32 s0, s22, s0
	s_addc_u32 s1, s23, s1
	s_load_b64 s[0:1], s[0:1], 0x0
	s_waitcnt lgkmcnt(0)
	s_sub_i32 s2, s1, s0
	v_cmpx_gt_i32_e64 s2, v0
	s_cbranch_execz .LBB6_91
; %bb.82:
	s_sub_i32 s3, s0, s26
	s_sub_i32 s0, s0, s1
	s_and_b32 s1, s2, 7
	s_cmp_lt_u32 s0, -7
	s_mov_b32 s7, 0
	s_cselect_b32 s4, -1, 0
	s_and_b32 s5, s2, -8
	s_cmp_lg_u32 s1, 0
	s_cselect_b32 s6, -1, 0
	s_branch .LBB6_84
.LBB6_83:                               ;   in Loop: Header=BB6_84 Depth=1
	s_delay_alu instid0(VALU_DEP_1) | instskip(SKIP_1) | instid1(VALU_DEP_2)
	v_ashrrev_i32_e32 v4, 31, v3
	v_add_nc_u32_e32 v0, 0x200, v0
	v_lshlrev_b64 v[3:4], 2, v[3:4]
	s_delay_alu instid0(VALU_DEP_2) | instskip(SKIP_1) | instid1(VALU_DEP_2)
	v_cmp_le_i32_e32 vcc_lo, s2, v0
	s_or_b32 s7, vcc_lo, s7
	v_add_co_u32 v3, s0, s34, v3
	s_delay_alu instid0(VALU_DEP_1)
	v_add_co_ci_u32_e64 v4, s0, s35, v4, s0
	s_waitcnt lgkmcnt(0)
	global_store_b32 v[3:4], v2, off
	s_and_not1_b32 exec_lo, exec_lo, s7
	s_cbranch_execz .LBB6_91
.LBB6_84:                               ; =>This Loop Header: Depth=1
                                        ;     Child Loop BB6_86 Depth 2
                                        ;     Child Loop BB6_90 Depth 2
	v_lshl_add_u32 v1, v0, 2, 0
	v_mov_b32_e32 v3, s3
	s_and_not1_b32 vcc_lo, exec_lo, s4
	s_mov_b32 s0, 0
	ds_load_2addr_stride64_b32 v[1:2], v1 offset1:16
	s_cbranch_vccnz .LBB6_88
; %bb.85:                               ;   in Loop: Header=BB6_84 Depth=1
	v_mov_b32_e32 v3, s3
	s_mov_b32 s8, 0
	s_set_inst_prefetch_distance 0x1
	.p2align	6
.LBB6_86:                               ;   Parent Loop BB6_84 Depth=1
                                        ; =>  This Inner Loop Header: Depth=2
	v_mov_b32_e32 v10, s8
	s_add_i32 s0, s0, 8
	s_add_i32 s8, s8, 32
	s_cmp_eq_u32 s5, s0
	ds_load_2addr_b32 v[4:5], v10 offset1:1
	ds_load_2addr_b32 v[6:7], v10 offset0:2 offset1:3
	ds_load_2addr_b32 v[8:9], v10 offset0:4 offset1:5
	;; [unrolled: 1-line block ×3, first 2 shown]
	s_waitcnt lgkmcnt(3)
	v_cmp_gt_i32_e32 vcc_lo, v1, v4
	v_cndmask_b32_e64 v4, 0, 1, vcc_lo
	s_waitcnt lgkmcnt(2)
	v_cmp_gt_i32_e32 vcc_lo, v1, v6
	v_cndmask_b32_e64 v6, 0, 1, vcc_lo
	v_cmp_gt_i32_e32 vcc_lo, v1, v5
	v_add_co_ci_u32_e32 v3, vcc_lo, v3, v4, vcc_lo
	s_waitcnt lgkmcnt(1)
	v_cmp_gt_i32_e32 vcc_lo, v1, v8
	v_cndmask_b32_e64 v4, 0, 1, vcc_lo
	v_cmp_gt_i32_e32 vcc_lo, v1, v7
	v_add_co_ci_u32_e32 v3, vcc_lo, v3, v6, vcc_lo
	;; [unrolled: 5-line block ×3, first 2 shown]
	v_cmp_gt_i32_e32 vcc_lo, v1, v11
	s_delay_alu instid0(VALU_DEP_2)
	v_add_co_ci_u32_e32 v3, vcc_lo, v3, v5, vcc_lo
	s_cbranch_scc0 .LBB6_86
; %bb.87:                               ;   in Loop: Header=BB6_84 Depth=1
	s_set_inst_prefetch_distance 0x2
	s_mov_b32 s0, s5
.LBB6_88:                               ;   in Loop: Header=BB6_84 Depth=1
	s_and_not1_b32 vcc_lo, exec_lo, s6
	s_cbranch_vccnz .LBB6_83
; %bb.89:                               ;   in Loop: Header=BB6_84 Depth=1
	s_lshl_b32 s0, s0, 2
	s_mov_b32 s8, s1
	s_add_i32 s0, s0, 0
.LBB6_90:                               ;   Parent Loop BB6_84 Depth=1
                                        ; =>  This Inner Loop Header: Depth=2
	s_delay_alu instid0(SALU_CYCLE_1)
	v_mov_b32_e32 v4, s0
	s_add_i32 s8, s8, -1
	s_add_i32 s0, s0, 4
	s_cmp_lg_u32 s8, 0
	ds_load_b32 v4, v4
	s_waitcnt lgkmcnt(0)
	v_cmp_gt_i32_e32 vcc_lo, v1, v4
	v_add_co_ci_u32_e32 v3, vcc_lo, 0, v3, vcc_lo
	s_cbranch_scc1 .LBB6_90
	s_branch .LBB6_83
.LBB6_91:
	s_nop 0
	s_sendmsg sendmsg(MSG_DEALLOC_VGPRS)
	s_endpgm
	.section	.rodata,"a",@progbits
	.p2align	6, 0x0
	.amdhsa_kernel _ZN9rocsparseL41csrgemm_numeric_fill_block_per_row_kernelILj512ELj32ELj1024ELj137ELj32EiifEEvT5_PKS1_S3_NS_24const_host_device_scalarIT6_EEPKT4_S3_PKS5_S9_S3_SB_S6_S9_S3_SB_S9_S3_PS5_21rocsparse_index_base_SD_SD_SD_bbb
		.amdhsa_group_segment_fixed_size 0
		.amdhsa_private_segment_fixed_size 0
		.amdhsa_kernarg_size 156
		.amdhsa_user_sgpr_count 15
		.amdhsa_user_sgpr_dispatch_ptr 0
		.amdhsa_user_sgpr_queue_ptr 0
		.amdhsa_user_sgpr_kernarg_segment_ptr 1
		.amdhsa_user_sgpr_dispatch_id 0
		.amdhsa_user_sgpr_private_segment_size 0
		.amdhsa_wavefront_size32 1
		.amdhsa_uses_dynamic_stack 0
		.amdhsa_enable_private_segment 0
		.amdhsa_system_sgpr_workgroup_id_x 1
		.amdhsa_system_sgpr_workgroup_id_y 0
		.amdhsa_system_sgpr_workgroup_id_z 0
		.amdhsa_system_sgpr_workgroup_info 0
		.amdhsa_system_vgpr_workitem_id 0
		.amdhsa_next_free_vgpr 16
		.amdhsa_next_free_sgpr 40
		.amdhsa_reserve_vcc 1
		.amdhsa_float_round_mode_32 0
		.amdhsa_float_round_mode_16_64 0
		.amdhsa_float_denorm_mode_32 3
		.amdhsa_float_denorm_mode_16_64 3
		.amdhsa_dx10_clamp 1
		.amdhsa_ieee_mode 1
		.amdhsa_fp16_overflow 0
		.amdhsa_workgroup_processor_mode 1
		.amdhsa_memory_ordered 1
		.amdhsa_forward_progress 0
		.amdhsa_shared_vgpr_count 0
		.amdhsa_exception_fp_ieee_invalid_op 0
		.amdhsa_exception_fp_denorm_src 0
		.amdhsa_exception_fp_ieee_div_zero 0
		.amdhsa_exception_fp_ieee_overflow 0
		.amdhsa_exception_fp_ieee_underflow 0
		.amdhsa_exception_fp_ieee_inexact 0
		.amdhsa_exception_int_div_zero 0
	.end_amdhsa_kernel
	.section	.text._ZN9rocsparseL41csrgemm_numeric_fill_block_per_row_kernelILj512ELj32ELj1024ELj137ELj32EiifEEvT5_PKS1_S3_NS_24const_host_device_scalarIT6_EEPKT4_S3_PKS5_S9_S3_SB_S6_S9_S3_SB_S9_S3_PS5_21rocsparse_index_base_SD_SD_SD_bbb,"axG",@progbits,_ZN9rocsparseL41csrgemm_numeric_fill_block_per_row_kernelILj512ELj32ELj1024ELj137ELj32EiifEEvT5_PKS1_S3_NS_24const_host_device_scalarIT6_EEPKT4_S3_PKS5_S9_S3_SB_S6_S9_S3_SB_S9_S3_PS5_21rocsparse_index_base_SD_SD_SD_bbb,comdat
.Lfunc_end6:
	.size	_ZN9rocsparseL41csrgemm_numeric_fill_block_per_row_kernelILj512ELj32ELj1024ELj137ELj32EiifEEvT5_PKS1_S3_NS_24const_host_device_scalarIT6_EEPKT4_S3_PKS5_S9_S3_SB_S6_S9_S3_SB_S9_S3_PS5_21rocsparse_index_base_SD_SD_SD_bbb, .Lfunc_end6-_ZN9rocsparseL41csrgemm_numeric_fill_block_per_row_kernelILj512ELj32ELj1024ELj137ELj32EiifEEvT5_PKS1_S3_NS_24const_host_device_scalarIT6_EEPKT4_S3_PKS5_S9_S3_SB_S6_S9_S3_SB_S9_S3_PS5_21rocsparse_index_base_SD_SD_SD_bbb
                                        ; -- End function
	.section	.AMDGPU.csdata,"",@progbits
; Kernel info:
; codeLenInByte = 3016
; NumSgprs: 42
; NumVgprs: 16
; ScratchSize: 0
; MemoryBound: 0
; FloatMode: 240
; IeeeMode: 1
; LDSByteSize: 0 bytes/workgroup (compile time only)
; SGPRBlocks: 5
; VGPRBlocks: 1
; NumSGPRsForWavesPerEU: 42
; NumVGPRsForWavesPerEU: 16
; Occupancy: 16
; WaveLimiterHint : 1
; COMPUTE_PGM_RSRC2:SCRATCH_EN: 0
; COMPUTE_PGM_RSRC2:USER_SGPR: 15
; COMPUTE_PGM_RSRC2:TRAP_HANDLER: 0
; COMPUTE_PGM_RSRC2:TGID_X_EN: 1
; COMPUTE_PGM_RSRC2:TGID_Y_EN: 0
; COMPUTE_PGM_RSRC2:TGID_Z_EN: 0
; COMPUTE_PGM_RSRC2:TIDIG_COMP_CNT: 0
	.section	.text._ZN9rocsparseL41csrgemm_numeric_fill_block_per_row_kernelILj512ELj32ELj1024ELj137ELj64EiifEEvT5_PKS1_S3_NS_24const_host_device_scalarIT6_EEPKT4_S3_PKS5_S9_S3_SB_S6_S9_S3_SB_S9_S3_PS5_21rocsparse_index_base_SD_SD_SD_bbb,"axG",@progbits,_ZN9rocsparseL41csrgemm_numeric_fill_block_per_row_kernelILj512ELj32ELj1024ELj137ELj64EiifEEvT5_PKS1_S3_NS_24const_host_device_scalarIT6_EEPKT4_S3_PKS5_S9_S3_SB_S6_S9_S3_SB_S9_S3_PS5_21rocsparse_index_base_SD_SD_SD_bbb,comdat
	.globl	_ZN9rocsparseL41csrgemm_numeric_fill_block_per_row_kernelILj512ELj32ELj1024ELj137ELj64EiifEEvT5_PKS1_S3_NS_24const_host_device_scalarIT6_EEPKT4_S3_PKS5_S9_S3_SB_S6_S9_S3_SB_S9_S3_PS5_21rocsparse_index_base_SD_SD_SD_bbb ; -- Begin function _ZN9rocsparseL41csrgemm_numeric_fill_block_per_row_kernelILj512ELj32ELj1024ELj137ELj64EiifEEvT5_PKS1_S3_NS_24const_host_device_scalarIT6_EEPKT4_S3_PKS5_S9_S3_SB_S6_S9_S3_SB_S9_S3_PS5_21rocsparse_index_base_SD_SD_SD_bbb
	.p2align	8
	.type	_ZN9rocsparseL41csrgemm_numeric_fill_block_per_row_kernelILj512ELj32ELj1024ELj137ELj64EiifEEvT5_PKS1_S3_NS_24const_host_device_scalarIT6_EEPKT4_S3_PKS5_S9_S3_SB_S6_S9_S3_SB_S9_S3_PS5_21rocsparse_index_base_SD_SD_SD_bbb,@function
_ZN9rocsparseL41csrgemm_numeric_fill_block_per_row_kernelILj512ELj32ELj1024ELj137ELj64EiifEEvT5_PKS1_S3_NS_24const_host_device_scalarIT6_EEPKT4_S3_PKS5_S9_S3_SB_S6_S9_S3_SB_S9_S3_PS5_21rocsparse_index_base_SD_SD_SD_bbb: ; @_ZN9rocsparseL41csrgemm_numeric_fill_block_per_row_kernelILj512ELj32ELj1024ELj137ELj64EiifEEvT5_PKS1_S3_NS_24const_host_device_scalarIT6_EEPKT4_S3_PKS5_S9_S3_SB_S6_S9_S3_SB_S9_S3_PS5_21rocsparse_index_base_SD_SD_SD_bbb
; %bb.0:
	s_clause 0x3
	s_load_b32 s14, s[0:1], 0x98
	s_load_b128 s[24:27], s[0:1], 0x88
	s_load_b64 s[4:5], s[0:1], 0x18
	s_load_b64 s[2:3], s[0:1], 0x50
	s_waitcnt lgkmcnt(0)
	s_bitcmp1_b32 s14, 0
	s_cselect_b32 s35, -1, 0
	s_bitcmp1_b32 s14, 16
	s_cselect_b32 s33, -1, 0
	s_xor_b32 s6, s35, -1
	s_delay_alu instid0(SALU_CYCLE_1) | instskip(NEXT) | instid1(SALU_CYCLE_1)
	s_or_b32 s6, s6, s33
	s_and_b32 vcc_lo, exec_lo, s6
	s_cbranch_vccnz .LBB7_2
; %bb.1:
	s_load_b32 s4, s[4:5], 0x0
	s_waitcnt lgkmcnt(0)
	v_mov_b32_e32 v8, s4
	s_branch .LBB7_3
.LBB7_2:
	v_cndmask_b32_e64 v8, 0, s4, s35
.LBB7_3:
	s_clause 0x4
	s_load_b64 s[12:13], s[0:1], 0x80
	s_load_b256 s[4:11], s[0:1], 0x58
	s_load_b128 s[28:31], s[0:1], 0x40
	s_load_b128 s[36:39], s[0:1], 0x8
	s_load_b256 s[16:23], s[0:1], 0x20
	s_bitcmp1_b32 s14, 8
	s_cselect_b32 s34, -1, 0
	s_delay_alu instid0(SALU_CYCLE_1) | instskip(NEXT) | instid1(SALU_CYCLE_1)
	s_xor_b32 s14, s34, -1
	s_or_b32 s14, s14, s33
	s_delay_alu instid0(SALU_CYCLE_1)
	s_and_b32 vcc_lo, exec_lo, s14
	s_cbranch_vccnz .LBB7_5
; %bb.4:
	s_load_b32 s2, s[2:3], 0x0
	s_waitcnt lgkmcnt(0)
	v_mov_b32_e32 v7, s2
	s_branch .LBB7_6
.LBB7_5:
	v_cndmask_b32_e64 v7, 0, s2, s34
.LBB7_6:
	s_load_b32 s33, s[0:1], 0x0
	v_lshl_add_u32 v5, v0, 2, 0
	v_or_b32_e32 v6, 0xfffffe00, v0
	v_mov_b32_e32 v1, 0
	s_mov_b32 s0, 0
	s_delay_alu instid0(VALU_DEP_3)
	v_mov_b32_e32 v2, v5
	s_waitcnt lgkmcnt(0)
	v_dual_mov_b32 v4, v6 :: v_dual_mov_b32 v3, s33
.LBB7_7:                                ; =>This Inner Loop Header: Depth=1
	s_delay_alu instid0(VALU_DEP_1) | instskip(NEXT) | instid1(VALU_DEP_1)
	v_add_co_u32 v4, s1, 0x200, v4
	s_xor_b32 s1, s1, -1
	ds_store_2addr_stride64_b32 v2, v3, v1 offset1:16
	v_add_nc_u32_e32 v2, 0x800, v2
	s_and_b32 s1, exec_lo, s1
	s_delay_alu instid0(SALU_CYCLE_1) | instskip(NEXT) | instid1(SALU_CYCLE_1)
	s_or_b32 s0, s1, s0
	s_and_not1_b32 exec_lo, exec_lo, s0
	s_cbranch_execnz .LBB7_7
; %bb.8:
	s_or_b32 exec_lo, exec_lo, s0
	s_waitcnt lgkmcnt(0)
	s_barrier
	buffer_gl0_inv
	s_load_b32 s0, s[36:37], 0x0
	s_mov_b32 s1, 0
	s_waitcnt lgkmcnt(0)
	s_add_i32 s0, s0, s15
	s_delay_alu instid0(SALU_CYCLE_1) | instskip(NEXT) | instid1(SALU_CYCLE_1)
	s_lshl_b64 s[0:1], s[0:1], 2
	s_add_u32 s0, s38, s0
	s_addc_u32 s1, s39, s1
	s_and_b32 vcc_lo, exec_lo, s35
	s_load_b32 s14, s[0:1], 0x0
	s_cbranch_vccz .LBB7_28
; %bb.9:
	s_waitcnt lgkmcnt(0)
	s_ashr_i32 s15, s14, 31
	v_lshrrev_b32_e32 v1, 5, v0
	s_lshl_b64 s[0:1], s[14:15], 2
	s_delay_alu instid0(SALU_CYCLE_1) | instskip(SKIP_1) | instid1(VALU_DEP_1)
	s_add_u32 s0, s16, s0
	s_addc_u32 s1, s17, s1
	v_subrev_nc_u32_e32 v1, s24, v1
	s_load_b64 s[0:1], s[0:1], 0x0
	s_waitcnt lgkmcnt(0)
	s_delay_alu instid0(VALU_DEP_1) | instskip(SKIP_2) | instid1(VALU_DEP_1)
	v_add_nc_u32_e32 v1, s0, v1
	s_sub_i32 s0, s1, s24
	s_mov_b32 s1, exec_lo
	v_cmpx_gt_i32_e64 s0, v1
	s_cbranch_execz .LBB7_27
; %bb.10:
	v_and_b32_e32 v2, 31, v0
	s_mov_b32 s2, 0
	s_delay_alu instid0(VALU_DEP_1)
	v_subrev_nc_u32_e32 v9, s25, v2
	s_branch .LBB7_12
.LBB7_11:                               ;   in Loop: Header=BB7_12 Depth=1
	s_or_b32 exec_lo, exec_lo, s3
	v_add_nc_u32_e32 v1, 16, v1
	s_delay_alu instid0(VALU_DEP_1) | instskip(SKIP_1) | instid1(SALU_CYCLE_1)
	v_cmp_le_i32_e32 vcc_lo, s0, v1
	s_or_b32 s2, vcc_lo, s2
	s_and_not1_b32 exec_lo, exec_lo, s2
	s_cbranch_execz .LBB7_27
.LBB7_12:                               ; =>This Loop Header: Depth=1
                                        ;     Child Loop BB7_15 Depth 2
                                        ;       Child Loop BB7_17 Depth 3
	v_ashrrev_i32_e32 v2, 31, v1
	s_mov_b32 s3, exec_lo
	s_delay_alu instid0(VALU_DEP_1) | instskip(NEXT) | instid1(VALU_DEP_1)
	v_lshlrev_b64 v[3:4], 2, v[1:2]
	v_add_co_u32 v10, vcc_lo, s18, v3
	s_delay_alu instid0(VALU_DEP_2) | instskip(SKIP_3) | instid1(VALU_DEP_1)
	v_add_co_ci_u32_e32 v11, vcc_lo, s19, v4, vcc_lo
	global_load_b32 v2, v[10:11], off
	s_waitcnt vmcnt(0)
	v_subrev_nc_u32_e32 v10, s24, v2
	v_ashrrev_i32_e32 v11, 31, v10
	s_delay_alu instid0(VALU_DEP_1) | instskip(NEXT) | instid1(VALU_DEP_1)
	v_lshlrev_b64 v[10:11], 2, v[10:11]
	v_add_co_u32 v10, vcc_lo, s22, v10
	s_delay_alu instid0(VALU_DEP_2) | instskip(SKIP_4) | instid1(VALU_DEP_1)
	v_add_co_ci_u32_e32 v11, vcc_lo, s23, v11, vcc_lo
	global_load_b64 v[11:12], v[10:11], off
	s_waitcnt vmcnt(0)
	v_subrev_nc_u32_e32 v10, s25, v12
	v_add_nc_u32_e32 v2, v11, v9
	v_cmpx_lt_i32_e64 v2, v10
	s_cbranch_execz .LBB7_11
; %bb.13:                               ;   in Loop: Header=BB7_12 Depth=1
	v_add_co_u32 v3, vcc_lo, s20, v3
	v_add_co_ci_u32_e32 v4, vcc_lo, s21, v4, vcc_lo
	s_mov_b32 s15, 0
	global_load_b32 v3, v[3:4], off
	s_waitcnt vmcnt(0)
	v_mul_f32_e32 v4, v8, v3
	s_branch .LBB7_15
.LBB7_14:                               ;   in Loop: Header=BB7_15 Depth=2
	s_or_b32 exec_lo, exec_lo, s16
	v_add_nc_u32_e32 v2, 32, v2
	s_delay_alu instid0(VALU_DEP_1) | instskip(SKIP_1) | instid1(SALU_CYCLE_1)
	v_cmp_ge_i32_e32 vcc_lo, v2, v10
	s_or_b32 s15, vcc_lo, s15
	s_and_not1_b32 exec_lo, exec_lo, s15
	s_cbranch_execz .LBB7_11
.LBB7_15:                               ;   Parent Loop BB7_12 Depth=1
                                        ; =>  This Loop Header: Depth=2
                                        ;       Child Loop BB7_17 Depth 3
	v_ashrrev_i32_e32 v3, 31, v2
	s_mov_b32 s16, 0
	s_delay_alu instid0(VALU_DEP_1) | instskip(NEXT) | instid1(VALU_DEP_1)
	v_lshlrev_b64 v[11:12], 2, v[2:3]
	v_add_co_u32 v13, vcc_lo, s28, v11
	s_delay_alu instid0(VALU_DEP_2)
	v_add_co_ci_u32_e32 v14, vcc_lo, s29, v12, vcc_lo
	v_add_co_u32 v11, vcc_lo, s30, v11
	v_add_co_ci_u32_e32 v12, vcc_lo, s31, v12, vcc_lo
	global_load_b32 v3, v[13:14], off
	global_load_b32 v11, v[11:12], off
	s_waitcnt vmcnt(1)
	v_subrev_nc_u32_e32 v3, s25, v3
	s_delay_alu instid0(VALU_DEP_1) | instskip(SKIP_1) | instid1(VALU_DEP_1)
	v_mul_lo_u32 v12, 0x89, v3
	s_waitcnt vmcnt(0)
	v_dual_mul_f32 v11, v4, v11 :: v_dual_and_b32 v12, 0x3ff, v12
	s_branch .LBB7_17
.LBB7_16:                               ;   in Loop: Header=BB7_17 Depth=3
	s_or_b32 exec_lo, exec_lo, s17
	s_xor_b32 s17, s35, -1
	s_delay_alu instid0(SALU_CYCLE_1) | instskip(NEXT) | instid1(SALU_CYCLE_1)
	s_and_b32 s17, exec_lo, s17
	s_or_b32 s16, s17, s16
	s_delay_alu instid0(SALU_CYCLE_1)
	s_and_not1_b32 exec_lo, exec_lo, s16
	s_cbranch_execz .LBB7_14
.LBB7_17:                               ;   Parent Loop BB7_12 Depth=1
                                        ;     Parent Loop BB7_15 Depth=2
                                        ; =>    This Inner Loop Header: Depth=3
	s_delay_alu instid0(VALU_DEP_1)
	v_lshl_add_u32 v13, v12, 2, 0
	s_mov_b32 s17, exec_lo
                                        ; implicit-def: $sgpr35
	ds_load_b32 v14, v13
	s_waitcnt lgkmcnt(0)
	v_cmpx_ne_u32_e64 v14, v3
	s_xor_b32 s17, exec_lo, s17
	s_cbranch_execz .LBB7_25
; %bb.18:                               ;   in Loop: Header=BB7_17 Depth=3
	s_mov_b32 s36, exec_lo
                                        ; implicit-def: $sgpr35
	v_cmpx_ne_u32_e64 s33, v14
	s_xor_b32 s36, exec_lo, s36
; %bb.19:                               ;   in Loop: Header=BB7_17 Depth=3
	v_add_nc_u32_e32 v12, 1, v12
	s_mov_b32 s35, -1
                                        ; implicit-def: $vgpr13
	s_delay_alu instid0(VALU_DEP_1)
	v_and_b32_e32 v12, 0x3ff, v12
; %bb.20:                               ;   in Loop: Header=BB7_17 Depth=3
	s_and_not1_saveexec_b32 s36, s36
	s_cbranch_execz .LBB7_24
; %bb.21:                               ;   in Loop: Header=BB7_17 Depth=3
	v_mov_b32_e32 v14, s33
	s_mov_b32 s37, -1
	s_mov_b32 s38, exec_lo
	ds_cmpstore_rtn_b32 v14, v13, v3, v14
	s_waitcnt lgkmcnt(0)
	v_cmpx_eq_u32_e64 s33, v14
	s_cbranch_execz .LBB7_23
; %bb.22:                               ;   in Loop: Header=BB7_17 Depth=3
	ds_add_f32 v13, v11 offset:4096
	s_xor_b32 s37, exec_lo, -1
.LBB7_23:                               ;   in Loop: Header=BB7_17 Depth=3
	s_or_b32 exec_lo, exec_lo, s38
	s_delay_alu instid0(SALU_CYCLE_1) | instskip(SKIP_1) | instid1(SALU_CYCLE_1)
	s_and_not1_b32 s35, s35, exec_lo
	s_and_b32 s37, s37, exec_lo
	s_or_b32 s35, s35, s37
.LBB7_24:                               ;   in Loop: Header=BB7_17 Depth=3
	s_or_b32 exec_lo, exec_lo, s36
	s_delay_alu instid0(SALU_CYCLE_1)
	s_and_b32 s35, s35, exec_lo
                                        ; implicit-def: $vgpr13
.LBB7_25:                               ;   in Loop: Header=BB7_17 Depth=3
	s_and_not1_saveexec_b32 s17, s17
	s_cbranch_execz .LBB7_16
; %bb.26:                               ;   in Loop: Header=BB7_17 Depth=3
	ds_add_f32 v13, v11 offset:4096
	s_and_not1_b32 s35, s35, exec_lo
	s_branch .LBB7_16
.LBB7_27:
	s_or_b32 exec_lo, exec_lo, s1
.LBB7_28:
	s_delay_alu instid0(SALU_CYCLE_1)
	s_and_not1_b32 vcc_lo, exec_lo, s34
	s_cbranch_vccnz .LBB7_45
; %bb.29:
	s_waitcnt lgkmcnt(0)
	s_ashr_i32 s15, s14, 31
	v_subrev_nc_u32_e32 v1, s27, v0
	s_lshl_b64 s[0:1], s[14:15], 2
	s_delay_alu instid0(SALU_CYCLE_1)
	s_add_u32 s0, s4, s0
	s_addc_u32 s1, s5, s1
	s_load_b64 s[0:1], s[0:1], 0x0
	s_waitcnt lgkmcnt(0)
	v_add_nc_u32_e32 v1, s0, v1
	s_sub_i32 s0, s1, s27
	s_mov_b32 s1, exec_lo
	s_delay_alu instid0(VALU_DEP_1)
	v_cmpx_gt_i32_e64 s0, v1
	s_cbranch_execz .LBB7_44
; %bb.30:
	s_mov_b32 s2, 0
	s_branch .LBB7_32
.LBB7_31:                               ;   in Loop: Header=BB7_32 Depth=1
	s_or_b32 exec_lo, exec_lo, s3
	v_add_nc_u32_e32 v1, 0x200, v1
	s_delay_alu instid0(VALU_DEP_1) | instskip(SKIP_1) | instid1(SALU_CYCLE_1)
	v_cmp_le_i32_e32 vcc_lo, s0, v1
	s_or_b32 s2, vcc_lo, s2
	s_and_not1_b32 exec_lo, exec_lo, s2
	s_cbranch_execz .LBB7_44
.LBB7_32:                               ; =>This Loop Header: Depth=1
                                        ;     Child Loop BB7_34 Depth 2
	v_ashrrev_i32_e32 v2, 31, v1
	s_mov_b32 s3, 0
	s_delay_alu instid0(VALU_DEP_1) | instskip(NEXT) | instid1(VALU_DEP_1)
	v_lshlrev_b64 v[2:3], 2, v[1:2]
	v_add_co_u32 v8, vcc_lo, s6, v2
	s_delay_alu instid0(VALU_DEP_2)
	v_add_co_ci_u32_e32 v9, vcc_lo, s7, v3, vcc_lo
	v_add_co_u32 v2, vcc_lo, s8, v2
	v_add_co_ci_u32_e32 v3, vcc_lo, s9, v3, vcc_lo
	global_load_b32 v4, v[8:9], off
	global_load_b32 v3, v[2:3], off
	s_waitcnt vmcnt(1)
	v_subrev_nc_u32_e32 v2, s27, v4
	s_delay_alu instid0(VALU_DEP_1) | instskip(SKIP_1) | instid1(VALU_DEP_1)
	v_mul_lo_u32 v4, 0x89, v2
	s_waitcnt vmcnt(0)
	v_dual_mul_f32 v3, v7, v3 :: v_dual_and_b32 v4, 0x3ff, v4
	s_branch .LBB7_34
.LBB7_33:                               ;   in Loop: Header=BB7_34 Depth=2
	s_or_b32 exec_lo, exec_lo, s4
	s_xor_b32 s4, s5, -1
	s_delay_alu instid0(SALU_CYCLE_1) | instskip(NEXT) | instid1(SALU_CYCLE_1)
	s_and_b32 s4, exec_lo, s4
	s_or_b32 s3, s4, s3
	s_delay_alu instid0(SALU_CYCLE_1)
	s_and_not1_b32 exec_lo, exec_lo, s3
	s_cbranch_execz .LBB7_31
.LBB7_34:                               ;   Parent Loop BB7_32 Depth=1
                                        ; =>  This Inner Loop Header: Depth=2
	s_delay_alu instid0(VALU_DEP_1)
	v_lshl_add_u32 v8, v4, 2, 0
	s_mov_b32 s4, exec_lo
                                        ; implicit-def: $sgpr5
	ds_load_b32 v9, v8
	s_waitcnt lgkmcnt(0)
	v_cmpx_ne_u32_e64 v9, v2
	s_xor_b32 s4, exec_lo, s4
	s_cbranch_execz .LBB7_42
; %bb.35:                               ;   in Loop: Header=BB7_34 Depth=2
	s_mov_b32 s15, exec_lo
                                        ; implicit-def: $sgpr5
	v_cmpx_ne_u32_e64 s33, v9
	s_xor_b32 s15, exec_lo, s15
; %bb.36:                               ;   in Loop: Header=BB7_34 Depth=2
	v_add_nc_u32_e32 v4, 1, v4
	s_mov_b32 s5, -1
                                        ; implicit-def: $vgpr8
	s_delay_alu instid0(VALU_DEP_1)
	v_and_b32_e32 v4, 0x3ff, v4
; %bb.37:                               ;   in Loop: Header=BB7_34 Depth=2
	s_and_not1_saveexec_b32 s15, s15
	s_cbranch_execz .LBB7_41
; %bb.38:                               ;   in Loop: Header=BB7_34 Depth=2
	v_mov_b32_e32 v9, s33
	s_mov_b32 s16, -1
	s_mov_b32 s17, exec_lo
	ds_cmpstore_rtn_b32 v9, v8, v2, v9
	s_waitcnt lgkmcnt(0)
	v_cmpx_eq_u32_e64 s33, v9
	s_cbranch_execz .LBB7_40
; %bb.39:                               ;   in Loop: Header=BB7_34 Depth=2
	ds_add_f32 v8, v3 offset:4096
	s_xor_b32 s16, exec_lo, -1
.LBB7_40:                               ;   in Loop: Header=BB7_34 Depth=2
	s_or_b32 exec_lo, exec_lo, s17
	s_delay_alu instid0(SALU_CYCLE_1) | instskip(SKIP_1) | instid1(SALU_CYCLE_1)
	s_and_not1_b32 s5, s5, exec_lo
	s_and_b32 s16, s16, exec_lo
	s_or_b32 s5, s5, s16
.LBB7_41:                               ;   in Loop: Header=BB7_34 Depth=2
	s_or_b32 exec_lo, exec_lo, s15
	s_delay_alu instid0(SALU_CYCLE_1)
	s_and_b32 s5, s5, exec_lo
                                        ; implicit-def: $vgpr8
.LBB7_42:                               ;   in Loop: Header=BB7_34 Depth=2
	s_and_not1_saveexec_b32 s4, s4
	s_cbranch_execz .LBB7_33
; %bb.43:                               ;   in Loop: Header=BB7_34 Depth=2
	ds_add_f32 v8, v3 offset:4096
	s_and_not1_b32 s5, s5, exec_lo
	s_branch .LBB7_33
.LBB7_44:
	s_or_b32 exec_lo, exec_lo, s1
.LBB7_45:
	v_mbcnt_lo_u32_b32 v1, -1, 0
	v_lshrrev_b32_e32 v2, 4, v0
	v_cmp_eq_u32_e32 vcc_lo, 0x1ff, v0
	v_cmp_lt_u32_e64 s0, 63, v0
	v_cmp_lt_u32_e64 s1, 0x7f, v0
	v_xor_b32_e32 v1, 63, v1
	v_dual_mov_b32 v8, 0 :: v_dual_and_b32 v3, 28, v2
	v_cmp_lt_u32_e64 s2, 0xbf, v0
	v_cmp_lt_u32_e64 s3, 0xff, v0
	s_delay_alu instid0(VALU_DEP_4) | instskip(NEXT) | instid1(VALU_DEP_4)
	v_lshrrev_b64 v[1:2], v1, -1
	v_dual_mov_b32 v7, 0 :: v_dual_add_nc_u32 v4, 0, v3
	v_cmp_lt_u32_e64 s4, 0x13f, v0
	v_cmp_lt_u32_e64 s5, 0x17f, v0
	;; [unrolled: 1-line block ×3, first 2 shown]
	s_mov_b32 s8, 0
	s_waitcnt lgkmcnt(0)
	s_barrier
	buffer_gl0_inv
	s_branch .LBB7_47
.LBB7_46:                               ;   in Loop: Header=BB7_47 Depth=1
	s_or_b32 exec_lo, exec_lo, s7
	s_waitcnt lgkmcnt(0)
	s_barrier
	buffer_gl0_inv
	ds_load_b32 v2, v7 offset:8220
	v_add_co_u32 v6, s7, 0x200, v6
	s_delay_alu instid0(VALU_DEP_1) | instskip(SKIP_2) | instid1(SALU_CYCLE_1)
	s_xor_b32 s7, s7, -1
	v_add_nc_u32_e32 v5, 0x800, v5
	s_and_b32 s7, exec_lo, s7
	s_or_b32 s8, s7, s8
	s_waitcnt lgkmcnt(0)
	v_add_nc_u32_e32 v8, v2, v8
	s_and_not1_b32 exec_lo, exec_lo, s8
	s_cbranch_execz .LBB7_65
.LBB7_47:                               ; =>This Inner Loop Header: Depth=1
	ds_load_2addr_stride64_b32 v[2:3], v5 offset1:16
	s_waitcnt lgkmcnt(0)
	s_barrier
	buffer_gl0_inv
	v_cmp_gt_i32_e64 s7, s33, v2
	s_delay_alu instid0(VALU_DEP_1) | instskip(NEXT) | instid1(SALU_CYCLE_1)
	s_bcnt1_i32_b32 s9, s7
	v_dual_mov_b32 v10, s9 :: v_dual_and_b32 v9, s7, v1
	s_delay_alu instid0(VALU_DEP_1)
	v_bcnt_u32_b32 v9, v9, 0
	ds_store_b32 v4, v10 offset:8192
	s_waitcnt lgkmcnt(0)
	s_barrier
	buffer_gl0_inv
	s_and_saveexec_b32 s9, s0
	s_cbranch_execnz .LBB7_56
; %bb.48:                               ;   in Loop: Header=BB7_47 Depth=1
	s_or_b32 exec_lo, exec_lo, s9
	s_and_saveexec_b32 s9, s1
	s_cbranch_execnz .LBB7_57
.LBB7_49:                               ;   in Loop: Header=BB7_47 Depth=1
	s_or_b32 exec_lo, exec_lo, s9
	s_and_saveexec_b32 s9, s2
	s_cbranch_execnz .LBB7_58
.LBB7_50:                               ;   in Loop: Header=BB7_47 Depth=1
	s_or_b32 exec_lo, exec_lo, s9
	s_and_saveexec_b32 s9, s3
	s_cbranch_execnz .LBB7_59
.LBB7_51:                               ;   in Loop: Header=BB7_47 Depth=1
	s_or_b32 exec_lo, exec_lo, s9
	s_and_saveexec_b32 s9, s4
	s_cbranch_execnz .LBB7_60
.LBB7_52:                               ;   in Loop: Header=BB7_47 Depth=1
	s_or_b32 exec_lo, exec_lo, s9
	s_and_saveexec_b32 s9, s5
	s_cbranch_execnz .LBB7_61
.LBB7_53:                               ;   in Loop: Header=BB7_47 Depth=1
	s_or_b32 exec_lo, exec_lo, s9
	s_and_saveexec_b32 s9, s6
	s_cbranch_execnz .LBB7_62
.LBB7_54:                               ;   in Loop: Header=BB7_47 Depth=1
	s_or_b32 exec_lo, exec_lo, s9
	s_and_saveexec_b32 s9, s7
	s_cbranch_execnz .LBB7_63
.LBB7_55:                               ;   in Loop: Header=BB7_47 Depth=1
	s_or_b32 exec_lo, exec_lo, s9
	s_and_saveexec_b32 s7, vcc_lo
	s_cbranch_execz .LBB7_46
	s_branch .LBB7_64
.LBB7_56:                               ;   in Loop: Header=BB7_47 Depth=1
	ds_load_b32 v10, v7 offset:8192
	s_waitcnt lgkmcnt(0)
	v_add_nc_u32_e32 v9, v10, v9
	s_or_b32 exec_lo, exec_lo, s9
	s_and_saveexec_b32 s9, s1
	s_cbranch_execz .LBB7_49
.LBB7_57:                               ;   in Loop: Header=BB7_47 Depth=1
	ds_load_b32 v10, v7 offset:8196
	s_waitcnt lgkmcnt(0)
	v_add_nc_u32_e32 v9, v10, v9
	s_or_b32 exec_lo, exec_lo, s9
	s_and_saveexec_b32 s9, s2
	s_cbranch_execz .LBB7_50
.LBB7_58:                               ;   in Loop: Header=BB7_47 Depth=1
	ds_load_b32 v10, v7 offset:8200
	s_waitcnt lgkmcnt(0)
	v_add_nc_u32_e32 v9, v10, v9
	s_or_b32 exec_lo, exec_lo, s9
	s_and_saveexec_b32 s9, s3
	s_cbranch_execz .LBB7_51
.LBB7_59:                               ;   in Loop: Header=BB7_47 Depth=1
	ds_load_b32 v10, v7 offset:8204
	s_waitcnt lgkmcnt(0)
	v_add_nc_u32_e32 v9, v10, v9
	s_or_b32 exec_lo, exec_lo, s9
	s_and_saveexec_b32 s9, s4
	s_cbranch_execz .LBB7_52
.LBB7_60:                               ;   in Loop: Header=BB7_47 Depth=1
	ds_load_b32 v10, v7 offset:8208
	s_waitcnt lgkmcnt(0)
	v_add_nc_u32_e32 v9, v10, v9
	s_or_b32 exec_lo, exec_lo, s9
	s_and_saveexec_b32 s9, s5
	s_cbranch_execz .LBB7_53
.LBB7_61:                               ;   in Loop: Header=BB7_47 Depth=1
	ds_load_b32 v10, v7 offset:8212
	s_waitcnt lgkmcnt(0)
	v_add_nc_u32_e32 v9, v10, v9
	s_or_b32 exec_lo, exec_lo, s9
	s_and_saveexec_b32 s9, s6
	s_cbranch_execz .LBB7_54
.LBB7_62:                               ;   in Loop: Header=BB7_47 Depth=1
	ds_load_b32 v10, v7 offset:8216
	s_waitcnt lgkmcnt(0)
	v_add_nc_u32_e32 v9, v10, v9
	s_or_b32 exec_lo, exec_lo, s9
	s_and_saveexec_b32 s9, s7
	s_cbranch_execz .LBB7_55
.LBB7_63:                               ;   in Loop: Header=BB7_47 Depth=1
	s_delay_alu instid0(VALU_DEP_1) | instskip(NEXT) | instid1(VALU_DEP_1)
	v_add3_u32 v10, v8, -1, v9
	v_lshl_add_u32 v10, v10, 2, 0
	ds_store_2addr_stride64_b32 v10, v2, v3 offset1:16
	s_or_b32 exec_lo, exec_lo, s9
	s_and_saveexec_b32 s7, vcc_lo
	s_cbranch_execz .LBB7_46
.LBB7_64:                               ;   in Loop: Header=BB7_47 Depth=1
	ds_store_b32 v7, v9 offset:8220
	s_branch .LBB7_46
.LBB7_65:
	s_or_b32 exec_lo, exec_lo, s8
	s_ashr_i32 s15, s14, 31
	s_mov_b32 s3, exec_lo
	s_lshl_b64 s[0:1], s[14:15], 2
	s_delay_alu instid0(SALU_CYCLE_1) | instskip(SKIP_4) | instid1(SALU_CYCLE_1)
	s_add_u32 s0, s10, s0
	s_addc_u32 s1, s11, s1
	s_load_b64 s[0:1], s[0:1], 0x0
	s_waitcnt lgkmcnt(0)
	s_sub_i32 s2, s1, s0
	v_cmpx_gt_i32_e64 s2, v0
	s_cbranch_execz .LBB7_75
; %bb.66:
	s_sub_i32 s3, s0, s26
	s_sub_i32 s0, s0, s1
	s_and_b32 s1, s2, 7
	s_cmp_lt_u32 s0, -7
	s_mov_b32 s7, 0
	s_cselect_b32 s4, -1, 0
	s_and_b32 s5, s2, -8
	s_cmp_lg_u32 s1, 0
	s_cselect_b32 s6, -1, 0
	s_branch .LBB7_68
.LBB7_67:                               ;   in Loop: Header=BB7_68 Depth=1
	s_delay_alu instid0(VALU_DEP_1) | instskip(SKIP_1) | instid1(VALU_DEP_2)
	v_ashrrev_i32_e32 v4, 31, v3
	v_add_nc_u32_e32 v0, 0x200, v0
	v_lshlrev_b64 v[3:4], 2, v[3:4]
	s_delay_alu instid0(VALU_DEP_2) | instskip(SKIP_1) | instid1(VALU_DEP_2)
	v_cmp_le_i32_e32 vcc_lo, s2, v0
	s_or_b32 s7, vcc_lo, s7
	v_add_co_u32 v3, s0, s12, v3
	s_delay_alu instid0(VALU_DEP_1)
	v_add_co_ci_u32_e64 v4, s0, s13, v4, s0
	s_waitcnt lgkmcnt(0)
	global_store_b32 v[3:4], v2, off
	s_and_not1_b32 exec_lo, exec_lo, s7
	s_cbranch_execz .LBB7_75
.LBB7_68:                               ; =>This Loop Header: Depth=1
                                        ;     Child Loop BB7_70 Depth 2
                                        ;     Child Loop BB7_74 Depth 2
	v_lshl_add_u32 v1, v0, 2, 0
	v_mov_b32_e32 v3, s3
	s_and_not1_b32 vcc_lo, exec_lo, s4
	s_mov_b32 s0, 0
	ds_load_2addr_stride64_b32 v[1:2], v1 offset1:16
	s_cbranch_vccnz .LBB7_72
; %bb.69:                               ;   in Loop: Header=BB7_68 Depth=1
	v_mov_b32_e32 v3, s3
	s_mov_b32 s8, 0
	s_set_inst_prefetch_distance 0x1
	.p2align	6
.LBB7_70:                               ;   Parent Loop BB7_68 Depth=1
                                        ; =>  This Inner Loop Header: Depth=2
	v_mov_b32_e32 v10, s8
	s_add_i32 s0, s0, 8
	s_add_i32 s8, s8, 32
	s_cmp_eq_u32 s5, s0
	ds_load_2addr_b32 v[4:5], v10 offset1:1
	ds_load_2addr_b32 v[6:7], v10 offset0:2 offset1:3
	ds_load_2addr_b32 v[8:9], v10 offset0:4 offset1:5
	;; [unrolled: 1-line block ×3, first 2 shown]
	s_waitcnt lgkmcnt(3)
	v_cmp_gt_i32_e32 vcc_lo, v1, v4
	v_cndmask_b32_e64 v4, 0, 1, vcc_lo
	s_waitcnt lgkmcnt(2)
	v_cmp_gt_i32_e32 vcc_lo, v1, v6
	v_cndmask_b32_e64 v6, 0, 1, vcc_lo
	v_cmp_gt_i32_e32 vcc_lo, v1, v5
	v_add_co_ci_u32_e32 v3, vcc_lo, v3, v4, vcc_lo
	s_waitcnt lgkmcnt(1)
	v_cmp_gt_i32_e32 vcc_lo, v1, v8
	v_cndmask_b32_e64 v4, 0, 1, vcc_lo
	v_cmp_gt_i32_e32 vcc_lo, v1, v7
	v_add_co_ci_u32_e32 v3, vcc_lo, v3, v6, vcc_lo
	;; [unrolled: 5-line block ×3, first 2 shown]
	v_cmp_gt_i32_e32 vcc_lo, v1, v11
	s_delay_alu instid0(VALU_DEP_2)
	v_add_co_ci_u32_e32 v3, vcc_lo, v3, v5, vcc_lo
	s_cbranch_scc0 .LBB7_70
; %bb.71:                               ;   in Loop: Header=BB7_68 Depth=1
	s_set_inst_prefetch_distance 0x2
	s_mov_b32 s0, s5
.LBB7_72:                               ;   in Loop: Header=BB7_68 Depth=1
	s_and_not1_b32 vcc_lo, exec_lo, s6
	s_cbranch_vccnz .LBB7_67
; %bb.73:                               ;   in Loop: Header=BB7_68 Depth=1
	s_lshl_b32 s0, s0, 2
	s_mov_b32 s8, s1
	s_add_i32 s0, s0, 0
.LBB7_74:                               ;   Parent Loop BB7_68 Depth=1
                                        ; =>  This Inner Loop Header: Depth=2
	s_delay_alu instid0(SALU_CYCLE_1)
	v_mov_b32_e32 v4, s0
	s_add_i32 s8, s8, -1
	s_add_i32 s0, s0, 4
	s_cmp_lg_u32 s8, 0
	ds_load_b32 v4, v4
	s_waitcnt lgkmcnt(0)
	v_cmp_gt_i32_e32 vcc_lo, v1, v4
	v_add_co_ci_u32_e32 v3, vcc_lo, 0, v3, vcc_lo
	s_cbranch_scc1 .LBB7_74
	s_branch .LBB7_67
.LBB7_75:
	s_nop 0
	s_sendmsg sendmsg(MSG_DEALLOC_VGPRS)
	s_endpgm
	.section	.rodata,"a",@progbits
	.p2align	6, 0x0
	.amdhsa_kernel _ZN9rocsparseL41csrgemm_numeric_fill_block_per_row_kernelILj512ELj32ELj1024ELj137ELj64EiifEEvT5_PKS1_S3_NS_24const_host_device_scalarIT6_EEPKT4_S3_PKS5_S9_S3_SB_S6_S9_S3_SB_S9_S3_PS5_21rocsparse_index_base_SD_SD_SD_bbb
		.amdhsa_group_segment_fixed_size 0
		.amdhsa_private_segment_fixed_size 0
		.amdhsa_kernarg_size 156
		.amdhsa_user_sgpr_count 15
		.amdhsa_user_sgpr_dispatch_ptr 0
		.amdhsa_user_sgpr_queue_ptr 0
		.amdhsa_user_sgpr_kernarg_segment_ptr 1
		.amdhsa_user_sgpr_dispatch_id 0
		.amdhsa_user_sgpr_private_segment_size 0
		.amdhsa_wavefront_size32 1
		.amdhsa_uses_dynamic_stack 0
		.amdhsa_enable_private_segment 0
		.amdhsa_system_sgpr_workgroup_id_x 1
		.amdhsa_system_sgpr_workgroup_id_y 0
		.amdhsa_system_sgpr_workgroup_id_z 0
		.amdhsa_system_sgpr_workgroup_info 0
		.amdhsa_system_vgpr_workitem_id 0
		.amdhsa_next_free_vgpr 15
		.amdhsa_next_free_sgpr 40
		.amdhsa_reserve_vcc 1
		.amdhsa_float_round_mode_32 0
		.amdhsa_float_round_mode_16_64 0
		.amdhsa_float_denorm_mode_32 3
		.amdhsa_float_denorm_mode_16_64 3
		.amdhsa_dx10_clamp 1
		.amdhsa_ieee_mode 1
		.amdhsa_fp16_overflow 0
		.amdhsa_workgroup_processor_mode 1
		.amdhsa_memory_ordered 1
		.amdhsa_forward_progress 0
		.amdhsa_shared_vgpr_count 0
		.amdhsa_exception_fp_ieee_invalid_op 0
		.amdhsa_exception_fp_denorm_src 0
		.amdhsa_exception_fp_ieee_div_zero 0
		.amdhsa_exception_fp_ieee_overflow 0
		.amdhsa_exception_fp_ieee_underflow 0
		.amdhsa_exception_fp_ieee_inexact 0
		.amdhsa_exception_int_div_zero 0
	.end_amdhsa_kernel
	.section	.text._ZN9rocsparseL41csrgemm_numeric_fill_block_per_row_kernelILj512ELj32ELj1024ELj137ELj64EiifEEvT5_PKS1_S3_NS_24const_host_device_scalarIT6_EEPKT4_S3_PKS5_S9_S3_SB_S6_S9_S3_SB_S9_S3_PS5_21rocsparse_index_base_SD_SD_SD_bbb,"axG",@progbits,_ZN9rocsparseL41csrgemm_numeric_fill_block_per_row_kernelILj512ELj32ELj1024ELj137ELj64EiifEEvT5_PKS1_S3_NS_24const_host_device_scalarIT6_EEPKT4_S3_PKS5_S9_S3_SB_S6_S9_S3_SB_S9_S3_PS5_21rocsparse_index_base_SD_SD_SD_bbb,comdat
.Lfunc_end7:
	.size	_ZN9rocsparseL41csrgemm_numeric_fill_block_per_row_kernelILj512ELj32ELj1024ELj137ELj64EiifEEvT5_PKS1_S3_NS_24const_host_device_scalarIT6_EEPKT4_S3_PKS5_S9_S3_SB_S6_S9_S3_SB_S9_S3_PS5_21rocsparse_index_base_SD_SD_SD_bbb, .Lfunc_end7-_ZN9rocsparseL41csrgemm_numeric_fill_block_per_row_kernelILj512ELj32ELj1024ELj137ELj64EiifEEvT5_PKS1_S3_NS_24const_host_device_scalarIT6_EEPKT4_S3_PKS5_S9_S3_SB_S6_S9_S3_SB_S9_S3_PS5_21rocsparse_index_base_SD_SD_SD_bbb
                                        ; -- End function
	.section	.AMDGPU.csdata,"",@progbits
; Kernel info:
; codeLenInByte = 2612
; NumSgprs: 42
; NumVgprs: 15
; ScratchSize: 0
; MemoryBound: 0
; FloatMode: 240
; IeeeMode: 1
; LDSByteSize: 0 bytes/workgroup (compile time only)
; SGPRBlocks: 5
; VGPRBlocks: 1
; NumSGPRsForWavesPerEU: 42
; NumVGPRsForWavesPerEU: 15
; Occupancy: 16
; WaveLimiterHint : 1
; COMPUTE_PGM_RSRC2:SCRATCH_EN: 0
; COMPUTE_PGM_RSRC2:USER_SGPR: 15
; COMPUTE_PGM_RSRC2:TRAP_HANDLER: 0
; COMPUTE_PGM_RSRC2:TGID_X_EN: 1
; COMPUTE_PGM_RSRC2:TGID_Y_EN: 0
; COMPUTE_PGM_RSRC2:TGID_Z_EN: 0
; COMPUTE_PGM_RSRC2:TIDIG_COMP_CNT: 0
	.section	.text._ZN9rocsparseL41csrgemm_numeric_fill_block_per_row_kernelILj1024ELj32ELj2048ELj137ELj32EiifEEvT5_PKS1_S3_NS_24const_host_device_scalarIT6_EEPKT4_S3_PKS5_S9_S3_SB_S6_S9_S3_SB_S9_S3_PS5_21rocsparse_index_base_SD_SD_SD_bbb,"axG",@progbits,_ZN9rocsparseL41csrgemm_numeric_fill_block_per_row_kernelILj1024ELj32ELj2048ELj137ELj32EiifEEvT5_PKS1_S3_NS_24const_host_device_scalarIT6_EEPKT4_S3_PKS5_S9_S3_SB_S6_S9_S3_SB_S9_S3_PS5_21rocsparse_index_base_SD_SD_SD_bbb,comdat
	.globl	_ZN9rocsparseL41csrgemm_numeric_fill_block_per_row_kernelILj1024ELj32ELj2048ELj137ELj32EiifEEvT5_PKS1_S3_NS_24const_host_device_scalarIT6_EEPKT4_S3_PKS5_S9_S3_SB_S6_S9_S3_SB_S9_S3_PS5_21rocsparse_index_base_SD_SD_SD_bbb ; -- Begin function _ZN9rocsparseL41csrgemm_numeric_fill_block_per_row_kernelILj1024ELj32ELj2048ELj137ELj32EiifEEvT5_PKS1_S3_NS_24const_host_device_scalarIT6_EEPKT4_S3_PKS5_S9_S3_SB_S6_S9_S3_SB_S9_S3_PS5_21rocsparse_index_base_SD_SD_SD_bbb
	.p2align	8
	.type	_ZN9rocsparseL41csrgemm_numeric_fill_block_per_row_kernelILj1024ELj32ELj2048ELj137ELj32EiifEEvT5_PKS1_S3_NS_24const_host_device_scalarIT6_EEPKT4_S3_PKS5_S9_S3_SB_S6_S9_S3_SB_S9_S3_PS5_21rocsparse_index_base_SD_SD_SD_bbb,@function
_ZN9rocsparseL41csrgemm_numeric_fill_block_per_row_kernelILj1024ELj32ELj2048ELj137ELj32EiifEEvT5_PKS1_S3_NS_24const_host_device_scalarIT6_EEPKT4_S3_PKS5_S9_S3_SB_S6_S9_S3_SB_S9_S3_PS5_21rocsparse_index_base_SD_SD_SD_bbb: ; @_ZN9rocsparseL41csrgemm_numeric_fill_block_per_row_kernelILj1024ELj32ELj2048ELj137ELj32EiifEEvT5_PKS1_S3_NS_24const_host_device_scalarIT6_EEPKT4_S3_PKS5_S9_S3_SB_S6_S9_S3_SB_S9_S3_PS5_21rocsparse_index_base_SD_SD_SD_bbb
; %bb.0:
	s_clause 0x3
	s_load_b32 s12, s[0:1], 0x98
	s_load_b128 s[44:47], s[0:1], 0x88
	s_load_b64 s[4:5], s[0:1], 0x18
	s_load_b64 s[2:3], s[0:1], 0x50
	s_waitcnt lgkmcnt(0)
	s_bitcmp1_b32 s12, 0
	s_cselect_b32 s13, -1, 0
	s_bitcmp1_b32 s12, 16
	s_cselect_b32 s14, -1, 0
	s_xor_b32 s6, s13, -1
	s_delay_alu instid0(SALU_CYCLE_1) | instskip(NEXT) | instid1(SALU_CYCLE_1)
	s_or_b32 s6, s6, s14
	s_and_b32 vcc_lo, exec_lo, s6
	s_cbranch_vccnz .LBB8_2
; %bb.1:
	s_load_b32 s4, s[4:5], 0x0
	s_waitcnt lgkmcnt(0)
	v_mov_b32_e32 v9, s4
	s_branch .LBB8_3
.LBB8_2:
	v_cndmask_b32_e64 v9, 0, s4, s13
.LBB8_3:
	s_clause 0x4
	s_load_b64 s[34:35], s[0:1], 0x80
	s_load_b256 s[36:43], s[0:1], 0x58
	s_load_b128 s[16:19], s[0:1], 0x40
	s_load_b128 s[20:23], s[0:1], 0x8
	s_load_b256 s[4:11], s[0:1], 0x20
	s_bitcmp1_b32 s12, 8
	s_cselect_b32 s12, -1, 0
	s_delay_alu instid0(SALU_CYCLE_1) | instskip(NEXT) | instid1(SALU_CYCLE_1)
	s_xor_b32 s24, s12, -1
	s_or_b32 s14, s24, s14
	s_delay_alu instid0(SALU_CYCLE_1)
	s_and_b32 vcc_lo, exec_lo, s14
	s_cbranch_vccnz .LBB8_5
; %bb.4:
	s_load_b32 s2, s[2:3], 0x0
	s_waitcnt lgkmcnt(0)
	v_mov_b32_e32 v7, s2
	s_branch .LBB8_6
.LBB8_5:
	v_cndmask_b32_e64 v7, 0, s2, s12
.LBB8_6:
	s_load_b32 s33, s[0:1], 0x0
	v_lshl_add_u32 v5, v0, 2, 0
	v_or_b32_e32 v6, 0xfffffc00, v0
	v_mov_b32_e32 v1, 0
	s_mov_b32 s0, 0
	s_delay_alu instid0(VALU_DEP_3)
	v_mov_b32_e32 v2, v5
	s_waitcnt lgkmcnt(0)
	v_dual_mov_b32 v4, v6 :: v_dual_mov_b32 v3, s33
.LBB8_7:                                ; =>This Inner Loop Header: Depth=1
	s_delay_alu instid0(VALU_DEP_1) | instskip(NEXT) | instid1(VALU_DEP_1)
	v_add_co_u32 v4, s1, 0x400, v4
	s_xor_b32 s1, s1, -1
	ds_store_2addr_stride64_b32 v2, v3, v1 offset1:32
	v_add_nc_u32_e32 v2, 0x1000, v2
	s_and_b32 s1, exec_lo, s1
	s_delay_alu instid0(SALU_CYCLE_1) | instskip(NEXT) | instid1(SALU_CYCLE_1)
	s_or_b32 s0, s1, s0
	s_and_not1_b32 exec_lo, exec_lo, s0
	s_cbranch_execnz .LBB8_7
; %bb.8:
	s_or_b32 exec_lo, exec_lo, s0
	s_waitcnt lgkmcnt(0)
	s_barrier
	buffer_gl0_inv
	s_load_b32 s0, s[20:21], 0x0
	s_mov_b32 s1, 0
	v_lshrrev_b32_e32 v8, 5, v0
	s_waitcnt lgkmcnt(0)
	s_add_i32 s0, s0, s15
	s_delay_alu instid0(SALU_CYCLE_1) | instskip(NEXT) | instid1(SALU_CYCLE_1)
	s_lshl_b64 s[0:1], s[0:1], 2
	s_add_u32 s0, s22, s0
	s_addc_u32 s1, s23, s1
	s_and_b32 vcc_lo, exec_lo, s13
	s_load_b32 s48, s[0:1], 0x0
	s_cbranch_vccz .LBB8_28
; %bb.9:
	s_waitcnt lgkmcnt(0)
	s_ashr_i32 s49, s48, 31
	v_subrev_nc_u32_e32 v1, s44, v8
	s_lshl_b64 s[0:1], s[48:49], 2
	s_delay_alu instid0(SALU_CYCLE_1)
	s_add_u32 s0, s4, s0
	s_addc_u32 s1, s5, s1
	s_load_b64 s[0:1], s[0:1], 0x0
	s_waitcnt lgkmcnt(0)
	v_add_nc_u32_e32 v1, s0, v1
	s_sub_i32 s0, s1, s44
	s_mov_b32 s1, exec_lo
	s_delay_alu instid0(VALU_DEP_1)
	v_cmpx_gt_i32_e64 s0, v1
	s_cbranch_execz .LBB8_27
; %bb.10:
	v_and_b32_e32 v2, 31, v0
	s_mov_b32 s2, 0
	s_delay_alu instid0(VALU_DEP_1)
	v_subrev_nc_u32_e32 v10, s45, v2
	s_branch .LBB8_12
.LBB8_11:                               ;   in Loop: Header=BB8_12 Depth=1
	s_or_b32 exec_lo, exec_lo, s3
	v_add_nc_u32_e32 v1, 32, v1
	s_delay_alu instid0(VALU_DEP_1) | instskip(SKIP_1) | instid1(SALU_CYCLE_1)
	v_cmp_le_i32_e32 vcc_lo, s0, v1
	s_or_b32 s2, vcc_lo, s2
	s_and_not1_b32 exec_lo, exec_lo, s2
	s_cbranch_execz .LBB8_27
.LBB8_12:                               ; =>This Loop Header: Depth=1
                                        ;     Child Loop BB8_15 Depth 2
                                        ;       Child Loop BB8_17 Depth 3
	v_ashrrev_i32_e32 v2, 31, v1
	s_mov_b32 s3, exec_lo
	s_delay_alu instid0(VALU_DEP_1) | instskip(NEXT) | instid1(VALU_DEP_1)
	v_lshlrev_b64 v[3:4], 2, v[1:2]
	v_add_co_u32 v11, vcc_lo, s6, v3
	s_delay_alu instid0(VALU_DEP_2) | instskip(SKIP_3) | instid1(VALU_DEP_1)
	v_add_co_ci_u32_e32 v12, vcc_lo, s7, v4, vcc_lo
	global_load_b32 v2, v[11:12], off
	s_waitcnt vmcnt(0)
	v_subrev_nc_u32_e32 v11, s44, v2
	v_ashrrev_i32_e32 v12, 31, v11
	s_delay_alu instid0(VALU_DEP_1) | instskip(NEXT) | instid1(VALU_DEP_1)
	v_lshlrev_b64 v[11:12], 2, v[11:12]
	v_add_co_u32 v11, vcc_lo, s10, v11
	s_delay_alu instid0(VALU_DEP_2) | instskip(SKIP_4) | instid1(VALU_DEP_1)
	v_add_co_ci_u32_e32 v12, vcc_lo, s11, v12, vcc_lo
	global_load_b64 v[12:13], v[11:12], off
	s_waitcnt vmcnt(0)
	v_subrev_nc_u32_e32 v11, s45, v13
	v_add_nc_u32_e32 v2, v12, v10
	v_cmpx_lt_i32_e64 v2, v11
	s_cbranch_execz .LBB8_11
; %bb.13:                               ;   in Loop: Header=BB8_12 Depth=1
	v_add_co_u32 v3, vcc_lo, s8, v3
	v_add_co_ci_u32_e32 v4, vcc_lo, s9, v4, vcc_lo
	s_mov_b32 s4, 0
	global_load_b32 v3, v[3:4], off
	s_waitcnt vmcnt(0)
	v_mul_f32_e32 v4, v9, v3
	s_branch .LBB8_15
.LBB8_14:                               ;   in Loop: Header=BB8_15 Depth=2
	s_or_b32 exec_lo, exec_lo, s5
	v_add_nc_u32_e32 v2, 32, v2
	s_delay_alu instid0(VALU_DEP_1) | instskip(SKIP_1) | instid1(SALU_CYCLE_1)
	v_cmp_ge_i32_e32 vcc_lo, v2, v11
	s_or_b32 s4, vcc_lo, s4
	s_and_not1_b32 exec_lo, exec_lo, s4
	s_cbranch_execz .LBB8_11
.LBB8_15:                               ;   Parent Loop BB8_12 Depth=1
                                        ; =>  This Loop Header: Depth=2
                                        ;       Child Loop BB8_17 Depth 3
	v_ashrrev_i32_e32 v3, 31, v2
	s_mov_b32 s5, 0
	s_delay_alu instid0(VALU_DEP_1) | instskip(NEXT) | instid1(VALU_DEP_1)
	v_lshlrev_b64 v[12:13], 2, v[2:3]
	v_add_co_u32 v14, vcc_lo, s16, v12
	s_delay_alu instid0(VALU_DEP_2)
	v_add_co_ci_u32_e32 v15, vcc_lo, s17, v13, vcc_lo
	v_add_co_u32 v12, vcc_lo, s18, v12
	v_add_co_ci_u32_e32 v13, vcc_lo, s19, v13, vcc_lo
	global_load_b32 v3, v[14:15], off
	global_load_b32 v12, v[12:13], off
	s_waitcnt vmcnt(1)
	v_subrev_nc_u32_e32 v3, s45, v3
	s_delay_alu instid0(VALU_DEP_1) | instskip(SKIP_1) | instid1(VALU_DEP_1)
	v_mul_lo_u32 v13, 0x89, v3
	s_waitcnt vmcnt(0)
	v_dual_mul_f32 v12, v4, v12 :: v_dual_and_b32 v13, 0x7ff, v13
	s_branch .LBB8_17
.LBB8_16:                               ;   in Loop: Header=BB8_17 Depth=3
	s_or_b32 exec_lo, exec_lo, s13
	s_xor_b32 s13, s14, -1
	s_delay_alu instid0(SALU_CYCLE_1) | instskip(NEXT) | instid1(SALU_CYCLE_1)
	s_and_b32 s13, exec_lo, s13
	s_or_b32 s5, s13, s5
	s_delay_alu instid0(SALU_CYCLE_1)
	s_and_not1_b32 exec_lo, exec_lo, s5
	s_cbranch_execz .LBB8_14
.LBB8_17:                               ;   Parent Loop BB8_12 Depth=1
                                        ;     Parent Loop BB8_15 Depth=2
                                        ; =>    This Inner Loop Header: Depth=3
	s_delay_alu instid0(VALU_DEP_1)
	v_lshl_add_u32 v14, v13, 2, 0
	s_mov_b32 s13, exec_lo
                                        ; implicit-def: $sgpr14
	ds_load_b32 v15, v14
	s_waitcnt lgkmcnt(0)
	v_cmpx_ne_u32_e64 v15, v3
	s_xor_b32 s13, exec_lo, s13
	s_cbranch_execz .LBB8_25
; %bb.18:                               ;   in Loop: Header=BB8_17 Depth=3
	s_mov_b32 s15, exec_lo
                                        ; implicit-def: $sgpr14
	v_cmpx_ne_u32_e64 s33, v15
	s_xor_b32 s15, exec_lo, s15
; %bb.19:                               ;   in Loop: Header=BB8_17 Depth=3
	v_add_nc_u32_e32 v13, 1, v13
	s_mov_b32 s14, -1
                                        ; implicit-def: $vgpr14
	s_delay_alu instid0(VALU_DEP_1)
	v_and_b32_e32 v13, 0x7ff, v13
; %bb.20:                               ;   in Loop: Header=BB8_17 Depth=3
	s_and_not1_saveexec_b32 s15, s15
	s_cbranch_execz .LBB8_24
; %bb.21:                               ;   in Loop: Header=BB8_17 Depth=3
	v_mov_b32_e32 v15, s33
	s_mov_b32 s20, -1
	s_mov_b32 s21, exec_lo
	ds_cmpstore_rtn_b32 v15, v14, v3, v15
	s_waitcnt lgkmcnt(0)
	v_cmpx_eq_u32_e64 s33, v15
	s_cbranch_execz .LBB8_23
; %bb.22:                               ;   in Loop: Header=BB8_17 Depth=3
	ds_add_f32 v14, v12 offset:8192
	s_xor_b32 s20, exec_lo, -1
.LBB8_23:                               ;   in Loop: Header=BB8_17 Depth=3
	s_or_b32 exec_lo, exec_lo, s21
	s_delay_alu instid0(SALU_CYCLE_1) | instskip(SKIP_1) | instid1(SALU_CYCLE_1)
	s_and_not1_b32 s14, s14, exec_lo
	s_and_b32 s20, s20, exec_lo
	s_or_b32 s14, s14, s20
.LBB8_24:                               ;   in Loop: Header=BB8_17 Depth=3
	s_or_b32 exec_lo, exec_lo, s15
	s_delay_alu instid0(SALU_CYCLE_1)
	s_and_b32 s14, s14, exec_lo
                                        ; implicit-def: $vgpr14
.LBB8_25:                               ;   in Loop: Header=BB8_17 Depth=3
	s_and_not1_saveexec_b32 s13, s13
	s_cbranch_execz .LBB8_16
; %bb.26:                               ;   in Loop: Header=BB8_17 Depth=3
	ds_add_f32 v14, v12 offset:8192
	s_and_not1_b32 s14, s14, exec_lo
	s_branch .LBB8_16
.LBB8_27:
	s_or_b32 exec_lo, exec_lo, s1
.LBB8_28:
	s_delay_alu instid0(SALU_CYCLE_1)
	s_and_not1_b32 vcc_lo, exec_lo, s12
	s_cbranch_vccnz .LBB8_45
; %bb.29:
	s_waitcnt lgkmcnt(0)
	s_ashr_i32 s49, s48, 31
	v_subrev_nc_u32_e32 v1, s47, v0
	s_lshl_b64 s[0:1], s[48:49], 2
	s_delay_alu instid0(SALU_CYCLE_1)
	s_add_u32 s0, s36, s0
	s_addc_u32 s1, s37, s1
	s_load_b64 s[0:1], s[0:1], 0x0
	s_waitcnt lgkmcnt(0)
	v_add_nc_u32_e32 v1, s0, v1
	s_sub_i32 s0, s1, s47
	s_mov_b32 s1, exec_lo
	s_delay_alu instid0(VALU_DEP_1)
	v_cmpx_gt_i32_e64 s0, v1
	s_cbranch_execz .LBB8_44
; %bb.30:
	s_mov_b32 s2, 0
	s_branch .LBB8_32
.LBB8_31:                               ;   in Loop: Header=BB8_32 Depth=1
	s_or_b32 exec_lo, exec_lo, s3
	v_add_nc_u32_e32 v1, 0x400, v1
	s_delay_alu instid0(VALU_DEP_1) | instskip(SKIP_1) | instid1(SALU_CYCLE_1)
	v_cmp_le_i32_e32 vcc_lo, s0, v1
	s_or_b32 s2, vcc_lo, s2
	s_and_not1_b32 exec_lo, exec_lo, s2
	s_cbranch_execz .LBB8_44
.LBB8_32:                               ; =>This Loop Header: Depth=1
                                        ;     Child Loop BB8_34 Depth 2
	v_ashrrev_i32_e32 v2, 31, v1
	s_mov_b32 s3, 0
	s_delay_alu instid0(VALU_DEP_1) | instskip(NEXT) | instid1(VALU_DEP_1)
	v_lshlrev_b64 v[2:3], 2, v[1:2]
	v_add_co_u32 v9, vcc_lo, s38, v2
	s_delay_alu instid0(VALU_DEP_2)
	v_add_co_ci_u32_e32 v10, vcc_lo, s39, v3, vcc_lo
	v_add_co_u32 v2, vcc_lo, s40, v2
	v_add_co_ci_u32_e32 v3, vcc_lo, s41, v3, vcc_lo
	global_load_b32 v4, v[9:10], off
	global_load_b32 v3, v[2:3], off
	s_waitcnt vmcnt(1)
	v_subrev_nc_u32_e32 v2, s47, v4
	s_delay_alu instid0(VALU_DEP_1) | instskip(SKIP_1) | instid1(VALU_DEP_1)
	v_mul_lo_u32 v4, 0x89, v2
	s_waitcnt vmcnt(0)
	v_dual_mul_f32 v3, v7, v3 :: v_dual_and_b32 v4, 0x7ff, v4
	s_branch .LBB8_34
.LBB8_33:                               ;   in Loop: Header=BB8_34 Depth=2
	s_or_b32 exec_lo, exec_lo, s4
	s_xor_b32 s4, s5, -1
	s_delay_alu instid0(SALU_CYCLE_1) | instskip(NEXT) | instid1(SALU_CYCLE_1)
	s_and_b32 s4, exec_lo, s4
	s_or_b32 s3, s4, s3
	s_delay_alu instid0(SALU_CYCLE_1)
	s_and_not1_b32 exec_lo, exec_lo, s3
	s_cbranch_execz .LBB8_31
.LBB8_34:                               ;   Parent Loop BB8_32 Depth=1
                                        ; =>  This Inner Loop Header: Depth=2
	s_delay_alu instid0(VALU_DEP_1)
	v_lshl_add_u32 v9, v4, 2, 0
	s_mov_b32 s4, exec_lo
                                        ; implicit-def: $sgpr5
	ds_load_b32 v10, v9
	s_waitcnt lgkmcnt(0)
	v_cmpx_ne_u32_e64 v10, v2
	s_xor_b32 s4, exec_lo, s4
	s_cbranch_execz .LBB8_42
; %bb.35:                               ;   in Loop: Header=BB8_34 Depth=2
	s_mov_b32 s6, exec_lo
                                        ; implicit-def: $sgpr5
	v_cmpx_ne_u32_e64 s33, v10
	s_xor_b32 s6, exec_lo, s6
; %bb.36:                               ;   in Loop: Header=BB8_34 Depth=2
	v_add_nc_u32_e32 v4, 1, v4
	s_mov_b32 s5, -1
                                        ; implicit-def: $vgpr9
	s_delay_alu instid0(VALU_DEP_1)
	v_and_b32_e32 v4, 0x7ff, v4
; %bb.37:                               ;   in Loop: Header=BB8_34 Depth=2
	s_and_not1_saveexec_b32 s6, s6
	s_cbranch_execz .LBB8_41
; %bb.38:                               ;   in Loop: Header=BB8_34 Depth=2
	v_mov_b32_e32 v10, s33
	s_mov_b32 s7, -1
	s_mov_b32 s8, exec_lo
	ds_cmpstore_rtn_b32 v10, v9, v2, v10
	s_waitcnt lgkmcnt(0)
	v_cmpx_eq_u32_e64 s33, v10
	s_cbranch_execz .LBB8_40
; %bb.39:                               ;   in Loop: Header=BB8_34 Depth=2
	ds_add_f32 v9, v3 offset:8192
	s_xor_b32 s7, exec_lo, -1
.LBB8_40:                               ;   in Loop: Header=BB8_34 Depth=2
	s_or_b32 exec_lo, exec_lo, s8
	s_delay_alu instid0(SALU_CYCLE_1) | instskip(SKIP_1) | instid1(SALU_CYCLE_1)
	s_and_not1_b32 s5, s5, exec_lo
	s_and_b32 s7, s7, exec_lo
	s_or_b32 s5, s5, s7
.LBB8_41:                               ;   in Loop: Header=BB8_34 Depth=2
	s_or_b32 exec_lo, exec_lo, s6
	s_delay_alu instid0(SALU_CYCLE_1)
	s_and_b32 s5, s5, exec_lo
                                        ; implicit-def: $vgpr9
.LBB8_42:                               ;   in Loop: Header=BB8_34 Depth=2
	s_and_not1_saveexec_b32 s4, s4
	s_cbranch_execz .LBB8_33
; %bb.43:                               ;   in Loop: Header=BB8_34 Depth=2
	ds_add_f32 v9, v3 offset:8192
	s_and_not1_b32 s5, s5, exec_lo
	s_branch .LBB8_33
.LBB8_44:
	s_or_b32 exec_lo, exec_lo, s1
.LBB8_45:
	v_mbcnt_lo_u32_b32 v1, -1, 0
	v_lshl_add_u32 v4, v8, 2, 0
	v_cmp_eq_u32_e32 vcc_lo, 0x3ff, v0
	v_cmp_lt_u32_e64 s0, 31, v0
	v_cmp_lt_u32_e64 s1, 63, v0
	v_xor_b32_e32 v1, 63, v1
	v_cmp_lt_u32_e64 s2, 0x5f, v0
	v_cmp_lt_u32_e64 s3, 0x7f, v0
	;; [unrolled: 1-line block ×4, first 2 shown]
	v_lshrrev_b64 v[1:2], v1, -1
	v_cmp_lt_u32_e64 s6, 0xdf, v0
	v_cmp_lt_u32_e64 s7, 0xff, v0
	;; [unrolled: 1-line block ×25, first 2 shown]
	v_dual_mov_b32 v7, 0 :: v_dual_mov_b32 v8, 0
	s_mov_b32 s36, 0
	s_waitcnt lgkmcnt(0)
	s_barrier
	buffer_gl0_inv
	s_branch .LBB8_47
.LBB8_46:                               ;   in Loop: Header=BB8_47 Depth=1
	s_or_b32 exec_lo, exec_lo, s31
	s_waitcnt lgkmcnt(0)
	s_barrier
	buffer_gl0_inv
	ds_load_b32 v2, v7 offset:16508
	v_add_co_u32 v6, s31, 0x400, v6
	s_delay_alu instid0(VALU_DEP_1) | instskip(SKIP_2) | instid1(SALU_CYCLE_1)
	s_xor_b32 s31, s31, -1
	v_add_nc_u32_e32 v5, 0x1000, v5
	s_and_b32 s31, exec_lo, s31
	s_or_b32 s36, s31, s36
	s_waitcnt lgkmcnt(0)
	v_add_nc_u32_e32 v8, v2, v8
	s_and_not1_b32 exec_lo, exec_lo, s36
	s_cbranch_execz .LBB8_113
.LBB8_47:                               ; =>This Inner Loop Header: Depth=1
	ds_load_2addr_stride64_b32 v[2:3], v5 offset1:32
	s_waitcnt lgkmcnt(0)
	s_barrier
	buffer_gl0_inv
	v_cmp_gt_i32_e64 s31, s33, v2
	s_delay_alu instid0(VALU_DEP_1) | instskip(NEXT) | instid1(SALU_CYCLE_1)
	s_bcnt1_i32_b32 s37, s31
	v_dual_mov_b32 v10, s37 :: v_dual_and_b32 v9, s31, v1
	s_delay_alu instid0(VALU_DEP_1)
	v_bcnt_u32_b32 v9, v9, 0
	ds_store_b32 v4, v10 offset:16384
	s_waitcnt lgkmcnt(0)
	s_barrier
	buffer_gl0_inv
	s_and_saveexec_b32 s37, s0
	s_cbranch_execnz .LBB8_80
; %bb.48:                               ;   in Loop: Header=BB8_47 Depth=1
	s_or_b32 exec_lo, exec_lo, s37
	s_and_saveexec_b32 s37, s1
	s_cbranch_execnz .LBB8_81
.LBB8_49:                               ;   in Loop: Header=BB8_47 Depth=1
	s_or_b32 exec_lo, exec_lo, s37
	s_and_saveexec_b32 s37, s2
	s_cbranch_execnz .LBB8_82
.LBB8_50:                               ;   in Loop: Header=BB8_47 Depth=1
	s_or_b32 exec_lo, exec_lo, s37
	s_and_saveexec_b32 s37, s3
	s_cbranch_execnz .LBB8_83
.LBB8_51:                               ;   in Loop: Header=BB8_47 Depth=1
	s_or_b32 exec_lo, exec_lo, s37
	s_and_saveexec_b32 s37, s4
	s_cbranch_execnz .LBB8_84
.LBB8_52:                               ;   in Loop: Header=BB8_47 Depth=1
	s_or_b32 exec_lo, exec_lo, s37
	s_and_saveexec_b32 s37, s5
	s_cbranch_execnz .LBB8_85
.LBB8_53:                               ;   in Loop: Header=BB8_47 Depth=1
	s_or_b32 exec_lo, exec_lo, s37
	s_and_saveexec_b32 s37, s6
	s_cbranch_execnz .LBB8_86
.LBB8_54:                               ;   in Loop: Header=BB8_47 Depth=1
	s_or_b32 exec_lo, exec_lo, s37
	s_and_saveexec_b32 s37, s7
	s_cbranch_execnz .LBB8_87
.LBB8_55:                               ;   in Loop: Header=BB8_47 Depth=1
	s_or_b32 exec_lo, exec_lo, s37
	s_and_saveexec_b32 s37, s8
	s_cbranch_execnz .LBB8_88
.LBB8_56:                               ;   in Loop: Header=BB8_47 Depth=1
	s_or_b32 exec_lo, exec_lo, s37
	s_and_saveexec_b32 s37, s9
	s_cbranch_execnz .LBB8_89
.LBB8_57:                               ;   in Loop: Header=BB8_47 Depth=1
	s_or_b32 exec_lo, exec_lo, s37
	s_and_saveexec_b32 s37, s10
	s_cbranch_execnz .LBB8_90
.LBB8_58:                               ;   in Loop: Header=BB8_47 Depth=1
	s_or_b32 exec_lo, exec_lo, s37
	s_and_saveexec_b32 s37, s11
	s_cbranch_execnz .LBB8_91
.LBB8_59:                               ;   in Loop: Header=BB8_47 Depth=1
	s_or_b32 exec_lo, exec_lo, s37
	s_and_saveexec_b32 s37, s12
	s_cbranch_execnz .LBB8_92
.LBB8_60:                               ;   in Loop: Header=BB8_47 Depth=1
	s_or_b32 exec_lo, exec_lo, s37
	s_and_saveexec_b32 s37, s13
	s_cbranch_execnz .LBB8_93
.LBB8_61:                               ;   in Loop: Header=BB8_47 Depth=1
	s_or_b32 exec_lo, exec_lo, s37
	s_and_saveexec_b32 s37, s14
	s_cbranch_execnz .LBB8_94
.LBB8_62:                               ;   in Loop: Header=BB8_47 Depth=1
	s_or_b32 exec_lo, exec_lo, s37
	s_and_saveexec_b32 s37, s15
	s_cbranch_execnz .LBB8_95
.LBB8_63:                               ;   in Loop: Header=BB8_47 Depth=1
	s_or_b32 exec_lo, exec_lo, s37
	s_and_saveexec_b32 s37, s16
	s_cbranch_execnz .LBB8_96
.LBB8_64:                               ;   in Loop: Header=BB8_47 Depth=1
	s_or_b32 exec_lo, exec_lo, s37
	s_and_saveexec_b32 s37, s17
	s_cbranch_execnz .LBB8_97
.LBB8_65:                               ;   in Loop: Header=BB8_47 Depth=1
	s_or_b32 exec_lo, exec_lo, s37
	s_and_saveexec_b32 s37, s18
	s_cbranch_execnz .LBB8_98
.LBB8_66:                               ;   in Loop: Header=BB8_47 Depth=1
	s_or_b32 exec_lo, exec_lo, s37
	s_and_saveexec_b32 s37, s19
	s_cbranch_execnz .LBB8_99
.LBB8_67:                               ;   in Loop: Header=BB8_47 Depth=1
	s_or_b32 exec_lo, exec_lo, s37
	s_and_saveexec_b32 s37, s20
	s_cbranch_execnz .LBB8_100
.LBB8_68:                               ;   in Loop: Header=BB8_47 Depth=1
	s_or_b32 exec_lo, exec_lo, s37
	s_and_saveexec_b32 s37, s21
	s_cbranch_execnz .LBB8_101
.LBB8_69:                               ;   in Loop: Header=BB8_47 Depth=1
	s_or_b32 exec_lo, exec_lo, s37
	s_and_saveexec_b32 s37, s22
	s_cbranch_execnz .LBB8_102
.LBB8_70:                               ;   in Loop: Header=BB8_47 Depth=1
	s_or_b32 exec_lo, exec_lo, s37
	s_and_saveexec_b32 s37, s23
	s_cbranch_execnz .LBB8_103
.LBB8_71:                               ;   in Loop: Header=BB8_47 Depth=1
	s_or_b32 exec_lo, exec_lo, s37
	s_and_saveexec_b32 s37, s24
	s_cbranch_execnz .LBB8_104
.LBB8_72:                               ;   in Loop: Header=BB8_47 Depth=1
	s_or_b32 exec_lo, exec_lo, s37
	s_and_saveexec_b32 s37, s25
	s_cbranch_execnz .LBB8_105
.LBB8_73:                               ;   in Loop: Header=BB8_47 Depth=1
	s_or_b32 exec_lo, exec_lo, s37
	s_and_saveexec_b32 s37, s26
	s_cbranch_execnz .LBB8_106
.LBB8_74:                               ;   in Loop: Header=BB8_47 Depth=1
	s_or_b32 exec_lo, exec_lo, s37
	s_and_saveexec_b32 s37, s27
	s_cbranch_execnz .LBB8_107
.LBB8_75:                               ;   in Loop: Header=BB8_47 Depth=1
	s_or_b32 exec_lo, exec_lo, s37
	s_and_saveexec_b32 s37, s28
	s_cbranch_execnz .LBB8_108
.LBB8_76:                               ;   in Loop: Header=BB8_47 Depth=1
	s_or_b32 exec_lo, exec_lo, s37
	s_and_saveexec_b32 s37, s29
	s_cbranch_execnz .LBB8_109
.LBB8_77:                               ;   in Loop: Header=BB8_47 Depth=1
	s_or_b32 exec_lo, exec_lo, s37
	s_and_saveexec_b32 s37, s30
	s_cbranch_execnz .LBB8_110
.LBB8_78:                               ;   in Loop: Header=BB8_47 Depth=1
	s_or_b32 exec_lo, exec_lo, s37
	s_and_saveexec_b32 s37, s31
	s_cbranch_execnz .LBB8_111
.LBB8_79:                               ;   in Loop: Header=BB8_47 Depth=1
	s_or_b32 exec_lo, exec_lo, s37
	s_and_saveexec_b32 s31, vcc_lo
	s_cbranch_execz .LBB8_46
	s_branch .LBB8_112
.LBB8_80:                               ;   in Loop: Header=BB8_47 Depth=1
	ds_load_b32 v10, v7 offset:16384
	s_waitcnt lgkmcnt(0)
	v_add_nc_u32_e32 v9, v10, v9
	s_or_b32 exec_lo, exec_lo, s37
	s_and_saveexec_b32 s37, s1
	s_cbranch_execz .LBB8_49
.LBB8_81:                               ;   in Loop: Header=BB8_47 Depth=1
	ds_load_b32 v10, v7 offset:16388
	s_waitcnt lgkmcnt(0)
	v_add_nc_u32_e32 v9, v10, v9
	s_or_b32 exec_lo, exec_lo, s37
	s_and_saveexec_b32 s37, s2
	s_cbranch_execz .LBB8_50
.LBB8_82:                               ;   in Loop: Header=BB8_47 Depth=1
	ds_load_b32 v10, v7 offset:16392
	s_waitcnt lgkmcnt(0)
	v_add_nc_u32_e32 v9, v10, v9
	s_or_b32 exec_lo, exec_lo, s37
	s_and_saveexec_b32 s37, s3
	s_cbranch_execz .LBB8_51
.LBB8_83:                               ;   in Loop: Header=BB8_47 Depth=1
	ds_load_b32 v10, v7 offset:16396
	s_waitcnt lgkmcnt(0)
	v_add_nc_u32_e32 v9, v10, v9
	s_or_b32 exec_lo, exec_lo, s37
	s_and_saveexec_b32 s37, s4
	s_cbranch_execz .LBB8_52
.LBB8_84:                               ;   in Loop: Header=BB8_47 Depth=1
	ds_load_b32 v10, v7 offset:16400
	s_waitcnt lgkmcnt(0)
	v_add_nc_u32_e32 v9, v10, v9
	s_or_b32 exec_lo, exec_lo, s37
	s_and_saveexec_b32 s37, s5
	s_cbranch_execz .LBB8_53
.LBB8_85:                               ;   in Loop: Header=BB8_47 Depth=1
	ds_load_b32 v10, v7 offset:16404
	s_waitcnt lgkmcnt(0)
	v_add_nc_u32_e32 v9, v10, v9
	s_or_b32 exec_lo, exec_lo, s37
	s_and_saveexec_b32 s37, s6
	s_cbranch_execz .LBB8_54
.LBB8_86:                               ;   in Loop: Header=BB8_47 Depth=1
	ds_load_b32 v10, v7 offset:16408
	s_waitcnt lgkmcnt(0)
	v_add_nc_u32_e32 v9, v10, v9
	s_or_b32 exec_lo, exec_lo, s37
	s_and_saveexec_b32 s37, s7
	s_cbranch_execz .LBB8_55
.LBB8_87:                               ;   in Loop: Header=BB8_47 Depth=1
	ds_load_b32 v10, v7 offset:16412
	s_waitcnt lgkmcnt(0)
	v_add_nc_u32_e32 v9, v10, v9
	s_or_b32 exec_lo, exec_lo, s37
	s_and_saveexec_b32 s37, s8
	s_cbranch_execz .LBB8_56
.LBB8_88:                               ;   in Loop: Header=BB8_47 Depth=1
	ds_load_b32 v10, v7 offset:16416
	s_waitcnt lgkmcnt(0)
	v_add_nc_u32_e32 v9, v10, v9
	s_or_b32 exec_lo, exec_lo, s37
	s_and_saveexec_b32 s37, s9
	s_cbranch_execz .LBB8_57
.LBB8_89:                               ;   in Loop: Header=BB8_47 Depth=1
	ds_load_b32 v10, v7 offset:16420
	s_waitcnt lgkmcnt(0)
	v_add_nc_u32_e32 v9, v10, v9
	s_or_b32 exec_lo, exec_lo, s37
	s_and_saveexec_b32 s37, s10
	s_cbranch_execz .LBB8_58
.LBB8_90:                               ;   in Loop: Header=BB8_47 Depth=1
	ds_load_b32 v10, v7 offset:16424
	s_waitcnt lgkmcnt(0)
	v_add_nc_u32_e32 v9, v10, v9
	s_or_b32 exec_lo, exec_lo, s37
	s_and_saveexec_b32 s37, s11
	s_cbranch_execz .LBB8_59
.LBB8_91:                               ;   in Loop: Header=BB8_47 Depth=1
	ds_load_b32 v10, v7 offset:16428
	s_waitcnt lgkmcnt(0)
	v_add_nc_u32_e32 v9, v10, v9
	s_or_b32 exec_lo, exec_lo, s37
	s_and_saveexec_b32 s37, s12
	s_cbranch_execz .LBB8_60
.LBB8_92:                               ;   in Loop: Header=BB8_47 Depth=1
	ds_load_b32 v10, v7 offset:16432
	s_waitcnt lgkmcnt(0)
	v_add_nc_u32_e32 v9, v10, v9
	s_or_b32 exec_lo, exec_lo, s37
	s_and_saveexec_b32 s37, s13
	s_cbranch_execz .LBB8_61
.LBB8_93:                               ;   in Loop: Header=BB8_47 Depth=1
	ds_load_b32 v10, v7 offset:16436
	s_waitcnt lgkmcnt(0)
	v_add_nc_u32_e32 v9, v10, v9
	s_or_b32 exec_lo, exec_lo, s37
	s_and_saveexec_b32 s37, s14
	s_cbranch_execz .LBB8_62
.LBB8_94:                               ;   in Loop: Header=BB8_47 Depth=1
	ds_load_b32 v10, v7 offset:16440
	s_waitcnt lgkmcnt(0)
	v_add_nc_u32_e32 v9, v10, v9
	s_or_b32 exec_lo, exec_lo, s37
	s_and_saveexec_b32 s37, s15
	s_cbranch_execz .LBB8_63
.LBB8_95:                               ;   in Loop: Header=BB8_47 Depth=1
	ds_load_b32 v10, v7 offset:16444
	s_waitcnt lgkmcnt(0)
	v_add_nc_u32_e32 v9, v10, v9
	s_or_b32 exec_lo, exec_lo, s37
	s_and_saveexec_b32 s37, s16
	s_cbranch_execz .LBB8_64
.LBB8_96:                               ;   in Loop: Header=BB8_47 Depth=1
	ds_load_b32 v10, v7 offset:16448
	s_waitcnt lgkmcnt(0)
	v_add_nc_u32_e32 v9, v10, v9
	s_or_b32 exec_lo, exec_lo, s37
	s_and_saveexec_b32 s37, s17
	s_cbranch_execz .LBB8_65
.LBB8_97:                               ;   in Loop: Header=BB8_47 Depth=1
	ds_load_b32 v10, v7 offset:16452
	s_waitcnt lgkmcnt(0)
	v_add_nc_u32_e32 v9, v10, v9
	s_or_b32 exec_lo, exec_lo, s37
	s_and_saveexec_b32 s37, s18
	s_cbranch_execz .LBB8_66
.LBB8_98:                               ;   in Loop: Header=BB8_47 Depth=1
	ds_load_b32 v10, v7 offset:16456
	s_waitcnt lgkmcnt(0)
	v_add_nc_u32_e32 v9, v10, v9
	s_or_b32 exec_lo, exec_lo, s37
	s_and_saveexec_b32 s37, s19
	s_cbranch_execz .LBB8_67
.LBB8_99:                               ;   in Loop: Header=BB8_47 Depth=1
	ds_load_b32 v10, v7 offset:16460
	s_waitcnt lgkmcnt(0)
	v_add_nc_u32_e32 v9, v10, v9
	s_or_b32 exec_lo, exec_lo, s37
	s_and_saveexec_b32 s37, s20
	s_cbranch_execz .LBB8_68
.LBB8_100:                              ;   in Loop: Header=BB8_47 Depth=1
	ds_load_b32 v10, v7 offset:16464
	s_waitcnt lgkmcnt(0)
	v_add_nc_u32_e32 v9, v10, v9
	s_or_b32 exec_lo, exec_lo, s37
	s_and_saveexec_b32 s37, s21
	s_cbranch_execz .LBB8_69
.LBB8_101:                              ;   in Loop: Header=BB8_47 Depth=1
	ds_load_b32 v10, v7 offset:16468
	s_waitcnt lgkmcnt(0)
	v_add_nc_u32_e32 v9, v10, v9
	s_or_b32 exec_lo, exec_lo, s37
	s_and_saveexec_b32 s37, s22
	s_cbranch_execz .LBB8_70
.LBB8_102:                              ;   in Loop: Header=BB8_47 Depth=1
	ds_load_b32 v10, v7 offset:16472
	s_waitcnt lgkmcnt(0)
	v_add_nc_u32_e32 v9, v10, v9
	s_or_b32 exec_lo, exec_lo, s37
	s_and_saveexec_b32 s37, s23
	s_cbranch_execz .LBB8_71
.LBB8_103:                              ;   in Loop: Header=BB8_47 Depth=1
	ds_load_b32 v10, v7 offset:16476
	s_waitcnt lgkmcnt(0)
	v_add_nc_u32_e32 v9, v10, v9
	s_or_b32 exec_lo, exec_lo, s37
	s_and_saveexec_b32 s37, s24
	s_cbranch_execz .LBB8_72
.LBB8_104:                              ;   in Loop: Header=BB8_47 Depth=1
	ds_load_b32 v10, v7 offset:16480
	s_waitcnt lgkmcnt(0)
	v_add_nc_u32_e32 v9, v10, v9
	s_or_b32 exec_lo, exec_lo, s37
	s_and_saveexec_b32 s37, s25
	s_cbranch_execz .LBB8_73
.LBB8_105:                              ;   in Loop: Header=BB8_47 Depth=1
	ds_load_b32 v10, v7 offset:16484
	s_waitcnt lgkmcnt(0)
	v_add_nc_u32_e32 v9, v10, v9
	s_or_b32 exec_lo, exec_lo, s37
	s_and_saveexec_b32 s37, s26
	s_cbranch_execz .LBB8_74
.LBB8_106:                              ;   in Loop: Header=BB8_47 Depth=1
	ds_load_b32 v10, v7 offset:16488
	s_waitcnt lgkmcnt(0)
	v_add_nc_u32_e32 v9, v10, v9
	s_or_b32 exec_lo, exec_lo, s37
	s_and_saveexec_b32 s37, s27
	s_cbranch_execz .LBB8_75
.LBB8_107:                              ;   in Loop: Header=BB8_47 Depth=1
	ds_load_b32 v10, v7 offset:16492
	s_waitcnt lgkmcnt(0)
	v_add_nc_u32_e32 v9, v10, v9
	s_or_b32 exec_lo, exec_lo, s37
	s_and_saveexec_b32 s37, s28
	s_cbranch_execz .LBB8_76
.LBB8_108:                              ;   in Loop: Header=BB8_47 Depth=1
	ds_load_b32 v10, v7 offset:16496
	s_waitcnt lgkmcnt(0)
	v_add_nc_u32_e32 v9, v10, v9
	s_or_b32 exec_lo, exec_lo, s37
	s_and_saveexec_b32 s37, s29
	s_cbranch_execz .LBB8_77
.LBB8_109:                              ;   in Loop: Header=BB8_47 Depth=1
	ds_load_b32 v10, v7 offset:16500
	s_waitcnt lgkmcnt(0)
	v_add_nc_u32_e32 v9, v10, v9
	s_or_b32 exec_lo, exec_lo, s37
	s_and_saveexec_b32 s37, s30
	s_cbranch_execz .LBB8_78
.LBB8_110:                              ;   in Loop: Header=BB8_47 Depth=1
	ds_load_b32 v10, v7 offset:16504
	s_waitcnt lgkmcnt(0)
	v_add_nc_u32_e32 v9, v10, v9
	s_or_b32 exec_lo, exec_lo, s37
	s_and_saveexec_b32 s37, s31
	s_cbranch_execz .LBB8_79
.LBB8_111:                              ;   in Loop: Header=BB8_47 Depth=1
	s_delay_alu instid0(VALU_DEP_1) | instskip(NEXT) | instid1(VALU_DEP_1)
	v_add3_u32 v10, v8, -1, v9
	v_lshl_add_u32 v10, v10, 2, 0
	ds_store_2addr_stride64_b32 v10, v2, v3 offset1:32
	s_or_b32 exec_lo, exec_lo, s37
	s_and_saveexec_b32 s31, vcc_lo
	s_cbranch_execz .LBB8_46
.LBB8_112:                              ;   in Loop: Header=BB8_47 Depth=1
	ds_store_b32 v7, v9 offset:16508
	s_branch .LBB8_46
.LBB8_113:
	s_or_b32 exec_lo, exec_lo, s36
	s_ashr_i32 s49, s48, 31
	s_mov_b32 s3, exec_lo
	s_lshl_b64 s[0:1], s[48:49], 2
	s_delay_alu instid0(SALU_CYCLE_1) | instskip(SKIP_4) | instid1(SALU_CYCLE_1)
	s_add_u32 s0, s42, s0
	s_addc_u32 s1, s43, s1
	s_load_b64 s[0:1], s[0:1], 0x0
	s_waitcnt lgkmcnt(0)
	s_sub_i32 s2, s1, s0
	v_cmpx_gt_i32_e64 s2, v0
	s_cbranch_execz .LBB8_123
; %bb.114:
	s_sub_i32 s3, s0, s46
	s_sub_i32 s0, s0, s1
	s_and_b32 s1, s2, 7
	s_cmp_lt_u32 s0, -7
	s_mov_b32 s7, 0
	s_cselect_b32 s4, -1, 0
	s_and_b32 s5, s2, -8
	s_cmp_lg_u32 s1, 0
	s_cselect_b32 s6, -1, 0
	s_branch .LBB8_116
.LBB8_115:                              ;   in Loop: Header=BB8_116 Depth=1
	s_delay_alu instid0(VALU_DEP_1) | instskip(SKIP_1) | instid1(VALU_DEP_2)
	v_ashrrev_i32_e32 v4, 31, v3
	v_add_nc_u32_e32 v0, 0x400, v0
	v_lshlrev_b64 v[3:4], 2, v[3:4]
	s_delay_alu instid0(VALU_DEP_2) | instskip(SKIP_1) | instid1(VALU_DEP_2)
	v_cmp_le_i32_e32 vcc_lo, s2, v0
	s_or_b32 s7, vcc_lo, s7
	v_add_co_u32 v3, s0, s34, v3
	s_delay_alu instid0(VALU_DEP_1)
	v_add_co_ci_u32_e64 v4, s0, s35, v4, s0
	s_waitcnt lgkmcnt(0)
	global_store_b32 v[3:4], v2, off
	s_and_not1_b32 exec_lo, exec_lo, s7
	s_cbranch_execz .LBB8_123
.LBB8_116:                              ; =>This Loop Header: Depth=1
                                        ;     Child Loop BB8_118 Depth 2
                                        ;     Child Loop BB8_122 Depth 2
	v_lshl_add_u32 v1, v0, 2, 0
	v_mov_b32_e32 v3, s3
	s_and_not1_b32 vcc_lo, exec_lo, s4
	s_mov_b32 s0, 0
	ds_load_2addr_stride64_b32 v[1:2], v1 offset1:32
	s_cbranch_vccnz .LBB8_120
; %bb.117:                              ;   in Loop: Header=BB8_116 Depth=1
	v_mov_b32_e32 v3, s3
	s_mov_b32 s8, 0
	s_set_inst_prefetch_distance 0x1
	.p2align	6
.LBB8_118:                              ;   Parent Loop BB8_116 Depth=1
                                        ; =>  This Inner Loop Header: Depth=2
	v_mov_b32_e32 v10, s8
	s_add_i32 s0, s0, 8
	s_add_i32 s8, s8, 32
	s_cmp_eq_u32 s5, s0
	ds_load_2addr_b32 v[4:5], v10 offset1:1
	ds_load_2addr_b32 v[6:7], v10 offset0:2 offset1:3
	ds_load_2addr_b32 v[8:9], v10 offset0:4 offset1:5
	;; [unrolled: 1-line block ×3, first 2 shown]
	s_waitcnt lgkmcnt(3)
	v_cmp_gt_i32_e32 vcc_lo, v1, v4
	v_cndmask_b32_e64 v4, 0, 1, vcc_lo
	s_waitcnt lgkmcnt(2)
	v_cmp_gt_i32_e32 vcc_lo, v1, v6
	v_cndmask_b32_e64 v6, 0, 1, vcc_lo
	v_cmp_gt_i32_e32 vcc_lo, v1, v5
	v_add_co_ci_u32_e32 v3, vcc_lo, v3, v4, vcc_lo
	s_waitcnt lgkmcnt(1)
	v_cmp_gt_i32_e32 vcc_lo, v1, v8
	v_cndmask_b32_e64 v4, 0, 1, vcc_lo
	v_cmp_gt_i32_e32 vcc_lo, v1, v7
	v_add_co_ci_u32_e32 v3, vcc_lo, v3, v6, vcc_lo
	;; [unrolled: 5-line block ×3, first 2 shown]
	v_cmp_gt_i32_e32 vcc_lo, v1, v11
	s_delay_alu instid0(VALU_DEP_2)
	v_add_co_ci_u32_e32 v3, vcc_lo, v3, v5, vcc_lo
	s_cbranch_scc0 .LBB8_118
; %bb.119:                              ;   in Loop: Header=BB8_116 Depth=1
	s_set_inst_prefetch_distance 0x2
	s_mov_b32 s0, s5
.LBB8_120:                              ;   in Loop: Header=BB8_116 Depth=1
	s_and_not1_b32 vcc_lo, exec_lo, s6
	s_cbranch_vccnz .LBB8_115
; %bb.121:                              ;   in Loop: Header=BB8_116 Depth=1
	s_lshl_b32 s0, s0, 2
	s_mov_b32 s8, s1
	s_add_i32 s0, s0, 0
.LBB8_122:                              ;   Parent Loop BB8_116 Depth=1
                                        ; =>  This Inner Loop Header: Depth=2
	s_delay_alu instid0(SALU_CYCLE_1)
	v_mov_b32_e32 v4, s0
	s_add_i32 s8, s8, -1
	s_add_i32 s0, s0, 4
	s_cmp_lg_u32 s8, 0
	ds_load_b32 v4, v4
	s_waitcnt lgkmcnt(0)
	v_cmp_gt_i32_e32 vcc_lo, v1, v4
	v_add_co_ci_u32_e32 v3, vcc_lo, 0, v3, vcc_lo
	s_cbranch_scc1 .LBB8_122
	s_branch .LBB8_115
.LBB8_123:
	s_nop 0
	s_sendmsg sendmsg(MSG_DEALLOC_VGPRS)
	s_endpgm
	.section	.rodata,"a",@progbits
	.p2align	6, 0x0
	.amdhsa_kernel _ZN9rocsparseL41csrgemm_numeric_fill_block_per_row_kernelILj1024ELj32ELj2048ELj137ELj32EiifEEvT5_PKS1_S3_NS_24const_host_device_scalarIT6_EEPKT4_S3_PKS5_S9_S3_SB_S6_S9_S3_SB_S9_S3_PS5_21rocsparse_index_base_SD_SD_SD_bbb
		.amdhsa_group_segment_fixed_size 0
		.amdhsa_private_segment_fixed_size 0
		.amdhsa_kernarg_size 156
		.amdhsa_user_sgpr_count 15
		.amdhsa_user_sgpr_dispatch_ptr 0
		.amdhsa_user_sgpr_queue_ptr 0
		.amdhsa_user_sgpr_kernarg_segment_ptr 1
		.amdhsa_user_sgpr_dispatch_id 0
		.amdhsa_user_sgpr_private_segment_size 0
		.amdhsa_wavefront_size32 1
		.amdhsa_uses_dynamic_stack 0
		.amdhsa_enable_private_segment 0
		.amdhsa_system_sgpr_workgroup_id_x 1
		.amdhsa_system_sgpr_workgroup_id_y 0
		.amdhsa_system_sgpr_workgroup_id_z 0
		.amdhsa_system_sgpr_workgroup_info 0
		.amdhsa_system_vgpr_workitem_id 0
		.amdhsa_next_free_vgpr 16
		.amdhsa_next_free_sgpr 50
		.amdhsa_reserve_vcc 1
		.amdhsa_float_round_mode_32 0
		.amdhsa_float_round_mode_16_64 0
		.amdhsa_float_denorm_mode_32 3
		.amdhsa_float_denorm_mode_16_64 3
		.amdhsa_dx10_clamp 1
		.amdhsa_ieee_mode 1
		.amdhsa_fp16_overflow 0
		.amdhsa_workgroup_processor_mode 1
		.amdhsa_memory_ordered 1
		.amdhsa_forward_progress 0
		.amdhsa_shared_vgpr_count 0
		.amdhsa_exception_fp_ieee_invalid_op 0
		.amdhsa_exception_fp_denorm_src 0
		.amdhsa_exception_fp_ieee_div_zero 0
		.amdhsa_exception_fp_ieee_overflow 0
		.amdhsa_exception_fp_ieee_underflow 0
		.amdhsa_exception_fp_ieee_inexact 0
		.amdhsa_exception_int_div_zero 0
	.end_amdhsa_kernel
	.section	.text._ZN9rocsparseL41csrgemm_numeric_fill_block_per_row_kernelILj1024ELj32ELj2048ELj137ELj32EiifEEvT5_PKS1_S3_NS_24const_host_device_scalarIT6_EEPKT4_S3_PKS5_S9_S3_SB_S6_S9_S3_SB_S9_S3_PS5_21rocsparse_index_base_SD_SD_SD_bbb,"axG",@progbits,_ZN9rocsparseL41csrgemm_numeric_fill_block_per_row_kernelILj1024ELj32ELj2048ELj137ELj32EiifEEvT5_PKS1_S3_NS_24const_host_device_scalarIT6_EEPKT4_S3_PKS5_S9_S3_SB_S6_S9_S3_SB_S9_S3_PS5_21rocsparse_index_base_SD_SD_SD_bbb,comdat
.Lfunc_end8:
	.size	_ZN9rocsparseL41csrgemm_numeric_fill_block_per_row_kernelILj1024ELj32ELj2048ELj137ELj32EiifEEvT5_PKS1_S3_NS_24const_host_device_scalarIT6_EEPKT4_S3_PKS5_S9_S3_SB_S6_S9_S3_SB_S9_S3_PS5_21rocsparse_index_base_SD_SD_SD_bbb, .Lfunc_end8-_ZN9rocsparseL41csrgemm_numeric_fill_block_per_row_kernelILj1024ELj32ELj2048ELj137ELj32EiifEEvT5_PKS1_S3_NS_24const_host_device_scalarIT6_EEPKT4_S3_PKS5_S9_S3_SB_S6_S9_S3_SB_S9_S3_PS5_21rocsparse_index_base_SD_SD_SD_bbb
                                        ; -- End function
	.section	.AMDGPU.csdata,"",@progbits
; Kernel info:
; codeLenInByte = 3848
; NumSgprs: 52
; NumVgprs: 16
; ScratchSize: 0
; MemoryBound: 0
; FloatMode: 240
; IeeeMode: 1
; LDSByteSize: 0 bytes/workgroup (compile time only)
; SGPRBlocks: 6
; VGPRBlocks: 1
; NumSGPRsForWavesPerEU: 52
; NumVGPRsForWavesPerEU: 16
; Occupancy: 16
; WaveLimiterHint : 1
; COMPUTE_PGM_RSRC2:SCRATCH_EN: 0
; COMPUTE_PGM_RSRC2:USER_SGPR: 15
; COMPUTE_PGM_RSRC2:TRAP_HANDLER: 0
; COMPUTE_PGM_RSRC2:TGID_X_EN: 1
; COMPUTE_PGM_RSRC2:TGID_Y_EN: 0
; COMPUTE_PGM_RSRC2:TGID_Z_EN: 0
; COMPUTE_PGM_RSRC2:TIDIG_COMP_CNT: 0
	.section	.text._ZN9rocsparseL41csrgemm_numeric_fill_block_per_row_kernelILj1024ELj32ELj2048ELj137ELj64EiifEEvT5_PKS1_S3_NS_24const_host_device_scalarIT6_EEPKT4_S3_PKS5_S9_S3_SB_S6_S9_S3_SB_S9_S3_PS5_21rocsparse_index_base_SD_SD_SD_bbb,"axG",@progbits,_ZN9rocsparseL41csrgemm_numeric_fill_block_per_row_kernelILj1024ELj32ELj2048ELj137ELj64EiifEEvT5_PKS1_S3_NS_24const_host_device_scalarIT6_EEPKT4_S3_PKS5_S9_S3_SB_S6_S9_S3_SB_S9_S3_PS5_21rocsparse_index_base_SD_SD_SD_bbb,comdat
	.globl	_ZN9rocsparseL41csrgemm_numeric_fill_block_per_row_kernelILj1024ELj32ELj2048ELj137ELj64EiifEEvT5_PKS1_S3_NS_24const_host_device_scalarIT6_EEPKT4_S3_PKS5_S9_S3_SB_S6_S9_S3_SB_S9_S3_PS5_21rocsparse_index_base_SD_SD_SD_bbb ; -- Begin function _ZN9rocsparseL41csrgemm_numeric_fill_block_per_row_kernelILj1024ELj32ELj2048ELj137ELj64EiifEEvT5_PKS1_S3_NS_24const_host_device_scalarIT6_EEPKT4_S3_PKS5_S9_S3_SB_S6_S9_S3_SB_S9_S3_PS5_21rocsparse_index_base_SD_SD_SD_bbb
	.p2align	8
	.type	_ZN9rocsparseL41csrgemm_numeric_fill_block_per_row_kernelILj1024ELj32ELj2048ELj137ELj64EiifEEvT5_PKS1_S3_NS_24const_host_device_scalarIT6_EEPKT4_S3_PKS5_S9_S3_SB_S6_S9_S3_SB_S9_S3_PS5_21rocsparse_index_base_SD_SD_SD_bbb,@function
_ZN9rocsparseL41csrgemm_numeric_fill_block_per_row_kernelILj1024ELj32ELj2048ELj137ELj64EiifEEvT5_PKS1_S3_NS_24const_host_device_scalarIT6_EEPKT4_S3_PKS5_S9_S3_SB_S6_S9_S3_SB_S9_S3_PS5_21rocsparse_index_base_SD_SD_SD_bbb: ; @_ZN9rocsparseL41csrgemm_numeric_fill_block_per_row_kernelILj1024ELj32ELj2048ELj137ELj64EiifEEvT5_PKS1_S3_NS_24const_host_device_scalarIT6_EEPKT4_S3_PKS5_S9_S3_SB_S6_S9_S3_SB_S9_S3_PS5_21rocsparse_index_base_SD_SD_SD_bbb
; %bb.0:
	s_clause 0x3
	s_load_b32 s12, s[0:1], 0x98
	s_load_b128 s[24:27], s[0:1], 0x88
	s_load_b64 s[4:5], s[0:1], 0x18
	s_load_b64 s[2:3], s[0:1], 0x50
	s_waitcnt lgkmcnt(0)
	s_bitcmp1_b32 s12, 0
	s_cselect_b32 s13, -1, 0
	s_bitcmp1_b32 s12, 16
	s_cselect_b32 s14, -1, 0
	s_xor_b32 s6, s13, -1
	s_delay_alu instid0(SALU_CYCLE_1) | instskip(NEXT) | instid1(SALU_CYCLE_1)
	s_or_b32 s6, s6, s14
	s_and_b32 vcc_lo, exec_lo, s6
	s_cbranch_vccnz .LBB9_2
; %bb.1:
	s_load_b32 s4, s[4:5], 0x0
	s_waitcnt lgkmcnt(0)
	v_mov_b32_e32 v8, s4
	s_branch .LBB9_3
.LBB9_2:
	v_cndmask_b32_e64 v8, 0, s4, s13
.LBB9_3:
	s_clause 0x4
	s_load_b64 s[34:35], s[0:1], 0x80
	s_load_b256 s[16:23], s[0:1], 0x58
	s_load_b128 s[28:31], s[0:1], 0x40
	s_load_b128 s[36:39], s[0:1], 0x8
	s_load_b256 s[4:11], s[0:1], 0x20
	s_bitcmp1_b32 s12, 8
	s_cselect_b32 s12, -1, 0
	s_delay_alu instid0(SALU_CYCLE_1) | instskip(NEXT) | instid1(SALU_CYCLE_1)
	s_xor_b32 s33, s12, -1
	s_or_b32 s14, s33, s14
	s_delay_alu instid0(SALU_CYCLE_1)
	s_and_b32 vcc_lo, exec_lo, s14
	s_cbranch_vccnz .LBB9_5
; %bb.4:
	s_load_b32 s2, s[2:3], 0x0
	s_waitcnt lgkmcnt(0)
	v_mov_b32_e32 v7, s2
	s_branch .LBB9_6
.LBB9_5:
	v_cndmask_b32_e64 v7, 0, s2, s12
.LBB9_6:
	s_load_b32 s33, s[0:1], 0x0
	v_lshl_add_u32 v5, v0, 2, 0
	v_or_b32_e32 v6, 0xfffffc00, v0
	v_mov_b32_e32 v1, 0
	s_mov_b32 s0, 0
	s_delay_alu instid0(VALU_DEP_3)
	v_mov_b32_e32 v2, v5
	s_waitcnt lgkmcnt(0)
	v_dual_mov_b32 v4, v6 :: v_dual_mov_b32 v3, s33
.LBB9_7:                                ; =>This Inner Loop Header: Depth=1
	s_delay_alu instid0(VALU_DEP_1) | instskip(NEXT) | instid1(VALU_DEP_1)
	v_add_co_u32 v4, s1, 0x400, v4
	s_xor_b32 s1, s1, -1
	ds_store_2addr_stride64_b32 v2, v3, v1 offset1:32
	v_add_nc_u32_e32 v2, 0x1000, v2
	s_and_b32 s1, exec_lo, s1
	s_delay_alu instid0(SALU_CYCLE_1) | instskip(NEXT) | instid1(SALU_CYCLE_1)
	s_or_b32 s0, s1, s0
	s_and_not1_b32 exec_lo, exec_lo, s0
	s_cbranch_execnz .LBB9_7
; %bb.8:
	s_or_b32 exec_lo, exec_lo, s0
	s_waitcnt lgkmcnt(0)
	s_barrier
	buffer_gl0_inv
	s_load_b32 s0, s[36:37], 0x0
	s_mov_b32 s1, 0
	s_waitcnt lgkmcnt(0)
	s_add_i32 s0, s0, s15
	s_delay_alu instid0(SALU_CYCLE_1) | instskip(NEXT) | instid1(SALU_CYCLE_1)
	s_lshl_b64 s[0:1], s[0:1], 2
	s_add_u32 s0, s38, s0
	s_addc_u32 s1, s39, s1
	s_and_b32 vcc_lo, exec_lo, s13
	s_load_b32 s36, s[0:1], 0x0
	s_cbranch_vccz .LBB9_28
; %bb.9:
	s_waitcnt lgkmcnt(0)
	s_ashr_i32 s37, s36, 31
	v_lshrrev_b32_e32 v1, 5, v0
	s_lshl_b64 s[0:1], s[36:37], 2
	s_delay_alu instid0(SALU_CYCLE_1) | instskip(SKIP_1) | instid1(VALU_DEP_1)
	s_add_u32 s0, s4, s0
	s_addc_u32 s1, s5, s1
	v_subrev_nc_u32_e32 v1, s24, v1
	s_load_b64 s[0:1], s[0:1], 0x0
	s_waitcnt lgkmcnt(0)
	s_delay_alu instid0(VALU_DEP_1) | instskip(SKIP_2) | instid1(VALU_DEP_1)
	v_add_nc_u32_e32 v1, s0, v1
	s_sub_i32 s0, s1, s24
	s_mov_b32 s1, exec_lo
	v_cmpx_gt_i32_e64 s0, v1
	s_cbranch_execz .LBB9_27
; %bb.10:
	v_and_b32_e32 v2, 31, v0
	s_mov_b32 s2, 0
	s_delay_alu instid0(VALU_DEP_1)
	v_subrev_nc_u32_e32 v9, s25, v2
	s_branch .LBB9_12
.LBB9_11:                               ;   in Loop: Header=BB9_12 Depth=1
	s_or_b32 exec_lo, exec_lo, s3
	v_add_nc_u32_e32 v1, 32, v1
	s_delay_alu instid0(VALU_DEP_1) | instskip(SKIP_1) | instid1(SALU_CYCLE_1)
	v_cmp_le_i32_e32 vcc_lo, s0, v1
	s_or_b32 s2, vcc_lo, s2
	s_and_not1_b32 exec_lo, exec_lo, s2
	s_cbranch_execz .LBB9_27
.LBB9_12:                               ; =>This Loop Header: Depth=1
                                        ;     Child Loop BB9_15 Depth 2
                                        ;       Child Loop BB9_17 Depth 3
	v_ashrrev_i32_e32 v2, 31, v1
	s_mov_b32 s3, exec_lo
	s_delay_alu instid0(VALU_DEP_1) | instskip(NEXT) | instid1(VALU_DEP_1)
	v_lshlrev_b64 v[3:4], 2, v[1:2]
	v_add_co_u32 v10, vcc_lo, s6, v3
	s_delay_alu instid0(VALU_DEP_2) | instskip(SKIP_3) | instid1(VALU_DEP_1)
	v_add_co_ci_u32_e32 v11, vcc_lo, s7, v4, vcc_lo
	global_load_b32 v2, v[10:11], off
	s_waitcnt vmcnt(0)
	v_subrev_nc_u32_e32 v10, s24, v2
	v_ashrrev_i32_e32 v11, 31, v10
	s_delay_alu instid0(VALU_DEP_1) | instskip(NEXT) | instid1(VALU_DEP_1)
	v_lshlrev_b64 v[10:11], 2, v[10:11]
	v_add_co_u32 v10, vcc_lo, s10, v10
	s_delay_alu instid0(VALU_DEP_2) | instskip(SKIP_4) | instid1(VALU_DEP_1)
	v_add_co_ci_u32_e32 v11, vcc_lo, s11, v11, vcc_lo
	global_load_b64 v[11:12], v[10:11], off
	s_waitcnt vmcnt(0)
	v_subrev_nc_u32_e32 v10, s25, v12
	v_add_nc_u32_e32 v2, v11, v9
	v_cmpx_lt_i32_e64 v2, v10
	s_cbranch_execz .LBB9_11
; %bb.13:                               ;   in Loop: Header=BB9_12 Depth=1
	v_add_co_u32 v3, vcc_lo, s8, v3
	v_add_co_ci_u32_e32 v4, vcc_lo, s9, v4, vcc_lo
	s_mov_b32 s4, 0
	global_load_b32 v3, v[3:4], off
	s_waitcnt vmcnt(0)
	v_mul_f32_e32 v4, v8, v3
	s_branch .LBB9_15
.LBB9_14:                               ;   in Loop: Header=BB9_15 Depth=2
	s_or_b32 exec_lo, exec_lo, s5
	v_add_nc_u32_e32 v2, 32, v2
	s_delay_alu instid0(VALU_DEP_1) | instskip(SKIP_1) | instid1(SALU_CYCLE_1)
	v_cmp_ge_i32_e32 vcc_lo, v2, v10
	s_or_b32 s4, vcc_lo, s4
	s_and_not1_b32 exec_lo, exec_lo, s4
	s_cbranch_execz .LBB9_11
.LBB9_15:                               ;   Parent Loop BB9_12 Depth=1
                                        ; =>  This Loop Header: Depth=2
                                        ;       Child Loop BB9_17 Depth 3
	v_ashrrev_i32_e32 v3, 31, v2
	s_mov_b32 s5, 0
	s_delay_alu instid0(VALU_DEP_1) | instskip(NEXT) | instid1(VALU_DEP_1)
	v_lshlrev_b64 v[11:12], 2, v[2:3]
	v_add_co_u32 v13, vcc_lo, s28, v11
	s_delay_alu instid0(VALU_DEP_2)
	v_add_co_ci_u32_e32 v14, vcc_lo, s29, v12, vcc_lo
	v_add_co_u32 v11, vcc_lo, s30, v11
	v_add_co_ci_u32_e32 v12, vcc_lo, s31, v12, vcc_lo
	global_load_b32 v3, v[13:14], off
	global_load_b32 v11, v[11:12], off
	s_waitcnt vmcnt(1)
	v_subrev_nc_u32_e32 v3, s25, v3
	s_delay_alu instid0(VALU_DEP_1) | instskip(SKIP_1) | instid1(VALU_DEP_1)
	v_mul_lo_u32 v12, 0x89, v3
	s_waitcnt vmcnt(0)
	v_dual_mul_f32 v11, v4, v11 :: v_dual_and_b32 v12, 0x7ff, v12
	s_branch .LBB9_17
.LBB9_16:                               ;   in Loop: Header=BB9_17 Depth=3
	s_or_b32 exec_lo, exec_lo, s13
	s_xor_b32 s13, s14, -1
	s_delay_alu instid0(SALU_CYCLE_1) | instskip(NEXT) | instid1(SALU_CYCLE_1)
	s_and_b32 s13, exec_lo, s13
	s_or_b32 s5, s13, s5
	s_delay_alu instid0(SALU_CYCLE_1)
	s_and_not1_b32 exec_lo, exec_lo, s5
	s_cbranch_execz .LBB9_14
.LBB9_17:                               ;   Parent Loop BB9_12 Depth=1
                                        ;     Parent Loop BB9_15 Depth=2
                                        ; =>    This Inner Loop Header: Depth=3
	s_delay_alu instid0(VALU_DEP_1)
	v_lshl_add_u32 v13, v12, 2, 0
	s_mov_b32 s13, exec_lo
                                        ; implicit-def: $sgpr14
	ds_load_b32 v14, v13
	s_waitcnt lgkmcnt(0)
	v_cmpx_ne_u32_e64 v14, v3
	s_xor_b32 s13, exec_lo, s13
	s_cbranch_execz .LBB9_25
; %bb.18:                               ;   in Loop: Header=BB9_17 Depth=3
	s_mov_b32 s15, exec_lo
                                        ; implicit-def: $sgpr14
	v_cmpx_ne_u32_e64 s33, v14
	s_xor_b32 s15, exec_lo, s15
; %bb.19:                               ;   in Loop: Header=BB9_17 Depth=3
	v_add_nc_u32_e32 v12, 1, v12
	s_mov_b32 s14, -1
                                        ; implicit-def: $vgpr13
	s_delay_alu instid0(VALU_DEP_1)
	v_and_b32_e32 v12, 0x7ff, v12
; %bb.20:                               ;   in Loop: Header=BB9_17 Depth=3
	s_and_not1_saveexec_b32 s15, s15
	s_cbranch_execz .LBB9_24
; %bb.21:                               ;   in Loop: Header=BB9_17 Depth=3
	v_mov_b32_e32 v14, s33
	s_mov_b32 s37, -1
	s_mov_b32 s38, exec_lo
	ds_cmpstore_rtn_b32 v14, v13, v3, v14
	s_waitcnt lgkmcnt(0)
	v_cmpx_eq_u32_e64 s33, v14
	s_cbranch_execz .LBB9_23
; %bb.22:                               ;   in Loop: Header=BB9_17 Depth=3
	ds_add_f32 v13, v11 offset:8192
	s_xor_b32 s37, exec_lo, -1
.LBB9_23:                               ;   in Loop: Header=BB9_17 Depth=3
	s_or_b32 exec_lo, exec_lo, s38
	s_delay_alu instid0(SALU_CYCLE_1) | instskip(SKIP_1) | instid1(SALU_CYCLE_1)
	s_and_not1_b32 s14, s14, exec_lo
	s_and_b32 s37, s37, exec_lo
	s_or_b32 s14, s14, s37
.LBB9_24:                               ;   in Loop: Header=BB9_17 Depth=3
	s_or_b32 exec_lo, exec_lo, s15
	s_delay_alu instid0(SALU_CYCLE_1)
	s_and_b32 s14, s14, exec_lo
                                        ; implicit-def: $vgpr13
.LBB9_25:                               ;   in Loop: Header=BB9_17 Depth=3
	s_and_not1_saveexec_b32 s13, s13
	s_cbranch_execz .LBB9_16
; %bb.26:                               ;   in Loop: Header=BB9_17 Depth=3
	ds_add_f32 v13, v11 offset:8192
	s_and_not1_b32 s14, s14, exec_lo
	s_branch .LBB9_16
.LBB9_27:
	s_or_b32 exec_lo, exec_lo, s1
.LBB9_28:
	s_delay_alu instid0(SALU_CYCLE_1)
	s_and_not1_b32 vcc_lo, exec_lo, s12
	s_cbranch_vccnz .LBB9_45
; %bb.29:
	s_waitcnt lgkmcnt(0)
	s_ashr_i32 s37, s36, 31
	v_subrev_nc_u32_e32 v1, s27, v0
	s_lshl_b64 s[0:1], s[36:37], 2
	s_delay_alu instid0(SALU_CYCLE_1)
	s_add_u32 s0, s16, s0
	s_addc_u32 s1, s17, s1
	s_load_b64 s[0:1], s[0:1], 0x0
	s_waitcnt lgkmcnt(0)
	v_add_nc_u32_e32 v1, s0, v1
	s_sub_i32 s0, s1, s27
	s_mov_b32 s1, exec_lo
	s_delay_alu instid0(VALU_DEP_1)
	v_cmpx_gt_i32_e64 s0, v1
	s_cbranch_execz .LBB9_44
; %bb.30:
	s_mov_b32 s2, 0
	s_branch .LBB9_32
.LBB9_31:                               ;   in Loop: Header=BB9_32 Depth=1
	s_or_b32 exec_lo, exec_lo, s3
	v_add_nc_u32_e32 v1, 0x400, v1
	s_delay_alu instid0(VALU_DEP_1) | instskip(SKIP_1) | instid1(SALU_CYCLE_1)
	v_cmp_le_i32_e32 vcc_lo, s0, v1
	s_or_b32 s2, vcc_lo, s2
	s_and_not1_b32 exec_lo, exec_lo, s2
	s_cbranch_execz .LBB9_44
.LBB9_32:                               ; =>This Loop Header: Depth=1
                                        ;     Child Loop BB9_34 Depth 2
	v_ashrrev_i32_e32 v2, 31, v1
	s_mov_b32 s3, 0
	s_delay_alu instid0(VALU_DEP_1) | instskip(NEXT) | instid1(VALU_DEP_1)
	v_lshlrev_b64 v[2:3], 2, v[1:2]
	v_add_co_u32 v8, vcc_lo, s18, v2
	s_delay_alu instid0(VALU_DEP_2)
	v_add_co_ci_u32_e32 v9, vcc_lo, s19, v3, vcc_lo
	v_add_co_u32 v2, vcc_lo, s20, v2
	v_add_co_ci_u32_e32 v3, vcc_lo, s21, v3, vcc_lo
	global_load_b32 v4, v[8:9], off
	global_load_b32 v3, v[2:3], off
	s_waitcnt vmcnt(1)
	v_subrev_nc_u32_e32 v2, s27, v4
	s_delay_alu instid0(VALU_DEP_1) | instskip(SKIP_1) | instid1(VALU_DEP_1)
	v_mul_lo_u32 v4, 0x89, v2
	s_waitcnt vmcnt(0)
	v_dual_mul_f32 v3, v7, v3 :: v_dual_and_b32 v4, 0x7ff, v4
	s_branch .LBB9_34
.LBB9_33:                               ;   in Loop: Header=BB9_34 Depth=2
	s_or_b32 exec_lo, exec_lo, s4
	s_xor_b32 s4, s5, -1
	s_delay_alu instid0(SALU_CYCLE_1) | instskip(NEXT) | instid1(SALU_CYCLE_1)
	s_and_b32 s4, exec_lo, s4
	s_or_b32 s3, s4, s3
	s_delay_alu instid0(SALU_CYCLE_1)
	s_and_not1_b32 exec_lo, exec_lo, s3
	s_cbranch_execz .LBB9_31
.LBB9_34:                               ;   Parent Loop BB9_32 Depth=1
                                        ; =>  This Inner Loop Header: Depth=2
	s_delay_alu instid0(VALU_DEP_1)
	v_lshl_add_u32 v8, v4, 2, 0
	s_mov_b32 s4, exec_lo
                                        ; implicit-def: $sgpr5
	ds_load_b32 v9, v8
	s_waitcnt lgkmcnt(0)
	v_cmpx_ne_u32_e64 v9, v2
	s_xor_b32 s4, exec_lo, s4
	s_cbranch_execz .LBB9_42
; %bb.35:                               ;   in Loop: Header=BB9_34 Depth=2
	s_mov_b32 s6, exec_lo
                                        ; implicit-def: $sgpr5
	v_cmpx_ne_u32_e64 s33, v9
	s_xor_b32 s6, exec_lo, s6
; %bb.36:                               ;   in Loop: Header=BB9_34 Depth=2
	v_add_nc_u32_e32 v4, 1, v4
	s_mov_b32 s5, -1
                                        ; implicit-def: $vgpr8
	s_delay_alu instid0(VALU_DEP_1)
	v_and_b32_e32 v4, 0x7ff, v4
; %bb.37:                               ;   in Loop: Header=BB9_34 Depth=2
	s_and_not1_saveexec_b32 s6, s6
	s_cbranch_execz .LBB9_41
; %bb.38:                               ;   in Loop: Header=BB9_34 Depth=2
	v_mov_b32_e32 v9, s33
	s_mov_b32 s7, -1
	s_mov_b32 s8, exec_lo
	ds_cmpstore_rtn_b32 v9, v8, v2, v9
	s_waitcnt lgkmcnt(0)
	v_cmpx_eq_u32_e64 s33, v9
	s_cbranch_execz .LBB9_40
; %bb.39:                               ;   in Loop: Header=BB9_34 Depth=2
	ds_add_f32 v8, v3 offset:8192
	s_xor_b32 s7, exec_lo, -1
.LBB9_40:                               ;   in Loop: Header=BB9_34 Depth=2
	s_or_b32 exec_lo, exec_lo, s8
	s_delay_alu instid0(SALU_CYCLE_1) | instskip(SKIP_1) | instid1(SALU_CYCLE_1)
	s_and_not1_b32 s5, s5, exec_lo
	s_and_b32 s7, s7, exec_lo
	s_or_b32 s5, s5, s7
.LBB9_41:                               ;   in Loop: Header=BB9_34 Depth=2
	s_or_b32 exec_lo, exec_lo, s6
	s_delay_alu instid0(SALU_CYCLE_1)
	s_and_b32 s5, s5, exec_lo
                                        ; implicit-def: $vgpr8
.LBB9_42:                               ;   in Loop: Header=BB9_34 Depth=2
	s_and_not1_saveexec_b32 s4, s4
	s_cbranch_execz .LBB9_33
; %bb.43:                               ;   in Loop: Header=BB9_34 Depth=2
	ds_add_f32 v8, v3 offset:8192
	s_and_not1_b32 s5, s5, exec_lo
	s_branch .LBB9_33
.LBB9_44:
	s_or_b32 exec_lo, exec_lo, s1
.LBB9_45:
	v_mbcnt_lo_u32_b32 v1, -1, 0
	v_lshrrev_b32_e32 v2, 4, v0
	v_cmp_eq_u32_e32 vcc_lo, 0x3ff, v0
	v_cmp_lt_u32_e64 s0, 63, v0
	v_cmp_lt_u32_e64 s1, 0x7f, v0
	v_xor_b32_e32 v1, 63, v1
	v_dual_mov_b32 v8, 0 :: v_dual_and_b32 v3, 60, v2
	v_cmp_lt_u32_e64 s2, 0xbf, v0
	v_cmp_lt_u32_e64 s3, 0xff, v0
	s_delay_alu instid0(VALU_DEP_4) | instskip(NEXT) | instid1(VALU_DEP_4)
	v_lshrrev_b64 v[1:2], v1, -1
	v_dual_mov_b32 v7, 0 :: v_dual_add_nc_u32 v4, 0, v3
	v_cmp_lt_u32_e64 s4, 0x13f, v0
	v_cmp_lt_u32_e64 s5, 0x17f, v0
	v_cmp_lt_u32_e64 s6, 0x1bf, v0
	v_cmp_lt_u32_e64 s7, 0x1ff, v0
	v_cmp_lt_u32_e64 s8, 0x23f, v0
	v_cmp_lt_u32_e64 s9, 0x27f, v0
	v_cmp_lt_u32_e64 s10, 0x2bf, v0
	v_cmp_lt_u32_e64 s11, 0x2ff, v0
	v_cmp_lt_u32_e64 s12, 0x33f, v0
	v_cmp_lt_u32_e64 s13, 0x37f, v0
	v_cmp_lt_u32_e64 s14, 0x3bf, v0
	s_mov_b32 s16, 0
	s_waitcnt lgkmcnt(0)
	s_barrier
	buffer_gl0_inv
	s_branch .LBB9_47
.LBB9_46:                               ;   in Loop: Header=BB9_47 Depth=1
	s_or_b32 exec_lo, exec_lo, s15
	s_waitcnt lgkmcnt(0)
	s_barrier
	buffer_gl0_inv
	ds_load_b32 v2, v7 offset:16444
	v_add_co_u32 v6, s15, 0x400, v6
	s_delay_alu instid0(VALU_DEP_1) | instskip(SKIP_2) | instid1(SALU_CYCLE_1)
	s_xor_b32 s15, s15, -1
	v_add_nc_u32_e32 v5, 0x1000, v5
	s_and_b32 s15, exec_lo, s15
	s_or_b32 s16, s15, s16
	s_waitcnt lgkmcnt(0)
	v_add_nc_u32_e32 v8, v2, v8
	s_and_not1_b32 exec_lo, exec_lo, s16
	s_cbranch_execz .LBB9_81
.LBB9_47:                               ; =>This Inner Loop Header: Depth=1
	ds_load_2addr_stride64_b32 v[2:3], v5 offset1:32
	s_waitcnt lgkmcnt(0)
	s_barrier
	buffer_gl0_inv
	v_cmp_gt_i32_e64 s15, s33, v2
	s_delay_alu instid0(VALU_DEP_1) | instskip(NEXT) | instid1(SALU_CYCLE_1)
	s_bcnt1_i32_b32 s17, s15
	v_dual_mov_b32 v10, s17 :: v_dual_and_b32 v9, s15, v1
	s_delay_alu instid0(VALU_DEP_1)
	v_bcnt_u32_b32 v9, v9, 0
	ds_store_b32 v4, v10 offset:16384
	s_waitcnt lgkmcnt(0)
	s_barrier
	buffer_gl0_inv
	s_and_saveexec_b32 s17, s0
	s_cbranch_execnz .LBB9_64
; %bb.48:                               ;   in Loop: Header=BB9_47 Depth=1
	s_or_b32 exec_lo, exec_lo, s17
	s_and_saveexec_b32 s17, s1
	s_cbranch_execnz .LBB9_65
.LBB9_49:                               ;   in Loop: Header=BB9_47 Depth=1
	s_or_b32 exec_lo, exec_lo, s17
	s_and_saveexec_b32 s17, s2
	s_cbranch_execnz .LBB9_66
.LBB9_50:                               ;   in Loop: Header=BB9_47 Depth=1
	s_or_b32 exec_lo, exec_lo, s17
	s_and_saveexec_b32 s17, s3
	s_cbranch_execnz .LBB9_67
.LBB9_51:                               ;   in Loop: Header=BB9_47 Depth=1
	s_or_b32 exec_lo, exec_lo, s17
	s_and_saveexec_b32 s17, s4
	s_cbranch_execnz .LBB9_68
.LBB9_52:                               ;   in Loop: Header=BB9_47 Depth=1
	s_or_b32 exec_lo, exec_lo, s17
	s_and_saveexec_b32 s17, s5
	s_cbranch_execnz .LBB9_69
.LBB9_53:                               ;   in Loop: Header=BB9_47 Depth=1
	s_or_b32 exec_lo, exec_lo, s17
	s_and_saveexec_b32 s17, s6
	s_cbranch_execnz .LBB9_70
.LBB9_54:                               ;   in Loop: Header=BB9_47 Depth=1
	s_or_b32 exec_lo, exec_lo, s17
	s_and_saveexec_b32 s17, s7
	s_cbranch_execnz .LBB9_71
.LBB9_55:                               ;   in Loop: Header=BB9_47 Depth=1
	s_or_b32 exec_lo, exec_lo, s17
	s_and_saveexec_b32 s17, s8
	s_cbranch_execnz .LBB9_72
.LBB9_56:                               ;   in Loop: Header=BB9_47 Depth=1
	s_or_b32 exec_lo, exec_lo, s17
	s_and_saveexec_b32 s17, s9
	s_cbranch_execnz .LBB9_73
.LBB9_57:                               ;   in Loop: Header=BB9_47 Depth=1
	s_or_b32 exec_lo, exec_lo, s17
	s_and_saveexec_b32 s17, s10
	s_cbranch_execnz .LBB9_74
.LBB9_58:                               ;   in Loop: Header=BB9_47 Depth=1
	s_or_b32 exec_lo, exec_lo, s17
	s_and_saveexec_b32 s17, s11
	s_cbranch_execnz .LBB9_75
.LBB9_59:                               ;   in Loop: Header=BB9_47 Depth=1
	s_or_b32 exec_lo, exec_lo, s17
	s_and_saveexec_b32 s17, s12
	s_cbranch_execnz .LBB9_76
.LBB9_60:                               ;   in Loop: Header=BB9_47 Depth=1
	s_or_b32 exec_lo, exec_lo, s17
	s_and_saveexec_b32 s17, s13
	s_cbranch_execnz .LBB9_77
.LBB9_61:                               ;   in Loop: Header=BB9_47 Depth=1
	s_or_b32 exec_lo, exec_lo, s17
	s_and_saveexec_b32 s17, s14
	s_cbranch_execnz .LBB9_78
.LBB9_62:                               ;   in Loop: Header=BB9_47 Depth=1
	s_or_b32 exec_lo, exec_lo, s17
	s_and_saveexec_b32 s17, s15
	s_cbranch_execnz .LBB9_79
.LBB9_63:                               ;   in Loop: Header=BB9_47 Depth=1
	s_or_b32 exec_lo, exec_lo, s17
	s_and_saveexec_b32 s15, vcc_lo
	s_cbranch_execz .LBB9_46
	s_branch .LBB9_80
.LBB9_64:                               ;   in Loop: Header=BB9_47 Depth=1
	ds_load_b32 v10, v7 offset:16384
	s_waitcnt lgkmcnt(0)
	v_add_nc_u32_e32 v9, v10, v9
	s_or_b32 exec_lo, exec_lo, s17
	s_and_saveexec_b32 s17, s1
	s_cbranch_execz .LBB9_49
.LBB9_65:                               ;   in Loop: Header=BB9_47 Depth=1
	ds_load_b32 v10, v7 offset:16388
	s_waitcnt lgkmcnt(0)
	v_add_nc_u32_e32 v9, v10, v9
	s_or_b32 exec_lo, exec_lo, s17
	s_and_saveexec_b32 s17, s2
	s_cbranch_execz .LBB9_50
.LBB9_66:                               ;   in Loop: Header=BB9_47 Depth=1
	ds_load_b32 v10, v7 offset:16392
	s_waitcnt lgkmcnt(0)
	v_add_nc_u32_e32 v9, v10, v9
	s_or_b32 exec_lo, exec_lo, s17
	s_and_saveexec_b32 s17, s3
	s_cbranch_execz .LBB9_51
.LBB9_67:                               ;   in Loop: Header=BB9_47 Depth=1
	ds_load_b32 v10, v7 offset:16396
	s_waitcnt lgkmcnt(0)
	v_add_nc_u32_e32 v9, v10, v9
	s_or_b32 exec_lo, exec_lo, s17
	s_and_saveexec_b32 s17, s4
	s_cbranch_execz .LBB9_52
.LBB9_68:                               ;   in Loop: Header=BB9_47 Depth=1
	ds_load_b32 v10, v7 offset:16400
	s_waitcnt lgkmcnt(0)
	v_add_nc_u32_e32 v9, v10, v9
	s_or_b32 exec_lo, exec_lo, s17
	s_and_saveexec_b32 s17, s5
	s_cbranch_execz .LBB9_53
.LBB9_69:                               ;   in Loop: Header=BB9_47 Depth=1
	ds_load_b32 v10, v7 offset:16404
	s_waitcnt lgkmcnt(0)
	v_add_nc_u32_e32 v9, v10, v9
	s_or_b32 exec_lo, exec_lo, s17
	s_and_saveexec_b32 s17, s6
	s_cbranch_execz .LBB9_54
.LBB9_70:                               ;   in Loop: Header=BB9_47 Depth=1
	ds_load_b32 v10, v7 offset:16408
	s_waitcnt lgkmcnt(0)
	v_add_nc_u32_e32 v9, v10, v9
	s_or_b32 exec_lo, exec_lo, s17
	s_and_saveexec_b32 s17, s7
	s_cbranch_execz .LBB9_55
.LBB9_71:                               ;   in Loop: Header=BB9_47 Depth=1
	ds_load_b32 v10, v7 offset:16412
	s_waitcnt lgkmcnt(0)
	v_add_nc_u32_e32 v9, v10, v9
	s_or_b32 exec_lo, exec_lo, s17
	s_and_saveexec_b32 s17, s8
	s_cbranch_execz .LBB9_56
.LBB9_72:                               ;   in Loop: Header=BB9_47 Depth=1
	ds_load_b32 v10, v7 offset:16416
	s_waitcnt lgkmcnt(0)
	v_add_nc_u32_e32 v9, v10, v9
	s_or_b32 exec_lo, exec_lo, s17
	s_and_saveexec_b32 s17, s9
	s_cbranch_execz .LBB9_57
.LBB9_73:                               ;   in Loop: Header=BB9_47 Depth=1
	ds_load_b32 v10, v7 offset:16420
	s_waitcnt lgkmcnt(0)
	v_add_nc_u32_e32 v9, v10, v9
	s_or_b32 exec_lo, exec_lo, s17
	s_and_saveexec_b32 s17, s10
	s_cbranch_execz .LBB9_58
.LBB9_74:                               ;   in Loop: Header=BB9_47 Depth=1
	ds_load_b32 v10, v7 offset:16424
	s_waitcnt lgkmcnt(0)
	v_add_nc_u32_e32 v9, v10, v9
	s_or_b32 exec_lo, exec_lo, s17
	s_and_saveexec_b32 s17, s11
	s_cbranch_execz .LBB9_59
.LBB9_75:                               ;   in Loop: Header=BB9_47 Depth=1
	ds_load_b32 v10, v7 offset:16428
	s_waitcnt lgkmcnt(0)
	v_add_nc_u32_e32 v9, v10, v9
	s_or_b32 exec_lo, exec_lo, s17
	s_and_saveexec_b32 s17, s12
	s_cbranch_execz .LBB9_60
.LBB9_76:                               ;   in Loop: Header=BB9_47 Depth=1
	ds_load_b32 v10, v7 offset:16432
	s_waitcnt lgkmcnt(0)
	v_add_nc_u32_e32 v9, v10, v9
	s_or_b32 exec_lo, exec_lo, s17
	s_and_saveexec_b32 s17, s13
	s_cbranch_execz .LBB9_61
.LBB9_77:                               ;   in Loop: Header=BB9_47 Depth=1
	ds_load_b32 v10, v7 offset:16436
	s_waitcnt lgkmcnt(0)
	v_add_nc_u32_e32 v9, v10, v9
	s_or_b32 exec_lo, exec_lo, s17
	s_and_saveexec_b32 s17, s14
	s_cbranch_execz .LBB9_62
.LBB9_78:                               ;   in Loop: Header=BB9_47 Depth=1
	ds_load_b32 v10, v7 offset:16440
	s_waitcnt lgkmcnt(0)
	v_add_nc_u32_e32 v9, v10, v9
	s_or_b32 exec_lo, exec_lo, s17
	s_and_saveexec_b32 s17, s15
	s_cbranch_execz .LBB9_63
.LBB9_79:                               ;   in Loop: Header=BB9_47 Depth=1
	s_delay_alu instid0(VALU_DEP_1) | instskip(NEXT) | instid1(VALU_DEP_1)
	v_add3_u32 v10, v8, -1, v9
	v_lshl_add_u32 v10, v10, 2, 0
	ds_store_2addr_stride64_b32 v10, v2, v3 offset1:32
	s_or_b32 exec_lo, exec_lo, s17
	s_and_saveexec_b32 s15, vcc_lo
	s_cbranch_execz .LBB9_46
.LBB9_80:                               ;   in Loop: Header=BB9_47 Depth=1
	ds_store_b32 v7, v9 offset:16444
	s_branch .LBB9_46
.LBB9_81:
	s_or_b32 exec_lo, exec_lo, s16
	s_ashr_i32 s37, s36, 31
	s_mov_b32 s3, exec_lo
	s_lshl_b64 s[0:1], s[36:37], 2
	s_delay_alu instid0(SALU_CYCLE_1) | instskip(SKIP_4) | instid1(SALU_CYCLE_1)
	s_add_u32 s0, s22, s0
	s_addc_u32 s1, s23, s1
	s_load_b64 s[0:1], s[0:1], 0x0
	s_waitcnt lgkmcnt(0)
	s_sub_i32 s2, s1, s0
	v_cmpx_gt_i32_e64 s2, v0
	s_cbranch_execz .LBB9_91
; %bb.82:
	s_sub_i32 s3, s0, s26
	s_sub_i32 s0, s0, s1
	s_and_b32 s1, s2, 7
	s_cmp_lt_u32 s0, -7
	s_mov_b32 s7, 0
	s_cselect_b32 s4, -1, 0
	s_and_b32 s5, s2, -8
	s_cmp_lg_u32 s1, 0
	s_cselect_b32 s6, -1, 0
	s_branch .LBB9_84
.LBB9_83:                               ;   in Loop: Header=BB9_84 Depth=1
	s_delay_alu instid0(VALU_DEP_1) | instskip(SKIP_1) | instid1(VALU_DEP_2)
	v_ashrrev_i32_e32 v4, 31, v3
	v_add_nc_u32_e32 v0, 0x400, v0
	v_lshlrev_b64 v[3:4], 2, v[3:4]
	s_delay_alu instid0(VALU_DEP_2) | instskip(SKIP_1) | instid1(VALU_DEP_2)
	v_cmp_le_i32_e32 vcc_lo, s2, v0
	s_or_b32 s7, vcc_lo, s7
	v_add_co_u32 v3, s0, s34, v3
	s_delay_alu instid0(VALU_DEP_1)
	v_add_co_ci_u32_e64 v4, s0, s35, v4, s0
	s_waitcnt lgkmcnt(0)
	global_store_b32 v[3:4], v2, off
	s_and_not1_b32 exec_lo, exec_lo, s7
	s_cbranch_execz .LBB9_91
.LBB9_84:                               ; =>This Loop Header: Depth=1
                                        ;     Child Loop BB9_86 Depth 2
                                        ;     Child Loop BB9_90 Depth 2
	v_lshl_add_u32 v1, v0, 2, 0
	v_mov_b32_e32 v3, s3
	s_and_not1_b32 vcc_lo, exec_lo, s4
	s_mov_b32 s0, 0
	ds_load_2addr_stride64_b32 v[1:2], v1 offset1:32
	s_cbranch_vccnz .LBB9_88
; %bb.85:                               ;   in Loop: Header=BB9_84 Depth=1
	v_mov_b32_e32 v3, s3
	s_mov_b32 s8, 0
	s_set_inst_prefetch_distance 0x1
	.p2align	6
.LBB9_86:                               ;   Parent Loop BB9_84 Depth=1
                                        ; =>  This Inner Loop Header: Depth=2
	v_mov_b32_e32 v10, s8
	s_add_i32 s0, s0, 8
	s_add_i32 s8, s8, 32
	s_cmp_eq_u32 s5, s0
	ds_load_2addr_b32 v[4:5], v10 offset1:1
	ds_load_2addr_b32 v[6:7], v10 offset0:2 offset1:3
	ds_load_2addr_b32 v[8:9], v10 offset0:4 offset1:5
	;; [unrolled: 1-line block ×3, first 2 shown]
	s_waitcnt lgkmcnt(3)
	v_cmp_gt_i32_e32 vcc_lo, v1, v4
	v_cndmask_b32_e64 v4, 0, 1, vcc_lo
	s_waitcnt lgkmcnt(2)
	v_cmp_gt_i32_e32 vcc_lo, v1, v6
	v_cndmask_b32_e64 v6, 0, 1, vcc_lo
	v_cmp_gt_i32_e32 vcc_lo, v1, v5
	v_add_co_ci_u32_e32 v3, vcc_lo, v3, v4, vcc_lo
	s_waitcnt lgkmcnt(1)
	v_cmp_gt_i32_e32 vcc_lo, v1, v8
	v_cndmask_b32_e64 v4, 0, 1, vcc_lo
	v_cmp_gt_i32_e32 vcc_lo, v1, v7
	v_add_co_ci_u32_e32 v3, vcc_lo, v3, v6, vcc_lo
	;; [unrolled: 5-line block ×3, first 2 shown]
	v_cmp_gt_i32_e32 vcc_lo, v1, v11
	s_delay_alu instid0(VALU_DEP_2)
	v_add_co_ci_u32_e32 v3, vcc_lo, v3, v5, vcc_lo
	s_cbranch_scc0 .LBB9_86
; %bb.87:                               ;   in Loop: Header=BB9_84 Depth=1
	s_set_inst_prefetch_distance 0x2
	s_mov_b32 s0, s5
.LBB9_88:                               ;   in Loop: Header=BB9_84 Depth=1
	s_and_not1_b32 vcc_lo, exec_lo, s6
	s_cbranch_vccnz .LBB9_83
; %bb.89:                               ;   in Loop: Header=BB9_84 Depth=1
	s_lshl_b32 s0, s0, 2
	s_mov_b32 s8, s1
	s_add_i32 s0, s0, 0
.LBB9_90:                               ;   Parent Loop BB9_84 Depth=1
                                        ; =>  This Inner Loop Header: Depth=2
	s_delay_alu instid0(SALU_CYCLE_1)
	v_mov_b32_e32 v4, s0
	s_add_i32 s8, s8, -1
	s_add_i32 s0, s0, 4
	s_cmp_lg_u32 s8, 0
	ds_load_b32 v4, v4
	s_waitcnt lgkmcnt(0)
	v_cmp_gt_i32_e32 vcc_lo, v1, v4
	v_add_co_ci_u32_e32 v3, vcc_lo, 0, v3, vcc_lo
	s_cbranch_scc1 .LBB9_90
	s_branch .LBB9_83
.LBB9_91:
	s_nop 0
	s_sendmsg sendmsg(MSG_DEALLOC_VGPRS)
	s_endpgm
	.section	.rodata,"a",@progbits
	.p2align	6, 0x0
	.amdhsa_kernel _ZN9rocsparseL41csrgemm_numeric_fill_block_per_row_kernelILj1024ELj32ELj2048ELj137ELj64EiifEEvT5_PKS1_S3_NS_24const_host_device_scalarIT6_EEPKT4_S3_PKS5_S9_S3_SB_S6_S9_S3_SB_S9_S3_PS5_21rocsparse_index_base_SD_SD_SD_bbb
		.amdhsa_group_segment_fixed_size 0
		.amdhsa_private_segment_fixed_size 0
		.amdhsa_kernarg_size 156
		.amdhsa_user_sgpr_count 15
		.amdhsa_user_sgpr_dispatch_ptr 0
		.amdhsa_user_sgpr_queue_ptr 0
		.amdhsa_user_sgpr_kernarg_segment_ptr 1
		.amdhsa_user_sgpr_dispatch_id 0
		.amdhsa_user_sgpr_private_segment_size 0
		.amdhsa_wavefront_size32 1
		.amdhsa_uses_dynamic_stack 0
		.amdhsa_enable_private_segment 0
		.amdhsa_system_sgpr_workgroup_id_x 1
		.amdhsa_system_sgpr_workgroup_id_y 0
		.amdhsa_system_sgpr_workgroup_id_z 0
		.amdhsa_system_sgpr_workgroup_info 0
		.amdhsa_system_vgpr_workitem_id 0
		.amdhsa_next_free_vgpr 15
		.amdhsa_next_free_sgpr 40
		.amdhsa_reserve_vcc 1
		.amdhsa_float_round_mode_32 0
		.amdhsa_float_round_mode_16_64 0
		.amdhsa_float_denorm_mode_32 3
		.amdhsa_float_denorm_mode_16_64 3
		.amdhsa_dx10_clamp 1
		.amdhsa_ieee_mode 1
		.amdhsa_fp16_overflow 0
		.amdhsa_workgroup_processor_mode 1
		.amdhsa_memory_ordered 1
		.amdhsa_forward_progress 0
		.amdhsa_shared_vgpr_count 0
		.amdhsa_exception_fp_ieee_invalid_op 0
		.amdhsa_exception_fp_denorm_src 0
		.amdhsa_exception_fp_ieee_div_zero 0
		.amdhsa_exception_fp_ieee_overflow 0
		.amdhsa_exception_fp_ieee_underflow 0
		.amdhsa_exception_fp_ieee_inexact 0
		.amdhsa_exception_int_div_zero 0
	.end_amdhsa_kernel
	.section	.text._ZN9rocsparseL41csrgemm_numeric_fill_block_per_row_kernelILj1024ELj32ELj2048ELj137ELj64EiifEEvT5_PKS1_S3_NS_24const_host_device_scalarIT6_EEPKT4_S3_PKS5_S9_S3_SB_S6_S9_S3_SB_S9_S3_PS5_21rocsparse_index_base_SD_SD_SD_bbb,"axG",@progbits,_ZN9rocsparseL41csrgemm_numeric_fill_block_per_row_kernelILj1024ELj32ELj2048ELj137ELj64EiifEEvT5_PKS1_S3_NS_24const_host_device_scalarIT6_EEPKT4_S3_PKS5_S9_S3_SB_S6_S9_S3_SB_S9_S3_PS5_21rocsparse_index_base_SD_SD_SD_bbb,comdat
.Lfunc_end9:
	.size	_ZN9rocsparseL41csrgemm_numeric_fill_block_per_row_kernelILj1024ELj32ELj2048ELj137ELj64EiifEEvT5_PKS1_S3_NS_24const_host_device_scalarIT6_EEPKT4_S3_PKS5_S9_S3_SB_S6_S9_S3_SB_S9_S3_PS5_21rocsparse_index_base_SD_SD_SD_bbb, .Lfunc_end9-_ZN9rocsparseL41csrgemm_numeric_fill_block_per_row_kernelILj1024ELj32ELj2048ELj137ELj64EiifEEvT5_PKS1_S3_NS_24const_host_device_scalarIT6_EEPKT4_S3_PKS5_S9_S3_SB_S6_S9_S3_SB_S9_S3_PS5_21rocsparse_index_base_SD_SD_SD_bbb
                                        ; -- End function
	.section	.AMDGPU.csdata,"",@progbits
; Kernel info:
; codeLenInByte = 3028
; NumSgprs: 42
; NumVgprs: 15
; ScratchSize: 0
; MemoryBound: 0
; FloatMode: 240
; IeeeMode: 1
; LDSByteSize: 0 bytes/workgroup (compile time only)
; SGPRBlocks: 5
; VGPRBlocks: 1
; NumSGPRsForWavesPerEU: 42
; NumVGPRsForWavesPerEU: 15
; Occupancy: 16
; WaveLimiterHint : 1
; COMPUTE_PGM_RSRC2:SCRATCH_EN: 0
; COMPUTE_PGM_RSRC2:USER_SGPR: 15
; COMPUTE_PGM_RSRC2:TRAP_HANDLER: 0
; COMPUTE_PGM_RSRC2:TGID_X_EN: 1
; COMPUTE_PGM_RSRC2:TGID_Y_EN: 0
; COMPUTE_PGM_RSRC2:TGID_Z_EN: 0
; COMPUTE_PGM_RSRC2:TIDIG_COMP_CNT: 0
	.section	.text._ZN9rocsparseL41csrgemm_numeric_fill_block_per_row_kernelILj1024ELj64ELj4096ELj137ELj32EiifEEvT5_PKS1_S3_NS_24const_host_device_scalarIT6_EEPKT4_S3_PKS5_S9_S3_SB_S6_S9_S3_SB_S9_S3_PS5_21rocsparse_index_base_SD_SD_SD_bbb,"axG",@progbits,_ZN9rocsparseL41csrgemm_numeric_fill_block_per_row_kernelILj1024ELj64ELj4096ELj137ELj32EiifEEvT5_PKS1_S3_NS_24const_host_device_scalarIT6_EEPKT4_S3_PKS5_S9_S3_SB_S6_S9_S3_SB_S9_S3_PS5_21rocsparse_index_base_SD_SD_SD_bbb,comdat
	.globl	_ZN9rocsparseL41csrgemm_numeric_fill_block_per_row_kernelILj1024ELj64ELj4096ELj137ELj32EiifEEvT5_PKS1_S3_NS_24const_host_device_scalarIT6_EEPKT4_S3_PKS5_S9_S3_SB_S6_S9_S3_SB_S9_S3_PS5_21rocsparse_index_base_SD_SD_SD_bbb ; -- Begin function _ZN9rocsparseL41csrgemm_numeric_fill_block_per_row_kernelILj1024ELj64ELj4096ELj137ELj32EiifEEvT5_PKS1_S3_NS_24const_host_device_scalarIT6_EEPKT4_S3_PKS5_S9_S3_SB_S6_S9_S3_SB_S9_S3_PS5_21rocsparse_index_base_SD_SD_SD_bbb
	.p2align	8
	.type	_ZN9rocsparseL41csrgemm_numeric_fill_block_per_row_kernelILj1024ELj64ELj4096ELj137ELj32EiifEEvT5_PKS1_S3_NS_24const_host_device_scalarIT6_EEPKT4_S3_PKS5_S9_S3_SB_S6_S9_S3_SB_S9_S3_PS5_21rocsparse_index_base_SD_SD_SD_bbb,@function
_ZN9rocsparseL41csrgemm_numeric_fill_block_per_row_kernelILj1024ELj64ELj4096ELj137ELj32EiifEEvT5_PKS1_S3_NS_24const_host_device_scalarIT6_EEPKT4_S3_PKS5_S9_S3_SB_S6_S9_S3_SB_S9_S3_PS5_21rocsparse_index_base_SD_SD_SD_bbb: ; @_ZN9rocsparseL41csrgemm_numeric_fill_block_per_row_kernelILj1024ELj64ELj4096ELj137ELj32EiifEEvT5_PKS1_S3_NS_24const_host_device_scalarIT6_EEPKT4_S3_PKS5_S9_S3_SB_S6_S9_S3_SB_S9_S3_PS5_21rocsparse_index_base_SD_SD_SD_bbb
; %bb.0:
	s_clause 0x3
	s_load_b32 s12, s[0:1], 0x98
	s_load_b128 s[44:47], s[0:1], 0x88
	s_load_b64 s[4:5], s[0:1], 0x18
	s_load_b64 s[2:3], s[0:1], 0x50
	s_waitcnt lgkmcnt(0)
	s_bitcmp1_b32 s12, 0
	s_cselect_b32 s13, -1, 0
	s_bitcmp1_b32 s12, 16
	s_cselect_b32 s14, -1, 0
	s_xor_b32 s6, s13, -1
	s_delay_alu instid0(SALU_CYCLE_1) | instskip(NEXT) | instid1(SALU_CYCLE_1)
	s_or_b32 s6, s6, s14
	s_and_b32 vcc_lo, exec_lo, s6
	s_cbranch_vccnz .LBB10_2
; %bb.1:
	s_load_b32 s4, s[4:5], 0x0
	s_waitcnt lgkmcnt(0)
	v_mov_b32_e32 v8, s4
	s_branch .LBB10_3
.LBB10_2:
	v_cndmask_b32_e64 v8, 0, s4, s13
.LBB10_3:
	s_clause 0x4
	s_load_b64 s[34:35], s[0:1], 0x80
	s_load_b256 s[36:43], s[0:1], 0x58
	s_load_b128 s[16:19], s[0:1], 0x40
	s_load_b128 s[20:23], s[0:1], 0x8
	s_load_b256 s[4:11], s[0:1], 0x20
	s_bitcmp1_b32 s12, 8
	s_cselect_b32 s12, -1, 0
	s_delay_alu instid0(SALU_CYCLE_1) | instskip(NEXT) | instid1(SALU_CYCLE_1)
	s_xor_b32 s24, s12, -1
	s_or_b32 s14, s24, s14
	s_delay_alu instid0(SALU_CYCLE_1)
	s_and_b32 vcc_lo, exec_lo, s14
	s_cbranch_vccnz .LBB10_5
; %bb.4:
	s_load_b32 s2, s[2:3], 0x0
	s_waitcnt lgkmcnt(0)
	v_mov_b32_e32 v7, s2
	s_branch .LBB10_6
.LBB10_5:
	v_cndmask_b32_e64 v7, 0, s2, s12
.LBB10_6:
	s_load_b32 s33, s[0:1], 0x0
	v_lshl_add_u32 v5, v0, 2, 0
	v_or_b32_e32 v6, 0xfffffc00, v0
	v_mov_b32_e32 v1, 0
	s_mov_b32 s0, 0
	s_delay_alu instid0(VALU_DEP_3)
	v_mov_b32_e32 v2, v5
	s_waitcnt lgkmcnt(0)
	v_dual_mov_b32 v4, v6 :: v_dual_mov_b32 v3, s33
.LBB10_7:                               ; =>This Inner Loop Header: Depth=1
	s_delay_alu instid0(VALU_DEP_1) | instskip(SKIP_4) | instid1(SALU_CYCLE_1)
	v_add_nc_u32_e32 v4, 0x400, v4
	ds_store_2addr_stride64_b32 v2, v3, v1 offset1:64
	v_add_nc_u32_e32 v2, 0x1000, v2
	v_cmp_lt_u32_e32 vcc_lo, 0xbff, v4
	s_or_b32 s0, vcc_lo, s0
	s_and_not1_b32 exec_lo, exec_lo, s0
	s_cbranch_execnz .LBB10_7
; %bb.8:
	s_or_b32 exec_lo, exec_lo, s0
	s_waitcnt lgkmcnt(0)
	s_barrier
	buffer_gl0_inv
	s_load_b32 s0, s[20:21], 0x0
	s_mov_b32 s1, 0
	s_waitcnt lgkmcnt(0)
	s_add_i32 s0, s0, s15
	s_delay_alu instid0(SALU_CYCLE_1) | instskip(NEXT) | instid1(SALU_CYCLE_1)
	s_lshl_b64 s[0:1], s[0:1], 2
	s_add_u32 s0, s22, s0
	s_addc_u32 s1, s23, s1
	s_and_b32 vcc_lo, exec_lo, s13
	s_load_b32 s48, s[0:1], 0x0
	s_cbranch_vccz .LBB10_28
; %bb.9:
	s_waitcnt lgkmcnt(0)
	s_ashr_i32 s49, s48, 31
	v_lshrrev_b32_e32 v1, 6, v0
	s_lshl_b64 s[0:1], s[48:49], 2
	s_delay_alu instid0(SALU_CYCLE_1) | instskip(SKIP_1) | instid1(VALU_DEP_1)
	s_add_u32 s0, s4, s0
	s_addc_u32 s1, s5, s1
	v_subrev_nc_u32_e32 v1, s44, v1
	s_load_b64 s[0:1], s[0:1], 0x0
	s_waitcnt lgkmcnt(0)
	s_delay_alu instid0(VALU_DEP_1) | instskip(SKIP_2) | instid1(VALU_DEP_1)
	v_add_nc_u32_e32 v1, s0, v1
	s_sub_i32 s0, s1, s44
	s_mov_b32 s1, exec_lo
	v_cmpx_gt_i32_e64 s0, v1
	s_cbranch_execz .LBB10_27
; %bb.10:
	v_and_b32_e32 v2, 63, v0
	s_mov_b32 s2, 0
	s_delay_alu instid0(VALU_DEP_1)
	v_subrev_nc_u32_e32 v9, s45, v2
	s_branch .LBB10_12
.LBB10_11:                              ;   in Loop: Header=BB10_12 Depth=1
	s_or_b32 exec_lo, exec_lo, s3
	v_add_nc_u32_e32 v1, 16, v1
	s_delay_alu instid0(VALU_DEP_1) | instskip(SKIP_1) | instid1(SALU_CYCLE_1)
	v_cmp_le_i32_e32 vcc_lo, s0, v1
	s_or_b32 s2, vcc_lo, s2
	s_and_not1_b32 exec_lo, exec_lo, s2
	s_cbranch_execz .LBB10_27
.LBB10_12:                              ; =>This Loop Header: Depth=1
                                        ;     Child Loop BB10_15 Depth 2
                                        ;       Child Loop BB10_17 Depth 3
	v_ashrrev_i32_e32 v2, 31, v1
	s_mov_b32 s3, exec_lo
	s_delay_alu instid0(VALU_DEP_1) | instskip(NEXT) | instid1(VALU_DEP_1)
	v_lshlrev_b64 v[3:4], 2, v[1:2]
	v_add_co_u32 v10, vcc_lo, s6, v3
	s_delay_alu instid0(VALU_DEP_2) | instskip(SKIP_3) | instid1(VALU_DEP_1)
	v_add_co_ci_u32_e32 v11, vcc_lo, s7, v4, vcc_lo
	global_load_b32 v2, v[10:11], off
	s_waitcnt vmcnt(0)
	v_subrev_nc_u32_e32 v10, s44, v2
	v_ashrrev_i32_e32 v11, 31, v10
	s_delay_alu instid0(VALU_DEP_1) | instskip(NEXT) | instid1(VALU_DEP_1)
	v_lshlrev_b64 v[10:11], 2, v[10:11]
	v_add_co_u32 v10, vcc_lo, s10, v10
	s_delay_alu instid0(VALU_DEP_2) | instskip(SKIP_4) | instid1(VALU_DEP_1)
	v_add_co_ci_u32_e32 v11, vcc_lo, s11, v11, vcc_lo
	global_load_b64 v[11:12], v[10:11], off
	s_waitcnt vmcnt(0)
	v_subrev_nc_u32_e32 v10, s45, v12
	v_add_nc_u32_e32 v2, v11, v9
	v_cmpx_lt_i32_e64 v2, v10
	s_cbranch_execz .LBB10_11
; %bb.13:                               ;   in Loop: Header=BB10_12 Depth=1
	v_add_co_u32 v3, vcc_lo, s8, v3
	v_add_co_ci_u32_e32 v4, vcc_lo, s9, v4, vcc_lo
	s_mov_b32 s4, 0
	global_load_b32 v3, v[3:4], off
	s_waitcnt vmcnt(0)
	v_mul_f32_e32 v4, v8, v3
	s_branch .LBB10_15
.LBB10_14:                              ;   in Loop: Header=BB10_15 Depth=2
	s_or_b32 exec_lo, exec_lo, s5
	v_add_nc_u32_e32 v2, 64, v2
	s_delay_alu instid0(VALU_DEP_1) | instskip(SKIP_1) | instid1(SALU_CYCLE_1)
	v_cmp_ge_i32_e32 vcc_lo, v2, v10
	s_or_b32 s4, vcc_lo, s4
	s_and_not1_b32 exec_lo, exec_lo, s4
	s_cbranch_execz .LBB10_11
.LBB10_15:                              ;   Parent Loop BB10_12 Depth=1
                                        ; =>  This Loop Header: Depth=2
                                        ;       Child Loop BB10_17 Depth 3
	v_ashrrev_i32_e32 v3, 31, v2
	s_mov_b32 s5, 0
	s_delay_alu instid0(VALU_DEP_1) | instskip(NEXT) | instid1(VALU_DEP_1)
	v_lshlrev_b64 v[11:12], 2, v[2:3]
	v_add_co_u32 v13, vcc_lo, s16, v11
	s_delay_alu instid0(VALU_DEP_2)
	v_add_co_ci_u32_e32 v14, vcc_lo, s17, v12, vcc_lo
	v_add_co_u32 v11, vcc_lo, s18, v11
	v_add_co_ci_u32_e32 v12, vcc_lo, s19, v12, vcc_lo
	global_load_b32 v3, v[13:14], off
	global_load_b32 v11, v[11:12], off
	s_waitcnt vmcnt(1)
	v_subrev_nc_u32_e32 v3, s45, v3
	s_delay_alu instid0(VALU_DEP_1) | instskip(SKIP_1) | instid1(VALU_DEP_1)
	v_mul_lo_u32 v12, 0x89, v3
	s_waitcnt vmcnt(0)
	v_dual_mul_f32 v11, v4, v11 :: v_dual_and_b32 v12, 0xfff, v12
	s_branch .LBB10_17
.LBB10_16:                              ;   in Loop: Header=BB10_17 Depth=3
	s_or_b32 exec_lo, exec_lo, s13
	s_xor_b32 s13, s14, -1
	s_delay_alu instid0(SALU_CYCLE_1) | instskip(NEXT) | instid1(SALU_CYCLE_1)
	s_and_b32 s13, exec_lo, s13
	s_or_b32 s5, s13, s5
	s_delay_alu instid0(SALU_CYCLE_1)
	s_and_not1_b32 exec_lo, exec_lo, s5
	s_cbranch_execz .LBB10_14
.LBB10_17:                              ;   Parent Loop BB10_12 Depth=1
                                        ;     Parent Loop BB10_15 Depth=2
                                        ; =>    This Inner Loop Header: Depth=3
	s_delay_alu instid0(VALU_DEP_1)
	v_lshl_add_u32 v13, v12, 2, 0
	s_mov_b32 s13, exec_lo
                                        ; implicit-def: $sgpr14
	ds_load_b32 v14, v13
	s_waitcnt lgkmcnt(0)
	v_cmpx_ne_u32_e64 v14, v3
	s_xor_b32 s13, exec_lo, s13
	s_cbranch_execz .LBB10_25
; %bb.18:                               ;   in Loop: Header=BB10_17 Depth=3
	s_mov_b32 s15, exec_lo
                                        ; implicit-def: $sgpr14
	v_cmpx_ne_u32_e64 s33, v14
	s_xor_b32 s15, exec_lo, s15
; %bb.19:                               ;   in Loop: Header=BB10_17 Depth=3
	v_add_nc_u32_e32 v12, 1, v12
	s_mov_b32 s14, -1
                                        ; implicit-def: $vgpr13
	s_delay_alu instid0(VALU_DEP_1)
	v_and_b32_e32 v12, 0xfff, v12
; %bb.20:                               ;   in Loop: Header=BB10_17 Depth=3
	s_and_not1_saveexec_b32 s15, s15
	s_cbranch_execz .LBB10_24
; %bb.21:                               ;   in Loop: Header=BB10_17 Depth=3
	v_mov_b32_e32 v14, s33
	s_mov_b32 s20, -1
	s_mov_b32 s21, exec_lo
	ds_cmpstore_rtn_b32 v14, v13, v3, v14
	s_waitcnt lgkmcnt(0)
	v_cmpx_eq_u32_e64 s33, v14
	s_cbranch_execz .LBB10_23
; %bb.22:                               ;   in Loop: Header=BB10_17 Depth=3
	ds_add_f32 v13, v11 offset:16384
	s_xor_b32 s20, exec_lo, -1
.LBB10_23:                              ;   in Loop: Header=BB10_17 Depth=3
	s_or_b32 exec_lo, exec_lo, s21
	s_delay_alu instid0(SALU_CYCLE_1) | instskip(SKIP_1) | instid1(SALU_CYCLE_1)
	s_and_not1_b32 s14, s14, exec_lo
	s_and_b32 s20, s20, exec_lo
	s_or_b32 s14, s14, s20
.LBB10_24:                              ;   in Loop: Header=BB10_17 Depth=3
	s_or_b32 exec_lo, exec_lo, s15
	s_delay_alu instid0(SALU_CYCLE_1)
	s_and_b32 s14, s14, exec_lo
                                        ; implicit-def: $vgpr13
.LBB10_25:                              ;   in Loop: Header=BB10_17 Depth=3
	s_and_not1_saveexec_b32 s13, s13
	s_cbranch_execz .LBB10_16
; %bb.26:                               ;   in Loop: Header=BB10_17 Depth=3
	ds_add_f32 v13, v11 offset:16384
	s_and_not1_b32 s14, s14, exec_lo
	s_branch .LBB10_16
.LBB10_27:
	s_or_b32 exec_lo, exec_lo, s1
.LBB10_28:
	s_delay_alu instid0(SALU_CYCLE_1)
	s_and_not1_b32 vcc_lo, exec_lo, s12
	s_cbranch_vccnz .LBB10_45
; %bb.29:
	s_waitcnt lgkmcnt(0)
	s_ashr_i32 s49, s48, 31
	v_subrev_nc_u32_e32 v1, s47, v0
	s_lshl_b64 s[0:1], s[48:49], 2
	s_delay_alu instid0(SALU_CYCLE_1)
	s_add_u32 s0, s36, s0
	s_addc_u32 s1, s37, s1
	s_load_b64 s[0:1], s[0:1], 0x0
	s_waitcnt lgkmcnt(0)
	v_add_nc_u32_e32 v1, s0, v1
	s_sub_i32 s0, s1, s47
	s_mov_b32 s1, exec_lo
	s_delay_alu instid0(VALU_DEP_1)
	v_cmpx_gt_i32_e64 s0, v1
	s_cbranch_execz .LBB10_44
; %bb.30:
	s_mov_b32 s2, 0
	s_branch .LBB10_32
.LBB10_31:                              ;   in Loop: Header=BB10_32 Depth=1
	s_or_b32 exec_lo, exec_lo, s3
	v_add_nc_u32_e32 v1, 0x400, v1
	s_delay_alu instid0(VALU_DEP_1) | instskip(SKIP_1) | instid1(SALU_CYCLE_1)
	v_cmp_le_i32_e32 vcc_lo, s0, v1
	s_or_b32 s2, vcc_lo, s2
	s_and_not1_b32 exec_lo, exec_lo, s2
	s_cbranch_execz .LBB10_44
.LBB10_32:                              ; =>This Loop Header: Depth=1
                                        ;     Child Loop BB10_34 Depth 2
	v_ashrrev_i32_e32 v2, 31, v1
	s_mov_b32 s3, 0
	s_delay_alu instid0(VALU_DEP_1) | instskip(NEXT) | instid1(VALU_DEP_1)
	v_lshlrev_b64 v[2:3], 2, v[1:2]
	v_add_co_u32 v8, vcc_lo, s38, v2
	s_delay_alu instid0(VALU_DEP_2)
	v_add_co_ci_u32_e32 v9, vcc_lo, s39, v3, vcc_lo
	v_add_co_u32 v2, vcc_lo, s40, v2
	v_add_co_ci_u32_e32 v3, vcc_lo, s41, v3, vcc_lo
	global_load_b32 v4, v[8:9], off
	global_load_b32 v3, v[2:3], off
	s_waitcnt vmcnt(1)
	v_subrev_nc_u32_e32 v2, s47, v4
	s_delay_alu instid0(VALU_DEP_1) | instskip(SKIP_1) | instid1(VALU_DEP_1)
	v_mul_lo_u32 v4, 0x89, v2
	s_waitcnt vmcnt(0)
	v_dual_mul_f32 v3, v7, v3 :: v_dual_and_b32 v4, 0xfff, v4
	s_branch .LBB10_34
.LBB10_33:                              ;   in Loop: Header=BB10_34 Depth=2
	s_or_b32 exec_lo, exec_lo, s4
	s_xor_b32 s4, s5, -1
	s_delay_alu instid0(SALU_CYCLE_1) | instskip(NEXT) | instid1(SALU_CYCLE_1)
	s_and_b32 s4, exec_lo, s4
	s_or_b32 s3, s4, s3
	s_delay_alu instid0(SALU_CYCLE_1)
	s_and_not1_b32 exec_lo, exec_lo, s3
	s_cbranch_execz .LBB10_31
.LBB10_34:                              ;   Parent Loop BB10_32 Depth=1
                                        ; =>  This Inner Loop Header: Depth=2
	s_delay_alu instid0(VALU_DEP_1)
	v_lshl_add_u32 v8, v4, 2, 0
	s_mov_b32 s4, exec_lo
                                        ; implicit-def: $sgpr5
	ds_load_b32 v9, v8
	s_waitcnt lgkmcnt(0)
	v_cmpx_ne_u32_e64 v9, v2
	s_xor_b32 s4, exec_lo, s4
	s_cbranch_execz .LBB10_42
; %bb.35:                               ;   in Loop: Header=BB10_34 Depth=2
	s_mov_b32 s6, exec_lo
                                        ; implicit-def: $sgpr5
	v_cmpx_ne_u32_e64 s33, v9
	s_xor_b32 s6, exec_lo, s6
; %bb.36:                               ;   in Loop: Header=BB10_34 Depth=2
	v_add_nc_u32_e32 v4, 1, v4
	s_mov_b32 s5, -1
                                        ; implicit-def: $vgpr8
	s_delay_alu instid0(VALU_DEP_1)
	v_and_b32_e32 v4, 0xfff, v4
; %bb.37:                               ;   in Loop: Header=BB10_34 Depth=2
	s_and_not1_saveexec_b32 s6, s6
	s_cbranch_execz .LBB10_41
; %bb.38:                               ;   in Loop: Header=BB10_34 Depth=2
	v_mov_b32_e32 v9, s33
	s_mov_b32 s7, -1
	s_mov_b32 s8, exec_lo
	ds_cmpstore_rtn_b32 v9, v8, v2, v9
	s_waitcnt lgkmcnt(0)
	v_cmpx_eq_u32_e64 s33, v9
	s_cbranch_execz .LBB10_40
; %bb.39:                               ;   in Loop: Header=BB10_34 Depth=2
	ds_add_f32 v8, v3 offset:16384
	s_xor_b32 s7, exec_lo, -1
.LBB10_40:                              ;   in Loop: Header=BB10_34 Depth=2
	s_or_b32 exec_lo, exec_lo, s8
	s_delay_alu instid0(SALU_CYCLE_1) | instskip(SKIP_1) | instid1(SALU_CYCLE_1)
	s_and_not1_b32 s5, s5, exec_lo
	s_and_b32 s7, s7, exec_lo
	s_or_b32 s5, s5, s7
.LBB10_41:                              ;   in Loop: Header=BB10_34 Depth=2
	s_or_b32 exec_lo, exec_lo, s6
	s_delay_alu instid0(SALU_CYCLE_1)
	s_and_b32 s5, s5, exec_lo
                                        ; implicit-def: $vgpr8
.LBB10_42:                              ;   in Loop: Header=BB10_34 Depth=2
	s_and_not1_saveexec_b32 s4, s4
	s_cbranch_execz .LBB10_33
; %bb.43:                               ;   in Loop: Header=BB10_34 Depth=2
	ds_add_f32 v8, v3 offset:16384
	s_and_not1_b32 s5, s5, exec_lo
	s_branch .LBB10_33
.LBB10_44:
	s_or_b32 exec_lo, exec_lo, s1
.LBB10_45:
	v_mbcnt_lo_u32_b32 v1, -1, 0
	v_lshrrev_b32_e32 v2, 3, v0
	v_cmp_eq_u32_e32 vcc_lo, 0x3ff, v0
	v_cmp_lt_u32_e64 s0, 31, v0
	v_cmp_lt_u32_e64 s1, 63, v0
	v_xor_b32_e32 v1, 63, v1
	v_dual_mov_b32 v8, 0 :: v_dual_and_b32 v3, 0x7c, v2
	v_cmp_lt_u32_e64 s2, 0x5f, v0
	v_cmp_lt_u32_e64 s3, 0x7f, v0
	s_delay_alu instid0(VALU_DEP_4) | instskip(NEXT) | instid1(VALU_DEP_4)
	v_lshrrev_b64 v[1:2], v1, -1
	v_dual_mov_b32 v7, 0 :: v_dual_add_nc_u32 v4, 0, v3
	v_cmp_lt_u32_e64 s4, 0x9f, v0
	v_cmp_lt_u32_e64 s5, 0xbf, v0
	;; [unrolled: 1-line block ×27, first 2 shown]
	s_mov_b32 s36, 0
	s_waitcnt lgkmcnt(0)
	s_barrier
	buffer_gl0_inv
	s_branch .LBB10_47
.LBB10_46:                              ;   in Loop: Header=BB10_47 Depth=1
	s_or_b32 exec_lo, exec_lo, s31
	s_waitcnt lgkmcnt(0)
	s_barrier
	buffer_gl0_inv
	ds_load_b32 v2, v7 offset:32892
	v_add_nc_u32_e32 v6, 0x400, v6
	v_add_nc_u32_e32 v5, 0x1000, v5
	s_delay_alu instid0(VALU_DEP_2) | instskip(NEXT) | instid1(VALU_DEP_1)
	v_cmp_lt_u32_e64 s31, 0xbff, v6
	s_or_b32 s36, s31, s36
	s_waitcnt lgkmcnt(0)
	v_add_nc_u32_e32 v8, v2, v8
	s_and_not1_b32 exec_lo, exec_lo, s36
	s_cbranch_execz .LBB10_113
.LBB10_47:                              ; =>This Inner Loop Header: Depth=1
	ds_load_2addr_stride64_b32 v[2:3], v5 offset1:64
	s_waitcnt lgkmcnt(0)
	s_barrier
	buffer_gl0_inv
	v_cmp_gt_i32_e64 s31, s33, v2
	s_delay_alu instid0(VALU_DEP_1) | instskip(NEXT) | instid1(SALU_CYCLE_1)
	s_bcnt1_i32_b32 s37, s31
	v_dual_mov_b32 v10, s37 :: v_dual_and_b32 v9, s31, v1
	s_delay_alu instid0(VALU_DEP_1)
	v_bcnt_u32_b32 v9, v9, 0
	ds_store_b32 v4, v10 offset:32768
	s_waitcnt lgkmcnt(0)
	s_barrier
	buffer_gl0_inv
	s_and_saveexec_b32 s37, s0
	s_cbranch_execnz .LBB10_80
; %bb.48:                               ;   in Loop: Header=BB10_47 Depth=1
	s_or_b32 exec_lo, exec_lo, s37
	s_and_saveexec_b32 s37, s1
	s_cbranch_execnz .LBB10_81
.LBB10_49:                              ;   in Loop: Header=BB10_47 Depth=1
	s_or_b32 exec_lo, exec_lo, s37
	s_and_saveexec_b32 s37, s2
	s_cbranch_execnz .LBB10_82
.LBB10_50:                              ;   in Loop: Header=BB10_47 Depth=1
	s_or_b32 exec_lo, exec_lo, s37
	s_and_saveexec_b32 s37, s3
	s_cbranch_execnz .LBB10_83
.LBB10_51:                              ;   in Loop: Header=BB10_47 Depth=1
	s_or_b32 exec_lo, exec_lo, s37
	s_and_saveexec_b32 s37, s4
	s_cbranch_execnz .LBB10_84
.LBB10_52:                              ;   in Loop: Header=BB10_47 Depth=1
	s_or_b32 exec_lo, exec_lo, s37
	s_and_saveexec_b32 s37, s5
	s_cbranch_execnz .LBB10_85
.LBB10_53:                              ;   in Loop: Header=BB10_47 Depth=1
	s_or_b32 exec_lo, exec_lo, s37
	s_and_saveexec_b32 s37, s6
	s_cbranch_execnz .LBB10_86
.LBB10_54:                              ;   in Loop: Header=BB10_47 Depth=1
	s_or_b32 exec_lo, exec_lo, s37
	s_and_saveexec_b32 s37, s7
	s_cbranch_execnz .LBB10_87
.LBB10_55:                              ;   in Loop: Header=BB10_47 Depth=1
	s_or_b32 exec_lo, exec_lo, s37
	s_and_saveexec_b32 s37, s8
	s_cbranch_execnz .LBB10_88
.LBB10_56:                              ;   in Loop: Header=BB10_47 Depth=1
	s_or_b32 exec_lo, exec_lo, s37
	s_and_saveexec_b32 s37, s9
	s_cbranch_execnz .LBB10_89
.LBB10_57:                              ;   in Loop: Header=BB10_47 Depth=1
	s_or_b32 exec_lo, exec_lo, s37
	s_and_saveexec_b32 s37, s10
	s_cbranch_execnz .LBB10_90
.LBB10_58:                              ;   in Loop: Header=BB10_47 Depth=1
	s_or_b32 exec_lo, exec_lo, s37
	s_and_saveexec_b32 s37, s11
	s_cbranch_execnz .LBB10_91
.LBB10_59:                              ;   in Loop: Header=BB10_47 Depth=1
	s_or_b32 exec_lo, exec_lo, s37
	s_and_saveexec_b32 s37, s12
	s_cbranch_execnz .LBB10_92
.LBB10_60:                              ;   in Loop: Header=BB10_47 Depth=1
	s_or_b32 exec_lo, exec_lo, s37
	s_and_saveexec_b32 s37, s13
	s_cbranch_execnz .LBB10_93
.LBB10_61:                              ;   in Loop: Header=BB10_47 Depth=1
	s_or_b32 exec_lo, exec_lo, s37
	s_and_saveexec_b32 s37, s14
	s_cbranch_execnz .LBB10_94
.LBB10_62:                              ;   in Loop: Header=BB10_47 Depth=1
	s_or_b32 exec_lo, exec_lo, s37
	s_and_saveexec_b32 s37, s15
	s_cbranch_execnz .LBB10_95
.LBB10_63:                              ;   in Loop: Header=BB10_47 Depth=1
	s_or_b32 exec_lo, exec_lo, s37
	s_and_saveexec_b32 s37, s16
	s_cbranch_execnz .LBB10_96
.LBB10_64:                              ;   in Loop: Header=BB10_47 Depth=1
	s_or_b32 exec_lo, exec_lo, s37
	s_and_saveexec_b32 s37, s17
	s_cbranch_execnz .LBB10_97
.LBB10_65:                              ;   in Loop: Header=BB10_47 Depth=1
	s_or_b32 exec_lo, exec_lo, s37
	s_and_saveexec_b32 s37, s18
	s_cbranch_execnz .LBB10_98
.LBB10_66:                              ;   in Loop: Header=BB10_47 Depth=1
	s_or_b32 exec_lo, exec_lo, s37
	s_and_saveexec_b32 s37, s19
	s_cbranch_execnz .LBB10_99
.LBB10_67:                              ;   in Loop: Header=BB10_47 Depth=1
	s_or_b32 exec_lo, exec_lo, s37
	s_and_saveexec_b32 s37, s20
	s_cbranch_execnz .LBB10_100
.LBB10_68:                              ;   in Loop: Header=BB10_47 Depth=1
	s_or_b32 exec_lo, exec_lo, s37
	s_and_saveexec_b32 s37, s21
	s_cbranch_execnz .LBB10_101
.LBB10_69:                              ;   in Loop: Header=BB10_47 Depth=1
	s_or_b32 exec_lo, exec_lo, s37
	s_and_saveexec_b32 s37, s22
	s_cbranch_execnz .LBB10_102
.LBB10_70:                              ;   in Loop: Header=BB10_47 Depth=1
	s_or_b32 exec_lo, exec_lo, s37
	s_and_saveexec_b32 s37, s23
	s_cbranch_execnz .LBB10_103
.LBB10_71:                              ;   in Loop: Header=BB10_47 Depth=1
	s_or_b32 exec_lo, exec_lo, s37
	s_and_saveexec_b32 s37, s24
	s_cbranch_execnz .LBB10_104
.LBB10_72:                              ;   in Loop: Header=BB10_47 Depth=1
	s_or_b32 exec_lo, exec_lo, s37
	s_and_saveexec_b32 s37, s25
	s_cbranch_execnz .LBB10_105
.LBB10_73:                              ;   in Loop: Header=BB10_47 Depth=1
	s_or_b32 exec_lo, exec_lo, s37
	s_and_saveexec_b32 s37, s26
	s_cbranch_execnz .LBB10_106
.LBB10_74:                              ;   in Loop: Header=BB10_47 Depth=1
	s_or_b32 exec_lo, exec_lo, s37
	s_and_saveexec_b32 s37, s27
	s_cbranch_execnz .LBB10_107
.LBB10_75:                              ;   in Loop: Header=BB10_47 Depth=1
	s_or_b32 exec_lo, exec_lo, s37
	s_and_saveexec_b32 s37, s28
	s_cbranch_execnz .LBB10_108
.LBB10_76:                              ;   in Loop: Header=BB10_47 Depth=1
	s_or_b32 exec_lo, exec_lo, s37
	s_and_saveexec_b32 s37, s29
	s_cbranch_execnz .LBB10_109
.LBB10_77:                              ;   in Loop: Header=BB10_47 Depth=1
	s_or_b32 exec_lo, exec_lo, s37
	s_and_saveexec_b32 s37, s30
	s_cbranch_execnz .LBB10_110
.LBB10_78:                              ;   in Loop: Header=BB10_47 Depth=1
	s_or_b32 exec_lo, exec_lo, s37
	s_and_saveexec_b32 s37, s31
	s_cbranch_execnz .LBB10_111
.LBB10_79:                              ;   in Loop: Header=BB10_47 Depth=1
	s_or_b32 exec_lo, exec_lo, s37
	s_and_saveexec_b32 s31, vcc_lo
	s_cbranch_execz .LBB10_46
	s_branch .LBB10_112
.LBB10_80:                              ;   in Loop: Header=BB10_47 Depth=1
	ds_load_b32 v10, v7 offset:32768
	s_waitcnt lgkmcnt(0)
	v_add_nc_u32_e32 v9, v10, v9
	s_or_b32 exec_lo, exec_lo, s37
	s_and_saveexec_b32 s37, s1
	s_cbranch_execz .LBB10_49
.LBB10_81:                              ;   in Loop: Header=BB10_47 Depth=1
	ds_load_b32 v10, v7 offset:32772
	s_waitcnt lgkmcnt(0)
	v_add_nc_u32_e32 v9, v10, v9
	s_or_b32 exec_lo, exec_lo, s37
	s_and_saveexec_b32 s37, s2
	s_cbranch_execz .LBB10_50
.LBB10_82:                              ;   in Loop: Header=BB10_47 Depth=1
	ds_load_b32 v10, v7 offset:32776
	s_waitcnt lgkmcnt(0)
	v_add_nc_u32_e32 v9, v10, v9
	s_or_b32 exec_lo, exec_lo, s37
	s_and_saveexec_b32 s37, s3
	s_cbranch_execz .LBB10_51
.LBB10_83:                              ;   in Loop: Header=BB10_47 Depth=1
	ds_load_b32 v10, v7 offset:32780
	s_waitcnt lgkmcnt(0)
	v_add_nc_u32_e32 v9, v10, v9
	s_or_b32 exec_lo, exec_lo, s37
	s_and_saveexec_b32 s37, s4
	s_cbranch_execz .LBB10_52
.LBB10_84:                              ;   in Loop: Header=BB10_47 Depth=1
	ds_load_b32 v10, v7 offset:32784
	s_waitcnt lgkmcnt(0)
	v_add_nc_u32_e32 v9, v10, v9
	s_or_b32 exec_lo, exec_lo, s37
	s_and_saveexec_b32 s37, s5
	s_cbranch_execz .LBB10_53
.LBB10_85:                              ;   in Loop: Header=BB10_47 Depth=1
	ds_load_b32 v10, v7 offset:32788
	s_waitcnt lgkmcnt(0)
	v_add_nc_u32_e32 v9, v10, v9
	s_or_b32 exec_lo, exec_lo, s37
	s_and_saveexec_b32 s37, s6
	s_cbranch_execz .LBB10_54
.LBB10_86:                              ;   in Loop: Header=BB10_47 Depth=1
	ds_load_b32 v10, v7 offset:32792
	s_waitcnt lgkmcnt(0)
	v_add_nc_u32_e32 v9, v10, v9
	s_or_b32 exec_lo, exec_lo, s37
	s_and_saveexec_b32 s37, s7
	s_cbranch_execz .LBB10_55
.LBB10_87:                              ;   in Loop: Header=BB10_47 Depth=1
	ds_load_b32 v10, v7 offset:32796
	s_waitcnt lgkmcnt(0)
	v_add_nc_u32_e32 v9, v10, v9
	s_or_b32 exec_lo, exec_lo, s37
	s_and_saveexec_b32 s37, s8
	s_cbranch_execz .LBB10_56
.LBB10_88:                              ;   in Loop: Header=BB10_47 Depth=1
	ds_load_b32 v10, v7 offset:32800
	s_waitcnt lgkmcnt(0)
	v_add_nc_u32_e32 v9, v10, v9
	s_or_b32 exec_lo, exec_lo, s37
	s_and_saveexec_b32 s37, s9
	s_cbranch_execz .LBB10_57
.LBB10_89:                              ;   in Loop: Header=BB10_47 Depth=1
	ds_load_b32 v10, v7 offset:32804
	s_waitcnt lgkmcnt(0)
	v_add_nc_u32_e32 v9, v10, v9
	s_or_b32 exec_lo, exec_lo, s37
	s_and_saveexec_b32 s37, s10
	s_cbranch_execz .LBB10_58
.LBB10_90:                              ;   in Loop: Header=BB10_47 Depth=1
	ds_load_b32 v10, v7 offset:32808
	s_waitcnt lgkmcnt(0)
	v_add_nc_u32_e32 v9, v10, v9
	s_or_b32 exec_lo, exec_lo, s37
	s_and_saveexec_b32 s37, s11
	s_cbranch_execz .LBB10_59
.LBB10_91:                              ;   in Loop: Header=BB10_47 Depth=1
	ds_load_b32 v10, v7 offset:32812
	s_waitcnt lgkmcnt(0)
	v_add_nc_u32_e32 v9, v10, v9
	s_or_b32 exec_lo, exec_lo, s37
	s_and_saveexec_b32 s37, s12
	s_cbranch_execz .LBB10_60
.LBB10_92:                              ;   in Loop: Header=BB10_47 Depth=1
	ds_load_b32 v10, v7 offset:32816
	s_waitcnt lgkmcnt(0)
	v_add_nc_u32_e32 v9, v10, v9
	s_or_b32 exec_lo, exec_lo, s37
	s_and_saveexec_b32 s37, s13
	s_cbranch_execz .LBB10_61
.LBB10_93:                              ;   in Loop: Header=BB10_47 Depth=1
	ds_load_b32 v10, v7 offset:32820
	s_waitcnt lgkmcnt(0)
	v_add_nc_u32_e32 v9, v10, v9
	s_or_b32 exec_lo, exec_lo, s37
	s_and_saveexec_b32 s37, s14
	s_cbranch_execz .LBB10_62
.LBB10_94:                              ;   in Loop: Header=BB10_47 Depth=1
	ds_load_b32 v10, v7 offset:32824
	s_waitcnt lgkmcnt(0)
	v_add_nc_u32_e32 v9, v10, v9
	s_or_b32 exec_lo, exec_lo, s37
	s_and_saveexec_b32 s37, s15
	s_cbranch_execz .LBB10_63
.LBB10_95:                              ;   in Loop: Header=BB10_47 Depth=1
	ds_load_b32 v10, v7 offset:32828
	s_waitcnt lgkmcnt(0)
	v_add_nc_u32_e32 v9, v10, v9
	s_or_b32 exec_lo, exec_lo, s37
	s_and_saveexec_b32 s37, s16
	s_cbranch_execz .LBB10_64
.LBB10_96:                              ;   in Loop: Header=BB10_47 Depth=1
	ds_load_b32 v10, v7 offset:32832
	s_waitcnt lgkmcnt(0)
	v_add_nc_u32_e32 v9, v10, v9
	s_or_b32 exec_lo, exec_lo, s37
	s_and_saveexec_b32 s37, s17
	s_cbranch_execz .LBB10_65
.LBB10_97:                              ;   in Loop: Header=BB10_47 Depth=1
	ds_load_b32 v10, v7 offset:32836
	s_waitcnt lgkmcnt(0)
	v_add_nc_u32_e32 v9, v10, v9
	s_or_b32 exec_lo, exec_lo, s37
	s_and_saveexec_b32 s37, s18
	s_cbranch_execz .LBB10_66
.LBB10_98:                              ;   in Loop: Header=BB10_47 Depth=1
	ds_load_b32 v10, v7 offset:32840
	s_waitcnt lgkmcnt(0)
	v_add_nc_u32_e32 v9, v10, v9
	s_or_b32 exec_lo, exec_lo, s37
	s_and_saveexec_b32 s37, s19
	s_cbranch_execz .LBB10_67
.LBB10_99:                              ;   in Loop: Header=BB10_47 Depth=1
	ds_load_b32 v10, v7 offset:32844
	s_waitcnt lgkmcnt(0)
	v_add_nc_u32_e32 v9, v10, v9
	s_or_b32 exec_lo, exec_lo, s37
	s_and_saveexec_b32 s37, s20
	s_cbranch_execz .LBB10_68
.LBB10_100:                             ;   in Loop: Header=BB10_47 Depth=1
	ds_load_b32 v10, v7 offset:32848
	s_waitcnt lgkmcnt(0)
	v_add_nc_u32_e32 v9, v10, v9
	s_or_b32 exec_lo, exec_lo, s37
	s_and_saveexec_b32 s37, s21
	s_cbranch_execz .LBB10_69
.LBB10_101:                             ;   in Loop: Header=BB10_47 Depth=1
	ds_load_b32 v10, v7 offset:32852
	s_waitcnt lgkmcnt(0)
	v_add_nc_u32_e32 v9, v10, v9
	s_or_b32 exec_lo, exec_lo, s37
	s_and_saveexec_b32 s37, s22
	s_cbranch_execz .LBB10_70
.LBB10_102:                             ;   in Loop: Header=BB10_47 Depth=1
	ds_load_b32 v10, v7 offset:32856
	s_waitcnt lgkmcnt(0)
	v_add_nc_u32_e32 v9, v10, v9
	s_or_b32 exec_lo, exec_lo, s37
	s_and_saveexec_b32 s37, s23
	s_cbranch_execz .LBB10_71
.LBB10_103:                             ;   in Loop: Header=BB10_47 Depth=1
	ds_load_b32 v10, v7 offset:32860
	s_waitcnt lgkmcnt(0)
	v_add_nc_u32_e32 v9, v10, v9
	s_or_b32 exec_lo, exec_lo, s37
	s_and_saveexec_b32 s37, s24
	s_cbranch_execz .LBB10_72
.LBB10_104:                             ;   in Loop: Header=BB10_47 Depth=1
	ds_load_b32 v10, v7 offset:32864
	s_waitcnt lgkmcnt(0)
	v_add_nc_u32_e32 v9, v10, v9
	s_or_b32 exec_lo, exec_lo, s37
	s_and_saveexec_b32 s37, s25
	s_cbranch_execz .LBB10_73
.LBB10_105:                             ;   in Loop: Header=BB10_47 Depth=1
	ds_load_b32 v10, v7 offset:32868
	s_waitcnt lgkmcnt(0)
	v_add_nc_u32_e32 v9, v10, v9
	s_or_b32 exec_lo, exec_lo, s37
	s_and_saveexec_b32 s37, s26
	s_cbranch_execz .LBB10_74
.LBB10_106:                             ;   in Loop: Header=BB10_47 Depth=1
	ds_load_b32 v10, v7 offset:32872
	s_waitcnt lgkmcnt(0)
	v_add_nc_u32_e32 v9, v10, v9
	s_or_b32 exec_lo, exec_lo, s37
	s_and_saveexec_b32 s37, s27
	s_cbranch_execz .LBB10_75
.LBB10_107:                             ;   in Loop: Header=BB10_47 Depth=1
	ds_load_b32 v10, v7 offset:32876
	s_waitcnt lgkmcnt(0)
	v_add_nc_u32_e32 v9, v10, v9
	s_or_b32 exec_lo, exec_lo, s37
	s_and_saveexec_b32 s37, s28
	s_cbranch_execz .LBB10_76
.LBB10_108:                             ;   in Loop: Header=BB10_47 Depth=1
	ds_load_b32 v10, v7 offset:32880
	s_waitcnt lgkmcnt(0)
	v_add_nc_u32_e32 v9, v10, v9
	s_or_b32 exec_lo, exec_lo, s37
	s_and_saveexec_b32 s37, s29
	s_cbranch_execz .LBB10_77
.LBB10_109:                             ;   in Loop: Header=BB10_47 Depth=1
	ds_load_b32 v10, v7 offset:32884
	s_waitcnt lgkmcnt(0)
	v_add_nc_u32_e32 v9, v10, v9
	s_or_b32 exec_lo, exec_lo, s37
	s_and_saveexec_b32 s37, s30
	s_cbranch_execz .LBB10_78
.LBB10_110:                             ;   in Loop: Header=BB10_47 Depth=1
	ds_load_b32 v10, v7 offset:32888
	s_waitcnt lgkmcnt(0)
	v_add_nc_u32_e32 v9, v10, v9
	s_or_b32 exec_lo, exec_lo, s37
	s_and_saveexec_b32 s37, s31
	s_cbranch_execz .LBB10_79
.LBB10_111:                             ;   in Loop: Header=BB10_47 Depth=1
	s_delay_alu instid0(VALU_DEP_1) | instskip(NEXT) | instid1(VALU_DEP_1)
	v_add3_u32 v10, v8, -1, v9
	v_lshl_add_u32 v10, v10, 2, 0
	ds_store_2addr_stride64_b32 v10, v2, v3 offset1:64
	s_or_b32 exec_lo, exec_lo, s37
	s_and_saveexec_b32 s31, vcc_lo
	s_cbranch_execz .LBB10_46
.LBB10_112:                             ;   in Loop: Header=BB10_47 Depth=1
	ds_store_b32 v7, v9 offset:32892
	s_branch .LBB10_46
.LBB10_113:
	s_or_b32 exec_lo, exec_lo, s36
	s_ashr_i32 s49, s48, 31
	s_mov_b32 s3, exec_lo
	s_lshl_b64 s[0:1], s[48:49], 2
	s_delay_alu instid0(SALU_CYCLE_1) | instskip(SKIP_4) | instid1(SALU_CYCLE_1)
	s_add_u32 s0, s42, s0
	s_addc_u32 s1, s43, s1
	s_load_b64 s[0:1], s[0:1], 0x0
	s_waitcnt lgkmcnt(0)
	s_sub_i32 s2, s1, s0
	v_cmpx_gt_i32_e64 s2, v0
	s_cbranch_execz .LBB10_123
; %bb.114:
	s_sub_i32 s3, s0, s46
	s_sub_i32 s0, s0, s1
	s_and_b32 s1, s2, 7
	s_cmp_lt_u32 s0, -7
	s_mov_b32 s7, 0
	s_cselect_b32 s4, -1, 0
	s_and_b32 s5, s2, -8
	s_cmp_lg_u32 s1, 0
	s_cselect_b32 s6, -1, 0
	s_branch .LBB10_116
.LBB10_115:                             ;   in Loop: Header=BB10_116 Depth=1
	s_delay_alu instid0(VALU_DEP_1) | instskip(SKIP_1) | instid1(VALU_DEP_2)
	v_ashrrev_i32_e32 v4, 31, v3
	v_add_nc_u32_e32 v0, 0x400, v0
	v_lshlrev_b64 v[3:4], 2, v[3:4]
	s_delay_alu instid0(VALU_DEP_2) | instskip(SKIP_1) | instid1(VALU_DEP_2)
	v_cmp_le_i32_e32 vcc_lo, s2, v0
	s_or_b32 s7, vcc_lo, s7
	v_add_co_u32 v3, s0, s34, v3
	s_delay_alu instid0(VALU_DEP_1)
	v_add_co_ci_u32_e64 v4, s0, s35, v4, s0
	s_waitcnt lgkmcnt(0)
	global_store_b32 v[3:4], v2, off
	s_and_not1_b32 exec_lo, exec_lo, s7
	s_cbranch_execz .LBB10_123
.LBB10_116:                             ; =>This Loop Header: Depth=1
                                        ;     Child Loop BB10_118 Depth 2
                                        ;     Child Loop BB10_122 Depth 2
	v_lshl_add_u32 v1, v0, 2, 0
	v_mov_b32_e32 v3, s3
	s_and_not1_b32 vcc_lo, exec_lo, s4
	s_mov_b32 s0, 0
	ds_load_2addr_stride64_b32 v[1:2], v1 offset1:64
	s_cbranch_vccnz .LBB10_120
; %bb.117:                              ;   in Loop: Header=BB10_116 Depth=1
	v_mov_b32_e32 v3, s3
	s_mov_b32 s8, 0
	s_set_inst_prefetch_distance 0x1
	.p2align	6
.LBB10_118:                             ;   Parent Loop BB10_116 Depth=1
                                        ; =>  This Inner Loop Header: Depth=2
	v_mov_b32_e32 v10, s8
	s_add_i32 s0, s0, 8
	s_add_i32 s8, s8, 32
	s_cmp_eq_u32 s5, s0
	ds_load_2addr_b32 v[4:5], v10 offset1:1
	ds_load_2addr_b32 v[6:7], v10 offset0:2 offset1:3
	ds_load_2addr_b32 v[8:9], v10 offset0:4 offset1:5
	;; [unrolled: 1-line block ×3, first 2 shown]
	s_waitcnt lgkmcnt(3)
	v_cmp_gt_i32_e32 vcc_lo, v1, v4
	v_cndmask_b32_e64 v4, 0, 1, vcc_lo
	s_waitcnt lgkmcnt(2)
	v_cmp_gt_i32_e32 vcc_lo, v1, v6
	v_cndmask_b32_e64 v6, 0, 1, vcc_lo
	v_cmp_gt_i32_e32 vcc_lo, v1, v5
	v_add_co_ci_u32_e32 v3, vcc_lo, v3, v4, vcc_lo
	s_waitcnt lgkmcnt(1)
	v_cmp_gt_i32_e32 vcc_lo, v1, v8
	v_cndmask_b32_e64 v4, 0, 1, vcc_lo
	v_cmp_gt_i32_e32 vcc_lo, v1, v7
	v_add_co_ci_u32_e32 v3, vcc_lo, v3, v6, vcc_lo
	;; [unrolled: 5-line block ×3, first 2 shown]
	v_cmp_gt_i32_e32 vcc_lo, v1, v11
	s_delay_alu instid0(VALU_DEP_2)
	v_add_co_ci_u32_e32 v3, vcc_lo, v3, v5, vcc_lo
	s_cbranch_scc0 .LBB10_118
; %bb.119:                              ;   in Loop: Header=BB10_116 Depth=1
	s_set_inst_prefetch_distance 0x2
	s_mov_b32 s0, s5
.LBB10_120:                             ;   in Loop: Header=BB10_116 Depth=1
	s_and_not1_b32 vcc_lo, exec_lo, s6
	s_cbranch_vccnz .LBB10_115
; %bb.121:                              ;   in Loop: Header=BB10_116 Depth=1
	s_lshl_b32 s0, s0, 2
	s_mov_b32 s8, s1
	s_add_i32 s0, s0, 0
.LBB10_122:                             ;   Parent Loop BB10_116 Depth=1
                                        ; =>  This Inner Loop Header: Depth=2
	s_delay_alu instid0(SALU_CYCLE_1)
	v_mov_b32_e32 v4, s0
	s_add_i32 s8, s8, -1
	s_add_i32 s0, s0, 4
	s_cmp_lg_u32 s8, 0
	ds_load_b32 v4, v4
	s_waitcnt lgkmcnt(0)
	v_cmp_gt_i32_e32 vcc_lo, v1, v4
	v_add_co_ci_u32_e32 v3, vcc_lo, 0, v3, vcc_lo
	s_cbranch_scc1 .LBB10_122
	s_branch .LBB10_115
.LBB10_123:
	s_nop 0
	s_sendmsg sendmsg(MSG_DEALLOC_VGPRS)
	s_endpgm
	.section	.rodata,"a",@progbits
	.p2align	6, 0x0
	.amdhsa_kernel _ZN9rocsparseL41csrgemm_numeric_fill_block_per_row_kernelILj1024ELj64ELj4096ELj137ELj32EiifEEvT5_PKS1_S3_NS_24const_host_device_scalarIT6_EEPKT4_S3_PKS5_S9_S3_SB_S6_S9_S3_SB_S9_S3_PS5_21rocsparse_index_base_SD_SD_SD_bbb
		.amdhsa_group_segment_fixed_size 0
		.amdhsa_private_segment_fixed_size 0
		.amdhsa_kernarg_size 156
		.amdhsa_user_sgpr_count 15
		.amdhsa_user_sgpr_dispatch_ptr 0
		.amdhsa_user_sgpr_queue_ptr 0
		.amdhsa_user_sgpr_kernarg_segment_ptr 1
		.amdhsa_user_sgpr_dispatch_id 0
		.amdhsa_user_sgpr_private_segment_size 0
		.amdhsa_wavefront_size32 1
		.amdhsa_uses_dynamic_stack 0
		.amdhsa_enable_private_segment 0
		.amdhsa_system_sgpr_workgroup_id_x 1
		.amdhsa_system_sgpr_workgroup_id_y 0
		.amdhsa_system_sgpr_workgroup_id_z 0
		.amdhsa_system_sgpr_workgroup_info 0
		.amdhsa_system_vgpr_workitem_id 0
		.amdhsa_next_free_vgpr 15
		.amdhsa_next_free_sgpr 50
		.amdhsa_reserve_vcc 1
		.amdhsa_float_round_mode_32 0
		.amdhsa_float_round_mode_16_64 0
		.amdhsa_float_denorm_mode_32 3
		.amdhsa_float_denorm_mode_16_64 3
		.amdhsa_dx10_clamp 1
		.amdhsa_ieee_mode 1
		.amdhsa_fp16_overflow 0
		.amdhsa_workgroup_processor_mode 1
		.amdhsa_memory_ordered 1
		.amdhsa_forward_progress 0
		.amdhsa_shared_vgpr_count 0
		.amdhsa_exception_fp_ieee_invalid_op 0
		.amdhsa_exception_fp_denorm_src 0
		.amdhsa_exception_fp_ieee_div_zero 0
		.amdhsa_exception_fp_ieee_overflow 0
		.amdhsa_exception_fp_ieee_underflow 0
		.amdhsa_exception_fp_ieee_inexact 0
		.amdhsa_exception_int_div_zero 0
	.end_amdhsa_kernel
	.section	.text._ZN9rocsparseL41csrgemm_numeric_fill_block_per_row_kernelILj1024ELj64ELj4096ELj137ELj32EiifEEvT5_PKS1_S3_NS_24const_host_device_scalarIT6_EEPKT4_S3_PKS5_S9_S3_SB_S6_S9_S3_SB_S9_S3_PS5_21rocsparse_index_base_SD_SD_SD_bbb,"axG",@progbits,_ZN9rocsparseL41csrgemm_numeric_fill_block_per_row_kernelILj1024ELj64ELj4096ELj137ELj32EiifEEvT5_PKS1_S3_NS_24const_host_device_scalarIT6_EEPKT4_S3_PKS5_S9_S3_SB_S6_S9_S3_SB_S9_S3_PS5_21rocsparse_index_base_SD_SD_SD_bbb,comdat
.Lfunc_end10:
	.size	_ZN9rocsparseL41csrgemm_numeric_fill_block_per_row_kernelILj1024ELj64ELj4096ELj137ELj32EiifEEvT5_PKS1_S3_NS_24const_host_device_scalarIT6_EEPKT4_S3_PKS5_S9_S3_SB_S6_S9_S3_SB_S9_S3_PS5_21rocsparse_index_base_SD_SD_SD_bbb, .Lfunc_end10-_ZN9rocsparseL41csrgemm_numeric_fill_block_per_row_kernelILj1024ELj64ELj4096ELj137ELj32EiifEEvT5_PKS1_S3_NS_24const_host_device_scalarIT6_EEPKT4_S3_PKS5_S9_S3_SB_S6_S9_S3_SB_S9_S3_PS5_21rocsparse_index_base_SD_SD_SD_bbb
                                        ; -- End function
	.section	.AMDGPU.csdata,"",@progbits
; Kernel info:
; codeLenInByte = 3852
; NumSgprs: 52
; NumVgprs: 15
; ScratchSize: 0
; MemoryBound: 0
; FloatMode: 240
; IeeeMode: 1
; LDSByteSize: 0 bytes/workgroup (compile time only)
; SGPRBlocks: 6
; VGPRBlocks: 1
; NumSGPRsForWavesPerEU: 52
; NumVGPRsForWavesPerEU: 15
; Occupancy: 16
; WaveLimiterHint : 1
; COMPUTE_PGM_RSRC2:SCRATCH_EN: 0
; COMPUTE_PGM_RSRC2:USER_SGPR: 15
; COMPUTE_PGM_RSRC2:TRAP_HANDLER: 0
; COMPUTE_PGM_RSRC2:TGID_X_EN: 1
; COMPUTE_PGM_RSRC2:TGID_Y_EN: 0
; COMPUTE_PGM_RSRC2:TGID_Z_EN: 0
; COMPUTE_PGM_RSRC2:TIDIG_COMP_CNT: 0
	.section	.text._ZN9rocsparseL41csrgemm_numeric_fill_block_per_row_kernelILj1024ELj64ELj4096ELj137ELj64EiifEEvT5_PKS1_S3_NS_24const_host_device_scalarIT6_EEPKT4_S3_PKS5_S9_S3_SB_S6_S9_S3_SB_S9_S3_PS5_21rocsparse_index_base_SD_SD_SD_bbb,"axG",@progbits,_ZN9rocsparseL41csrgemm_numeric_fill_block_per_row_kernelILj1024ELj64ELj4096ELj137ELj64EiifEEvT5_PKS1_S3_NS_24const_host_device_scalarIT6_EEPKT4_S3_PKS5_S9_S3_SB_S6_S9_S3_SB_S9_S3_PS5_21rocsparse_index_base_SD_SD_SD_bbb,comdat
	.globl	_ZN9rocsparseL41csrgemm_numeric_fill_block_per_row_kernelILj1024ELj64ELj4096ELj137ELj64EiifEEvT5_PKS1_S3_NS_24const_host_device_scalarIT6_EEPKT4_S3_PKS5_S9_S3_SB_S6_S9_S3_SB_S9_S3_PS5_21rocsparse_index_base_SD_SD_SD_bbb ; -- Begin function _ZN9rocsparseL41csrgemm_numeric_fill_block_per_row_kernelILj1024ELj64ELj4096ELj137ELj64EiifEEvT5_PKS1_S3_NS_24const_host_device_scalarIT6_EEPKT4_S3_PKS5_S9_S3_SB_S6_S9_S3_SB_S9_S3_PS5_21rocsparse_index_base_SD_SD_SD_bbb
	.p2align	8
	.type	_ZN9rocsparseL41csrgemm_numeric_fill_block_per_row_kernelILj1024ELj64ELj4096ELj137ELj64EiifEEvT5_PKS1_S3_NS_24const_host_device_scalarIT6_EEPKT4_S3_PKS5_S9_S3_SB_S6_S9_S3_SB_S9_S3_PS5_21rocsparse_index_base_SD_SD_SD_bbb,@function
_ZN9rocsparseL41csrgemm_numeric_fill_block_per_row_kernelILj1024ELj64ELj4096ELj137ELj64EiifEEvT5_PKS1_S3_NS_24const_host_device_scalarIT6_EEPKT4_S3_PKS5_S9_S3_SB_S6_S9_S3_SB_S9_S3_PS5_21rocsparse_index_base_SD_SD_SD_bbb: ; @_ZN9rocsparseL41csrgemm_numeric_fill_block_per_row_kernelILj1024ELj64ELj4096ELj137ELj64EiifEEvT5_PKS1_S3_NS_24const_host_device_scalarIT6_EEPKT4_S3_PKS5_S9_S3_SB_S6_S9_S3_SB_S9_S3_PS5_21rocsparse_index_base_SD_SD_SD_bbb
; %bb.0:
	s_clause 0x3
	s_load_b32 s12, s[0:1], 0x98
	s_load_b128 s[24:27], s[0:1], 0x88
	s_load_b64 s[4:5], s[0:1], 0x18
	s_load_b64 s[2:3], s[0:1], 0x50
	s_waitcnt lgkmcnt(0)
	s_bitcmp1_b32 s12, 0
	s_cselect_b32 s13, -1, 0
	s_bitcmp1_b32 s12, 16
	s_cselect_b32 s14, -1, 0
	s_xor_b32 s6, s13, -1
	s_delay_alu instid0(SALU_CYCLE_1) | instskip(NEXT) | instid1(SALU_CYCLE_1)
	s_or_b32 s6, s6, s14
	s_and_b32 vcc_lo, exec_lo, s6
	s_cbranch_vccnz .LBB11_2
; %bb.1:
	s_load_b32 s4, s[4:5], 0x0
	s_waitcnt lgkmcnt(0)
	v_mov_b32_e32 v9, s4
	s_branch .LBB11_3
.LBB11_2:
	v_cndmask_b32_e64 v9, 0, s4, s13
.LBB11_3:
	s_clause 0x4
	s_load_b64 s[34:35], s[0:1], 0x80
	s_load_b256 s[16:23], s[0:1], 0x58
	s_load_b128 s[28:31], s[0:1], 0x40
	s_load_b128 s[36:39], s[0:1], 0x8
	s_load_b256 s[4:11], s[0:1], 0x20
	s_bitcmp1_b32 s12, 8
	s_cselect_b32 s12, -1, 0
	s_delay_alu instid0(SALU_CYCLE_1) | instskip(NEXT) | instid1(SALU_CYCLE_1)
	s_xor_b32 s33, s12, -1
	s_or_b32 s14, s33, s14
	s_delay_alu instid0(SALU_CYCLE_1)
	s_and_b32 vcc_lo, exec_lo, s14
	s_cbranch_vccnz .LBB11_5
; %bb.4:
	s_load_b32 s2, s[2:3], 0x0
	s_waitcnt lgkmcnt(0)
	v_mov_b32_e32 v7, s2
	s_branch .LBB11_6
.LBB11_5:
	v_cndmask_b32_e64 v7, 0, s2, s12
.LBB11_6:
	s_load_b32 s33, s[0:1], 0x0
	v_lshl_add_u32 v5, v0, 2, 0
	v_or_b32_e32 v6, 0xfffffc00, v0
	v_mov_b32_e32 v1, 0
	s_mov_b32 s0, 0
	s_delay_alu instid0(VALU_DEP_3)
	v_mov_b32_e32 v2, v5
	s_waitcnt lgkmcnt(0)
	v_dual_mov_b32 v4, v6 :: v_dual_mov_b32 v3, s33
.LBB11_7:                               ; =>This Inner Loop Header: Depth=1
	s_delay_alu instid0(VALU_DEP_1) | instskip(SKIP_4) | instid1(SALU_CYCLE_1)
	v_add_nc_u32_e32 v4, 0x400, v4
	ds_store_2addr_stride64_b32 v2, v3, v1 offset1:64
	v_add_nc_u32_e32 v2, 0x1000, v2
	v_cmp_lt_u32_e32 vcc_lo, 0xbff, v4
	s_or_b32 s0, vcc_lo, s0
	s_and_not1_b32 exec_lo, exec_lo, s0
	s_cbranch_execnz .LBB11_7
; %bb.8:
	s_or_b32 exec_lo, exec_lo, s0
	s_waitcnt lgkmcnt(0)
	s_barrier
	buffer_gl0_inv
	s_load_b32 s0, s[36:37], 0x0
	s_mov_b32 s1, 0
	v_lshrrev_b32_e32 v8, 6, v0
	s_waitcnt lgkmcnt(0)
	s_add_i32 s0, s0, s15
	s_delay_alu instid0(SALU_CYCLE_1) | instskip(NEXT) | instid1(SALU_CYCLE_1)
	s_lshl_b64 s[0:1], s[0:1], 2
	s_add_u32 s0, s38, s0
	s_addc_u32 s1, s39, s1
	s_and_b32 vcc_lo, exec_lo, s13
	s_load_b32 s36, s[0:1], 0x0
	s_cbranch_vccz .LBB11_28
; %bb.9:
	s_waitcnt lgkmcnt(0)
	s_ashr_i32 s37, s36, 31
	v_subrev_nc_u32_e32 v1, s24, v8
	s_lshl_b64 s[0:1], s[36:37], 2
	s_delay_alu instid0(SALU_CYCLE_1)
	s_add_u32 s0, s4, s0
	s_addc_u32 s1, s5, s1
	s_load_b64 s[0:1], s[0:1], 0x0
	s_waitcnt lgkmcnt(0)
	v_add_nc_u32_e32 v1, s0, v1
	s_sub_i32 s0, s1, s24
	s_mov_b32 s1, exec_lo
	s_delay_alu instid0(VALU_DEP_1)
	v_cmpx_gt_i32_e64 s0, v1
	s_cbranch_execz .LBB11_27
; %bb.10:
	v_and_b32_e32 v2, 63, v0
	s_mov_b32 s2, 0
	s_delay_alu instid0(VALU_DEP_1)
	v_subrev_nc_u32_e32 v10, s25, v2
	s_branch .LBB11_12
.LBB11_11:                              ;   in Loop: Header=BB11_12 Depth=1
	s_or_b32 exec_lo, exec_lo, s3
	v_add_nc_u32_e32 v1, 16, v1
	s_delay_alu instid0(VALU_DEP_1) | instskip(SKIP_1) | instid1(SALU_CYCLE_1)
	v_cmp_le_i32_e32 vcc_lo, s0, v1
	s_or_b32 s2, vcc_lo, s2
	s_and_not1_b32 exec_lo, exec_lo, s2
	s_cbranch_execz .LBB11_27
.LBB11_12:                              ; =>This Loop Header: Depth=1
                                        ;     Child Loop BB11_15 Depth 2
                                        ;       Child Loop BB11_17 Depth 3
	v_ashrrev_i32_e32 v2, 31, v1
	s_mov_b32 s3, exec_lo
	s_delay_alu instid0(VALU_DEP_1) | instskip(NEXT) | instid1(VALU_DEP_1)
	v_lshlrev_b64 v[3:4], 2, v[1:2]
	v_add_co_u32 v11, vcc_lo, s6, v3
	s_delay_alu instid0(VALU_DEP_2) | instskip(SKIP_3) | instid1(VALU_DEP_1)
	v_add_co_ci_u32_e32 v12, vcc_lo, s7, v4, vcc_lo
	global_load_b32 v2, v[11:12], off
	s_waitcnt vmcnt(0)
	v_subrev_nc_u32_e32 v11, s24, v2
	v_ashrrev_i32_e32 v12, 31, v11
	s_delay_alu instid0(VALU_DEP_1) | instskip(NEXT) | instid1(VALU_DEP_1)
	v_lshlrev_b64 v[11:12], 2, v[11:12]
	v_add_co_u32 v11, vcc_lo, s10, v11
	s_delay_alu instid0(VALU_DEP_2) | instskip(SKIP_4) | instid1(VALU_DEP_1)
	v_add_co_ci_u32_e32 v12, vcc_lo, s11, v12, vcc_lo
	global_load_b64 v[12:13], v[11:12], off
	s_waitcnt vmcnt(0)
	v_subrev_nc_u32_e32 v11, s25, v13
	v_add_nc_u32_e32 v2, v12, v10
	v_cmpx_lt_i32_e64 v2, v11
	s_cbranch_execz .LBB11_11
; %bb.13:                               ;   in Loop: Header=BB11_12 Depth=1
	v_add_co_u32 v3, vcc_lo, s8, v3
	v_add_co_ci_u32_e32 v4, vcc_lo, s9, v4, vcc_lo
	s_mov_b32 s4, 0
	global_load_b32 v3, v[3:4], off
	s_waitcnt vmcnt(0)
	v_mul_f32_e32 v4, v9, v3
	s_branch .LBB11_15
.LBB11_14:                              ;   in Loop: Header=BB11_15 Depth=2
	s_or_b32 exec_lo, exec_lo, s5
	v_add_nc_u32_e32 v2, 64, v2
	s_delay_alu instid0(VALU_DEP_1) | instskip(SKIP_1) | instid1(SALU_CYCLE_1)
	v_cmp_ge_i32_e32 vcc_lo, v2, v11
	s_or_b32 s4, vcc_lo, s4
	s_and_not1_b32 exec_lo, exec_lo, s4
	s_cbranch_execz .LBB11_11
.LBB11_15:                              ;   Parent Loop BB11_12 Depth=1
                                        ; =>  This Loop Header: Depth=2
                                        ;       Child Loop BB11_17 Depth 3
	v_ashrrev_i32_e32 v3, 31, v2
	s_mov_b32 s5, 0
	s_delay_alu instid0(VALU_DEP_1) | instskip(NEXT) | instid1(VALU_DEP_1)
	v_lshlrev_b64 v[12:13], 2, v[2:3]
	v_add_co_u32 v14, vcc_lo, s28, v12
	s_delay_alu instid0(VALU_DEP_2)
	v_add_co_ci_u32_e32 v15, vcc_lo, s29, v13, vcc_lo
	v_add_co_u32 v12, vcc_lo, s30, v12
	v_add_co_ci_u32_e32 v13, vcc_lo, s31, v13, vcc_lo
	global_load_b32 v3, v[14:15], off
	global_load_b32 v12, v[12:13], off
	s_waitcnt vmcnt(1)
	v_subrev_nc_u32_e32 v3, s25, v3
	s_delay_alu instid0(VALU_DEP_1) | instskip(SKIP_1) | instid1(VALU_DEP_1)
	v_mul_lo_u32 v13, 0x89, v3
	s_waitcnt vmcnt(0)
	v_dual_mul_f32 v12, v4, v12 :: v_dual_and_b32 v13, 0xfff, v13
	s_branch .LBB11_17
.LBB11_16:                              ;   in Loop: Header=BB11_17 Depth=3
	s_or_b32 exec_lo, exec_lo, s13
	s_xor_b32 s13, s14, -1
	s_delay_alu instid0(SALU_CYCLE_1) | instskip(NEXT) | instid1(SALU_CYCLE_1)
	s_and_b32 s13, exec_lo, s13
	s_or_b32 s5, s13, s5
	s_delay_alu instid0(SALU_CYCLE_1)
	s_and_not1_b32 exec_lo, exec_lo, s5
	s_cbranch_execz .LBB11_14
.LBB11_17:                              ;   Parent Loop BB11_12 Depth=1
                                        ;     Parent Loop BB11_15 Depth=2
                                        ; =>    This Inner Loop Header: Depth=3
	s_delay_alu instid0(VALU_DEP_1)
	v_lshl_add_u32 v14, v13, 2, 0
	s_mov_b32 s13, exec_lo
                                        ; implicit-def: $sgpr14
	ds_load_b32 v15, v14
	s_waitcnt lgkmcnt(0)
	v_cmpx_ne_u32_e64 v15, v3
	s_xor_b32 s13, exec_lo, s13
	s_cbranch_execz .LBB11_25
; %bb.18:                               ;   in Loop: Header=BB11_17 Depth=3
	s_mov_b32 s15, exec_lo
                                        ; implicit-def: $sgpr14
	v_cmpx_ne_u32_e64 s33, v15
	s_xor_b32 s15, exec_lo, s15
; %bb.19:                               ;   in Loop: Header=BB11_17 Depth=3
	v_add_nc_u32_e32 v13, 1, v13
	s_mov_b32 s14, -1
                                        ; implicit-def: $vgpr14
	s_delay_alu instid0(VALU_DEP_1)
	v_and_b32_e32 v13, 0xfff, v13
; %bb.20:                               ;   in Loop: Header=BB11_17 Depth=3
	s_and_not1_saveexec_b32 s15, s15
	s_cbranch_execz .LBB11_24
; %bb.21:                               ;   in Loop: Header=BB11_17 Depth=3
	v_mov_b32_e32 v15, s33
	s_mov_b32 s37, -1
	s_mov_b32 s38, exec_lo
	ds_cmpstore_rtn_b32 v15, v14, v3, v15
	s_waitcnt lgkmcnt(0)
	v_cmpx_eq_u32_e64 s33, v15
	s_cbranch_execz .LBB11_23
; %bb.22:                               ;   in Loop: Header=BB11_17 Depth=3
	ds_add_f32 v14, v12 offset:16384
	s_xor_b32 s37, exec_lo, -1
.LBB11_23:                              ;   in Loop: Header=BB11_17 Depth=3
	s_or_b32 exec_lo, exec_lo, s38
	s_delay_alu instid0(SALU_CYCLE_1) | instskip(SKIP_1) | instid1(SALU_CYCLE_1)
	s_and_not1_b32 s14, s14, exec_lo
	s_and_b32 s37, s37, exec_lo
	s_or_b32 s14, s14, s37
.LBB11_24:                              ;   in Loop: Header=BB11_17 Depth=3
	s_or_b32 exec_lo, exec_lo, s15
	s_delay_alu instid0(SALU_CYCLE_1)
	s_and_b32 s14, s14, exec_lo
                                        ; implicit-def: $vgpr14
.LBB11_25:                              ;   in Loop: Header=BB11_17 Depth=3
	s_and_not1_saveexec_b32 s13, s13
	s_cbranch_execz .LBB11_16
; %bb.26:                               ;   in Loop: Header=BB11_17 Depth=3
	ds_add_f32 v14, v12 offset:16384
	s_and_not1_b32 s14, s14, exec_lo
	s_branch .LBB11_16
.LBB11_27:
	s_or_b32 exec_lo, exec_lo, s1
.LBB11_28:
	s_delay_alu instid0(SALU_CYCLE_1)
	s_and_not1_b32 vcc_lo, exec_lo, s12
	s_cbranch_vccnz .LBB11_45
; %bb.29:
	s_waitcnt lgkmcnt(0)
	s_ashr_i32 s37, s36, 31
	v_subrev_nc_u32_e32 v1, s27, v0
	s_lshl_b64 s[0:1], s[36:37], 2
	s_delay_alu instid0(SALU_CYCLE_1)
	s_add_u32 s0, s16, s0
	s_addc_u32 s1, s17, s1
	s_load_b64 s[0:1], s[0:1], 0x0
	s_waitcnt lgkmcnt(0)
	v_add_nc_u32_e32 v1, s0, v1
	s_sub_i32 s0, s1, s27
	s_mov_b32 s1, exec_lo
	s_delay_alu instid0(VALU_DEP_1)
	v_cmpx_gt_i32_e64 s0, v1
	s_cbranch_execz .LBB11_44
; %bb.30:
	s_mov_b32 s2, 0
	s_branch .LBB11_32
.LBB11_31:                              ;   in Loop: Header=BB11_32 Depth=1
	s_or_b32 exec_lo, exec_lo, s3
	v_add_nc_u32_e32 v1, 0x400, v1
	s_delay_alu instid0(VALU_DEP_1) | instskip(SKIP_1) | instid1(SALU_CYCLE_1)
	v_cmp_le_i32_e32 vcc_lo, s0, v1
	s_or_b32 s2, vcc_lo, s2
	s_and_not1_b32 exec_lo, exec_lo, s2
	s_cbranch_execz .LBB11_44
.LBB11_32:                              ; =>This Loop Header: Depth=1
                                        ;     Child Loop BB11_34 Depth 2
	v_ashrrev_i32_e32 v2, 31, v1
	s_mov_b32 s3, 0
	s_delay_alu instid0(VALU_DEP_1) | instskip(NEXT) | instid1(VALU_DEP_1)
	v_lshlrev_b64 v[2:3], 2, v[1:2]
	v_add_co_u32 v9, vcc_lo, s18, v2
	s_delay_alu instid0(VALU_DEP_2)
	v_add_co_ci_u32_e32 v10, vcc_lo, s19, v3, vcc_lo
	v_add_co_u32 v2, vcc_lo, s20, v2
	v_add_co_ci_u32_e32 v3, vcc_lo, s21, v3, vcc_lo
	global_load_b32 v4, v[9:10], off
	global_load_b32 v3, v[2:3], off
	s_waitcnt vmcnt(1)
	v_subrev_nc_u32_e32 v2, s27, v4
	s_delay_alu instid0(VALU_DEP_1) | instskip(SKIP_1) | instid1(VALU_DEP_1)
	v_mul_lo_u32 v4, 0x89, v2
	s_waitcnt vmcnt(0)
	v_dual_mul_f32 v3, v7, v3 :: v_dual_and_b32 v4, 0xfff, v4
	s_branch .LBB11_34
.LBB11_33:                              ;   in Loop: Header=BB11_34 Depth=2
	s_or_b32 exec_lo, exec_lo, s4
	s_xor_b32 s4, s5, -1
	s_delay_alu instid0(SALU_CYCLE_1) | instskip(NEXT) | instid1(SALU_CYCLE_1)
	s_and_b32 s4, exec_lo, s4
	s_or_b32 s3, s4, s3
	s_delay_alu instid0(SALU_CYCLE_1)
	s_and_not1_b32 exec_lo, exec_lo, s3
	s_cbranch_execz .LBB11_31
.LBB11_34:                              ;   Parent Loop BB11_32 Depth=1
                                        ; =>  This Inner Loop Header: Depth=2
	s_delay_alu instid0(VALU_DEP_1)
	v_lshl_add_u32 v9, v4, 2, 0
	s_mov_b32 s4, exec_lo
                                        ; implicit-def: $sgpr5
	ds_load_b32 v10, v9
	s_waitcnt lgkmcnt(0)
	v_cmpx_ne_u32_e64 v10, v2
	s_xor_b32 s4, exec_lo, s4
	s_cbranch_execz .LBB11_42
; %bb.35:                               ;   in Loop: Header=BB11_34 Depth=2
	s_mov_b32 s6, exec_lo
                                        ; implicit-def: $sgpr5
	v_cmpx_ne_u32_e64 s33, v10
	s_xor_b32 s6, exec_lo, s6
; %bb.36:                               ;   in Loop: Header=BB11_34 Depth=2
	v_add_nc_u32_e32 v4, 1, v4
	s_mov_b32 s5, -1
                                        ; implicit-def: $vgpr9
	s_delay_alu instid0(VALU_DEP_1)
	v_and_b32_e32 v4, 0xfff, v4
; %bb.37:                               ;   in Loop: Header=BB11_34 Depth=2
	s_and_not1_saveexec_b32 s6, s6
	s_cbranch_execz .LBB11_41
; %bb.38:                               ;   in Loop: Header=BB11_34 Depth=2
	v_mov_b32_e32 v10, s33
	s_mov_b32 s7, -1
	s_mov_b32 s8, exec_lo
	ds_cmpstore_rtn_b32 v10, v9, v2, v10
	s_waitcnt lgkmcnt(0)
	v_cmpx_eq_u32_e64 s33, v10
	s_cbranch_execz .LBB11_40
; %bb.39:                               ;   in Loop: Header=BB11_34 Depth=2
	ds_add_f32 v9, v3 offset:16384
	s_xor_b32 s7, exec_lo, -1
.LBB11_40:                              ;   in Loop: Header=BB11_34 Depth=2
	s_or_b32 exec_lo, exec_lo, s8
	s_delay_alu instid0(SALU_CYCLE_1) | instskip(SKIP_1) | instid1(SALU_CYCLE_1)
	s_and_not1_b32 s5, s5, exec_lo
	s_and_b32 s7, s7, exec_lo
	s_or_b32 s5, s5, s7
.LBB11_41:                              ;   in Loop: Header=BB11_34 Depth=2
	s_or_b32 exec_lo, exec_lo, s6
	s_delay_alu instid0(SALU_CYCLE_1)
	s_and_b32 s5, s5, exec_lo
                                        ; implicit-def: $vgpr9
.LBB11_42:                              ;   in Loop: Header=BB11_34 Depth=2
	s_and_not1_saveexec_b32 s4, s4
	s_cbranch_execz .LBB11_33
; %bb.43:                               ;   in Loop: Header=BB11_34 Depth=2
	ds_add_f32 v9, v3 offset:16384
	s_and_not1_b32 s5, s5, exec_lo
	s_branch .LBB11_33
.LBB11_44:
	s_or_b32 exec_lo, exec_lo, s1
.LBB11_45:
	v_mbcnt_lo_u32_b32 v1, -1, 0
	v_lshl_add_u32 v4, v8, 2, 0
	v_cmp_eq_u32_e32 vcc_lo, 0x3ff, v0
	v_cmp_lt_u32_e64 s0, 63, v0
	v_cmp_lt_u32_e64 s1, 0x7f, v0
	v_xor_b32_e32 v1, 63, v1
	v_cmp_lt_u32_e64 s2, 0xbf, v0
	v_cmp_lt_u32_e64 s3, 0xff, v0
	;; [unrolled: 1-line block ×4, first 2 shown]
	v_lshrrev_b64 v[1:2], v1, -1
	v_cmp_lt_u32_e64 s6, 0x1bf, v0
	v_cmp_lt_u32_e64 s7, 0x1ff, v0
	v_cmp_lt_u32_e64 s8, 0x23f, v0
	v_cmp_lt_u32_e64 s9, 0x27f, v0
	v_cmp_lt_u32_e64 s10, 0x2bf, v0
	v_cmp_lt_u32_e64 s11, 0x2ff, v0
	v_cmp_lt_u32_e64 s12, 0x33f, v0
	v_cmp_lt_u32_e64 s13, 0x37f, v0
	v_cmp_lt_u32_e64 s14, 0x3bf, v0
	v_dual_mov_b32 v7, 0 :: v_dual_mov_b32 v8, 0
	s_mov_b32 s16, 0
	s_waitcnt lgkmcnt(0)
	s_barrier
	buffer_gl0_inv
	s_branch .LBB11_47
.LBB11_46:                              ;   in Loop: Header=BB11_47 Depth=1
	s_or_b32 exec_lo, exec_lo, s15
	s_waitcnt lgkmcnt(0)
	s_barrier
	buffer_gl0_inv
	ds_load_b32 v2, v7 offset:32828
	v_add_nc_u32_e32 v6, 0x400, v6
	v_add_nc_u32_e32 v5, 0x1000, v5
	s_delay_alu instid0(VALU_DEP_2) | instskip(NEXT) | instid1(VALU_DEP_1)
	v_cmp_lt_u32_e64 s15, 0xbff, v6
	s_or_b32 s16, s15, s16
	s_waitcnt lgkmcnt(0)
	v_add_nc_u32_e32 v8, v2, v8
	s_and_not1_b32 exec_lo, exec_lo, s16
	s_cbranch_execz .LBB11_81
.LBB11_47:                              ; =>This Inner Loop Header: Depth=1
	ds_load_2addr_stride64_b32 v[2:3], v5 offset1:64
	s_waitcnt lgkmcnt(0)
	s_barrier
	buffer_gl0_inv
	v_cmp_gt_i32_e64 s15, s33, v2
	s_delay_alu instid0(VALU_DEP_1) | instskip(NEXT) | instid1(SALU_CYCLE_1)
	s_bcnt1_i32_b32 s17, s15
	v_dual_mov_b32 v10, s17 :: v_dual_and_b32 v9, s15, v1
	s_delay_alu instid0(VALU_DEP_1)
	v_bcnt_u32_b32 v9, v9, 0
	ds_store_b32 v4, v10 offset:32768
	s_waitcnt lgkmcnt(0)
	s_barrier
	buffer_gl0_inv
	s_and_saveexec_b32 s17, s0
	s_cbranch_execnz .LBB11_64
; %bb.48:                               ;   in Loop: Header=BB11_47 Depth=1
	s_or_b32 exec_lo, exec_lo, s17
	s_and_saveexec_b32 s17, s1
	s_cbranch_execnz .LBB11_65
.LBB11_49:                              ;   in Loop: Header=BB11_47 Depth=1
	s_or_b32 exec_lo, exec_lo, s17
	s_and_saveexec_b32 s17, s2
	s_cbranch_execnz .LBB11_66
.LBB11_50:                              ;   in Loop: Header=BB11_47 Depth=1
	s_or_b32 exec_lo, exec_lo, s17
	s_and_saveexec_b32 s17, s3
	s_cbranch_execnz .LBB11_67
.LBB11_51:                              ;   in Loop: Header=BB11_47 Depth=1
	s_or_b32 exec_lo, exec_lo, s17
	s_and_saveexec_b32 s17, s4
	s_cbranch_execnz .LBB11_68
.LBB11_52:                              ;   in Loop: Header=BB11_47 Depth=1
	s_or_b32 exec_lo, exec_lo, s17
	s_and_saveexec_b32 s17, s5
	s_cbranch_execnz .LBB11_69
.LBB11_53:                              ;   in Loop: Header=BB11_47 Depth=1
	s_or_b32 exec_lo, exec_lo, s17
	s_and_saveexec_b32 s17, s6
	s_cbranch_execnz .LBB11_70
.LBB11_54:                              ;   in Loop: Header=BB11_47 Depth=1
	s_or_b32 exec_lo, exec_lo, s17
	s_and_saveexec_b32 s17, s7
	s_cbranch_execnz .LBB11_71
.LBB11_55:                              ;   in Loop: Header=BB11_47 Depth=1
	s_or_b32 exec_lo, exec_lo, s17
	s_and_saveexec_b32 s17, s8
	s_cbranch_execnz .LBB11_72
.LBB11_56:                              ;   in Loop: Header=BB11_47 Depth=1
	s_or_b32 exec_lo, exec_lo, s17
	s_and_saveexec_b32 s17, s9
	s_cbranch_execnz .LBB11_73
.LBB11_57:                              ;   in Loop: Header=BB11_47 Depth=1
	s_or_b32 exec_lo, exec_lo, s17
	s_and_saveexec_b32 s17, s10
	s_cbranch_execnz .LBB11_74
.LBB11_58:                              ;   in Loop: Header=BB11_47 Depth=1
	s_or_b32 exec_lo, exec_lo, s17
	s_and_saveexec_b32 s17, s11
	s_cbranch_execnz .LBB11_75
.LBB11_59:                              ;   in Loop: Header=BB11_47 Depth=1
	s_or_b32 exec_lo, exec_lo, s17
	s_and_saveexec_b32 s17, s12
	s_cbranch_execnz .LBB11_76
.LBB11_60:                              ;   in Loop: Header=BB11_47 Depth=1
	s_or_b32 exec_lo, exec_lo, s17
	s_and_saveexec_b32 s17, s13
	s_cbranch_execnz .LBB11_77
.LBB11_61:                              ;   in Loop: Header=BB11_47 Depth=1
	s_or_b32 exec_lo, exec_lo, s17
	s_and_saveexec_b32 s17, s14
	s_cbranch_execnz .LBB11_78
.LBB11_62:                              ;   in Loop: Header=BB11_47 Depth=1
	s_or_b32 exec_lo, exec_lo, s17
	s_and_saveexec_b32 s17, s15
	s_cbranch_execnz .LBB11_79
.LBB11_63:                              ;   in Loop: Header=BB11_47 Depth=1
	s_or_b32 exec_lo, exec_lo, s17
	s_and_saveexec_b32 s15, vcc_lo
	s_cbranch_execz .LBB11_46
	s_branch .LBB11_80
.LBB11_64:                              ;   in Loop: Header=BB11_47 Depth=1
	ds_load_b32 v10, v7 offset:32768
	s_waitcnt lgkmcnt(0)
	v_add_nc_u32_e32 v9, v10, v9
	s_or_b32 exec_lo, exec_lo, s17
	s_and_saveexec_b32 s17, s1
	s_cbranch_execz .LBB11_49
.LBB11_65:                              ;   in Loop: Header=BB11_47 Depth=1
	ds_load_b32 v10, v7 offset:32772
	s_waitcnt lgkmcnt(0)
	v_add_nc_u32_e32 v9, v10, v9
	s_or_b32 exec_lo, exec_lo, s17
	s_and_saveexec_b32 s17, s2
	s_cbranch_execz .LBB11_50
.LBB11_66:                              ;   in Loop: Header=BB11_47 Depth=1
	ds_load_b32 v10, v7 offset:32776
	s_waitcnt lgkmcnt(0)
	v_add_nc_u32_e32 v9, v10, v9
	s_or_b32 exec_lo, exec_lo, s17
	s_and_saveexec_b32 s17, s3
	s_cbranch_execz .LBB11_51
.LBB11_67:                              ;   in Loop: Header=BB11_47 Depth=1
	ds_load_b32 v10, v7 offset:32780
	s_waitcnt lgkmcnt(0)
	v_add_nc_u32_e32 v9, v10, v9
	s_or_b32 exec_lo, exec_lo, s17
	s_and_saveexec_b32 s17, s4
	s_cbranch_execz .LBB11_52
.LBB11_68:                              ;   in Loop: Header=BB11_47 Depth=1
	ds_load_b32 v10, v7 offset:32784
	s_waitcnt lgkmcnt(0)
	v_add_nc_u32_e32 v9, v10, v9
	s_or_b32 exec_lo, exec_lo, s17
	s_and_saveexec_b32 s17, s5
	s_cbranch_execz .LBB11_53
.LBB11_69:                              ;   in Loop: Header=BB11_47 Depth=1
	ds_load_b32 v10, v7 offset:32788
	s_waitcnt lgkmcnt(0)
	v_add_nc_u32_e32 v9, v10, v9
	s_or_b32 exec_lo, exec_lo, s17
	s_and_saveexec_b32 s17, s6
	s_cbranch_execz .LBB11_54
.LBB11_70:                              ;   in Loop: Header=BB11_47 Depth=1
	ds_load_b32 v10, v7 offset:32792
	s_waitcnt lgkmcnt(0)
	v_add_nc_u32_e32 v9, v10, v9
	s_or_b32 exec_lo, exec_lo, s17
	s_and_saveexec_b32 s17, s7
	s_cbranch_execz .LBB11_55
.LBB11_71:                              ;   in Loop: Header=BB11_47 Depth=1
	ds_load_b32 v10, v7 offset:32796
	s_waitcnt lgkmcnt(0)
	v_add_nc_u32_e32 v9, v10, v9
	s_or_b32 exec_lo, exec_lo, s17
	s_and_saveexec_b32 s17, s8
	s_cbranch_execz .LBB11_56
.LBB11_72:                              ;   in Loop: Header=BB11_47 Depth=1
	ds_load_b32 v10, v7 offset:32800
	s_waitcnt lgkmcnt(0)
	v_add_nc_u32_e32 v9, v10, v9
	s_or_b32 exec_lo, exec_lo, s17
	s_and_saveexec_b32 s17, s9
	s_cbranch_execz .LBB11_57
.LBB11_73:                              ;   in Loop: Header=BB11_47 Depth=1
	ds_load_b32 v10, v7 offset:32804
	s_waitcnt lgkmcnt(0)
	v_add_nc_u32_e32 v9, v10, v9
	s_or_b32 exec_lo, exec_lo, s17
	s_and_saveexec_b32 s17, s10
	s_cbranch_execz .LBB11_58
.LBB11_74:                              ;   in Loop: Header=BB11_47 Depth=1
	ds_load_b32 v10, v7 offset:32808
	s_waitcnt lgkmcnt(0)
	v_add_nc_u32_e32 v9, v10, v9
	s_or_b32 exec_lo, exec_lo, s17
	s_and_saveexec_b32 s17, s11
	s_cbranch_execz .LBB11_59
.LBB11_75:                              ;   in Loop: Header=BB11_47 Depth=1
	ds_load_b32 v10, v7 offset:32812
	s_waitcnt lgkmcnt(0)
	v_add_nc_u32_e32 v9, v10, v9
	s_or_b32 exec_lo, exec_lo, s17
	s_and_saveexec_b32 s17, s12
	s_cbranch_execz .LBB11_60
.LBB11_76:                              ;   in Loop: Header=BB11_47 Depth=1
	ds_load_b32 v10, v7 offset:32816
	s_waitcnt lgkmcnt(0)
	v_add_nc_u32_e32 v9, v10, v9
	s_or_b32 exec_lo, exec_lo, s17
	s_and_saveexec_b32 s17, s13
	s_cbranch_execz .LBB11_61
.LBB11_77:                              ;   in Loop: Header=BB11_47 Depth=1
	ds_load_b32 v10, v7 offset:32820
	s_waitcnt lgkmcnt(0)
	v_add_nc_u32_e32 v9, v10, v9
	s_or_b32 exec_lo, exec_lo, s17
	s_and_saveexec_b32 s17, s14
	s_cbranch_execz .LBB11_62
.LBB11_78:                              ;   in Loop: Header=BB11_47 Depth=1
	ds_load_b32 v10, v7 offset:32824
	s_waitcnt lgkmcnt(0)
	v_add_nc_u32_e32 v9, v10, v9
	s_or_b32 exec_lo, exec_lo, s17
	s_and_saveexec_b32 s17, s15
	s_cbranch_execz .LBB11_63
.LBB11_79:                              ;   in Loop: Header=BB11_47 Depth=1
	s_delay_alu instid0(VALU_DEP_1) | instskip(NEXT) | instid1(VALU_DEP_1)
	v_add3_u32 v10, v8, -1, v9
	v_lshl_add_u32 v10, v10, 2, 0
	ds_store_2addr_stride64_b32 v10, v2, v3 offset1:64
	s_or_b32 exec_lo, exec_lo, s17
	s_and_saveexec_b32 s15, vcc_lo
	s_cbranch_execz .LBB11_46
.LBB11_80:                              ;   in Loop: Header=BB11_47 Depth=1
	ds_store_b32 v7, v9 offset:32828
	s_branch .LBB11_46
.LBB11_81:
	s_or_b32 exec_lo, exec_lo, s16
	s_ashr_i32 s37, s36, 31
	s_mov_b32 s3, exec_lo
	s_lshl_b64 s[0:1], s[36:37], 2
	s_delay_alu instid0(SALU_CYCLE_1) | instskip(SKIP_4) | instid1(SALU_CYCLE_1)
	s_add_u32 s0, s22, s0
	s_addc_u32 s1, s23, s1
	s_load_b64 s[0:1], s[0:1], 0x0
	s_waitcnt lgkmcnt(0)
	s_sub_i32 s2, s1, s0
	v_cmpx_gt_i32_e64 s2, v0
	s_cbranch_execz .LBB11_91
; %bb.82:
	s_sub_i32 s3, s0, s26
	s_sub_i32 s0, s0, s1
	s_and_b32 s1, s2, 7
	s_cmp_lt_u32 s0, -7
	s_mov_b32 s7, 0
	s_cselect_b32 s4, -1, 0
	s_and_b32 s5, s2, -8
	s_cmp_lg_u32 s1, 0
	s_cselect_b32 s6, -1, 0
	s_branch .LBB11_84
.LBB11_83:                              ;   in Loop: Header=BB11_84 Depth=1
	s_delay_alu instid0(VALU_DEP_1) | instskip(SKIP_1) | instid1(VALU_DEP_2)
	v_ashrrev_i32_e32 v4, 31, v3
	v_add_nc_u32_e32 v0, 0x400, v0
	v_lshlrev_b64 v[3:4], 2, v[3:4]
	s_delay_alu instid0(VALU_DEP_2) | instskip(SKIP_1) | instid1(VALU_DEP_2)
	v_cmp_le_i32_e32 vcc_lo, s2, v0
	s_or_b32 s7, vcc_lo, s7
	v_add_co_u32 v3, s0, s34, v3
	s_delay_alu instid0(VALU_DEP_1)
	v_add_co_ci_u32_e64 v4, s0, s35, v4, s0
	s_waitcnt lgkmcnt(0)
	global_store_b32 v[3:4], v2, off
	s_and_not1_b32 exec_lo, exec_lo, s7
	s_cbranch_execz .LBB11_91
.LBB11_84:                              ; =>This Loop Header: Depth=1
                                        ;     Child Loop BB11_86 Depth 2
                                        ;     Child Loop BB11_90 Depth 2
	v_lshl_add_u32 v1, v0, 2, 0
	v_mov_b32_e32 v3, s3
	s_and_not1_b32 vcc_lo, exec_lo, s4
	s_mov_b32 s0, 0
	ds_load_2addr_stride64_b32 v[1:2], v1 offset1:64
	s_cbranch_vccnz .LBB11_88
; %bb.85:                               ;   in Loop: Header=BB11_84 Depth=1
	v_mov_b32_e32 v3, s3
	s_mov_b32 s8, 0
	s_set_inst_prefetch_distance 0x1
	.p2align	6
.LBB11_86:                              ;   Parent Loop BB11_84 Depth=1
                                        ; =>  This Inner Loop Header: Depth=2
	v_mov_b32_e32 v10, s8
	s_add_i32 s0, s0, 8
	s_add_i32 s8, s8, 32
	s_cmp_eq_u32 s5, s0
	ds_load_2addr_b32 v[4:5], v10 offset1:1
	ds_load_2addr_b32 v[6:7], v10 offset0:2 offset1:3
	ds_load_2addr_b32 v[8:9], v10 offset0:4 offset1:5
	;; [unrolled: 1-line block ×3, first 2 shown]
	s_waitcnt lgkmcnt(3)
	v_cmp_gt_i32_e32 vcc_lo, v1, v4
	v_cndmask_b32_e64 v4, 0, 1, vcc_lo
	s_waitcnt lgkmcnt(2)
	v_cmp_gt_i32_e32 vcc_lo, v1, v6
	v_cndmask_b32_e64 v6, 0, 1, vcc_lo
	v_cmp_gt_i32_e32 vcc_lo, v1, v5
	v_add_co_ci_u32_e32 v3, vcc_lo, v3, v4, vcc_lo
	s_waitcnt lgkmcnt(1)
	v_cmp_gt_i32_e32 vcc_lo, v1, v8
	v_cndmask_b32_e64 v4, 0, 1, vcc_lo
	v_cmp_gt_i32_e32 vcc_lo, v1, v7
	v_add_co_ci_u32_e32 v3, vcc_lo, v3, v6, vcc_lo
	;; [unrolled: 5-line block ×3, first 2 shown]
	v_cmp_gt_i32_e32 vcc_lo, v1, v11
	s_delay_alu instid0(VALU_DEP_2)
	v_add_co_ci_u32_e32 v3, vcc_lo, v3, v5, vcc_lo
	s_cbranch_scc0 .LBB11_86
; %bb.87:                               ;   in Loop: Header=BB11_84 Depth=1
	s_set_inst_prefetch_distance 0x2
	s_mov_b32 s0, s5
.LBB11_88:                              ;   in Loop: Header=BB11_84 Depth=1
	s_and_not1_b32 vcc_lo, exec_lo, s6
	s_cbranch_vccnz .LBB11_83
; %bb.89:                               ;   in Loop: Header=BB11_84 Depth=1
	s_lshl_b32 s0, s0, 2
	s_mov_b32 s8, s1
	s_add_i32 s0, s0, 0
.LBB11_90:                              ;   Parent Loop BB11_84 Depth=1
                                        ; =>  This Inner Loop Header: Depth=2
	s_delay_alu instid0(SALU_CYCLE_1)
	v_mov_b32_e32 v4, s0
	s_add_i32 s8, s8, -1
	s_add_i32 s0, s0, 4
	s_cmp_lg_u32 s8, 0
	ds_load_b32 v4, v4
	s_waitcnt lgkmcnt(0)
	v_cmp_gt_i32_e32 vcc_lo, v1, v4
	v_add_co_ci_u32_e32 v3, vcc_lo, 0, v3, vcc_lo
	s_cbranch_scc1 .LBB11_90
	s_branch .LBB11_83
.LBB11_91:
	s_nop 0
	s_sendmsg sendmsg(MSG_DEALLOC_VGPRS)
	s_endpgm
	.section	.rodata,"a",@progbits
	.p2align	6, 0x0
	.amdhsa_kernel _ZN9rocsparseL41csrgemm_numeric_fill_block_per_row_kernelILj1024ELj64ELj4096ELj137ELj64EiifEEvT5_PKS1_S3_NS_24const_host_device_scalarIT6_EEPKT4_S3_PKS5_S9_S3_SB_S6_S9_S3_SB_S9_S3_PS5_21rocsparse_index_base_SD_SD_SD_bbb
		.amdhsa_group_segment_fixed_size 0
		.amdhsa_private_segment_fixed_size 0
		.amdhsa_kernarg_size 156
		.amdhsa_user_sgpr_count 15
		.amdhsa_user_sgpr_dispatch_ptr 0
		.amdhsa_user_sgpr_queue_ptr 0
		.amdhsa_user_sgpr_kernarg_segment_ptr 1
		.amdhsa_user_sgpr_dispatch_id 0
		.amdhsa_user_sgpr_private_segment_size 0
		.amdhsa_wavefront_size32 1
		.amdhsa_uses_dynamic_stack 0
		.amdhsa_enable_private_segment 0
		.amdhsa_system_sgpr_workgroup_id_x 1
		.amdhsa_system_sgpr_workgroup_id_y 0
		.amdhsa_system_sgpr_workgroup_id_z 0
		.amdhsa_system_sgpr_workgroup_info 0
		.amdhsa_system_vgpr_workitem_id 0
		.amdhsa_next_free_vgpr 16
		.amdhsa_next_free_sgpr 40
		.amdhsa_reserve_vcc 1
		.amdhsa_float_round_mode_32 0
		.amdhsa_float_round_mode_16_64 0
		.amdhsa_float_denorm_mode_32 3
		.amdhsa_float_denorm_mode_16_64 3
		.amdhsa_dx10_clamp 1
		.amdhsa_ieee_mode 1
		.amdhsa_fp16_overflow 0
		.amdhsa_workgroup_processor_mode 1
		.amdhsa_memory_ordered 1
		.amdhsa_forward_progress 0
		.amdhsa_shared_vgpr_count 0
		.amdhsa_exception_fp_ieee_invalid_op 0
		.amdhsa_exception_fp_denorm_src 0
		.amdhsa_exception_fp_ieee_div_zero 0
		.amdhsa_exception_fp_ieee_overflow 0
		.amdhsa_exception_fp_ieee_underflow 0
		.amdhsa_exception_fp_ieee_inexact 0
		.amdhsa_exception_int_div_zero 0
	.end_amdhsa_kernel
	.section	.text._ZN9rocsparseL41csrgemm_numeric_fill_block_per_row_kernelILj1024ELj64ELj4096ELj137ELj64EiifEEvT5_PKS1_S3_NS_24const_host_device_scalarIT6_EEPKT4_S3_PKS5_S9_S3_SB_S6_S9_S3_SB_S9_S3_PS5_21rocsparse_index_base_SD_SD_SD_bbb,"axG",@progbits,_ZN9rocsparseL41csrgemm_numeric_fill_block_per_row_kernelILj1024ELj64ELj4096ELj137ELj64EiifEEvT5_PKS1_S3_NS_24const_host_device_scalarIT6_EEPKT4_S3_PKS5_S9_S3_SB_S6_S9_S3_SB_S9_S3_PS5_21rocsparse_index_base_SD_SD_SD_bbb,comdat
.Lfunc_end11:
	.size	_ZN9rocsparseL41csrgemm_numeric_fill_block_per_row_kernelILj1024ELj64ELj4096ELj137ELj64EiifEEvT5_PKS1_S3_NS_24const_host_device_scalarIT6_EEPKT4_S3_PKS5_S9_S3_SB_S6_S9_S3_SB_S9_S3_PS5_21rocsparse_index_base_SD_SD_SD_bbb, .Lfunc_end11-_ZN9rocsparseL41csrgemm_numeric_fill_block_per_row_kernelILj1024ELj64ELj4096ELj137ELj64EiifEEvT5_PKS1_S3_NS_24const_host_device_scalarIT6_EEPKT4_S3_PKS5_S9_S3_SB_S6_S9_S3_SB_S9_S3_PS5_21rocsparse_index_base_SD_SD_SD_bbb
                                        ; -- End function
	.section	.AMDGPU.csdata,"",@progbits
; Kernel info:
; codeLenInByte = 3012
; NumSgprs: 42
; NumVgprs: 16
; ScratchSize: 0
; MemoryBound: 0
; FloatMode: 240
; IeeeMode: 1
; LDSByteSize: 0 bytes/workgroup (compile time only)
; SGPRBlocks: 5
; VGPRBlocks: 1
; NumSGPRsForWavesPerEU: 42
; NumVGPRsForWavesPerEU: 16
; Occupancy: 16
; WaveLimiterHint : 1
; COMPUTE_PGM_RSRC2:SCRATCH_EN: 0
; COMPUTE_PGM_RSRC2:USER_SGPR: 15
; COMPUTE_PGM_RSRC2:TRAP_HANDLER: 0
; COMPUTE_PGM_RSRC2:TGID_X_EN: 1
; COMPUTE_PGM_RSRC2:TGID_Y_EN: 0
; COMPUTE_PGM_RSRC2:TGID_Z_EN: 0
; COMPUTE_PGM_RSRC2:TIDIG_COMP_CNT: 0
	.section	.text._ZN9rocsparseL41csrgemm_numeric_fill_block_per_row_kernelILj1024ELj64ELj8192ELj137ELj32EiifEEvT5_PKS1_S3_NS_24const_host_device_scalarIT6_EEPKT4_S3_PKS5_S9_S3_SB_S6_S9_S3_SB_S9_S3_PS5_21rocsparse_index_base_SD_SD_SD_bbb,"axG",@progbits,_ZN9rocsparseL41csrgemm_numeric_fill_block_per_row_kernelILj1024ELj64ELj8192ELj137ELj32EiifEEvT5_PKS1_S3_NS_24const_host_device_scalarIT6_EEPKT4_S3_PKS5_S9_S3_SB_S6_S9_S3_SB_S9_S3_PS5_21rocsparse_index_base_SD_SD_SD_bbb,comdat
	.globl	_ZN9rocsparseL41csrgemm_numeric_fill_block_per_row_kernelILj1024ELj64ELj8192ELj137ELj32EiifEEvT5_PKS1_S3_NS_24const_host_device_scalarIT6_EEPKT4_S3_PKS5_S9_S3_SB_S6_S9_S3_SB_S9_S3_PS5_21rocsparse_index_base_SD_SD_SD_bbb ; -- Begin function _ZN9rocsparseL41csrgemm_numeric_fill_block_per_row_kernelILj1024ELj64ELj8192ELj137ELj32EiifEEvT5_PKS1_S3_NS_24const_host_device_scalarIT6_EEPKT4_S3_PKS5_S9_S3_SB_S6_S9_S3_SB_S9_S3_PS5_21rocsparse_index_base_SD_SD_SD_bbb
	.p2align	8
	.type	_ZN9rocsparseL41csrgemm_numeric_fill_block_per_row_kernelILj1024ELj64ELj8192ELj137ELj32EiifEEvT5_PKS1_S3_NS_24const_host_device_scalarIT6_EEPKT4_S3_PKS5_S9_S3_SB_S6_S9_S3_SB_S9_S3_PS5_21rocsparse_index_base_SD_SD_SD_bbb,@function
_ZN9rocsparseL41csrgemm_numeric_fill_block_per_row_kernelILj1024ELj64ELj8192ELj137ELj32EiifEEvT5_PKS1_S3_NS_24const_host_device_scalarIT6_EEPKT4_S3_PKS5_S9_S3_SB_S6_S9_S3_SB_S9_S3_PS5_21rocsparse_index_base_SD_SD_SD_bbb: ; @_ZN9rocsparseL41csrgemm_numeric_fill_block_per_row_kernelILj1024ELj64ELj8192ELj137ELj32EiifEEvT5_PKS1_S3_NS_24const_host_device_scalarIT6_EEPKT4_S3_PKS5_S9_S3_SB_S6_S9_S3_SB_S9_S3_PS5_21rocsparse_index_base_SD_SD_SD_bbb
; %bb.0:
	s_clause 0x4
	s_load_b32 s11, s[0:1], 0x98
	s_load_b128 s[4:7], s[0:1], 0x8
	s_load_b64 s[8:9], s[0:1], 0x18
	s_load_b128 s[36:39], s[0:1], 0x88
	s_load_b64 s[2:3], s[0:1], 0x50
	s_waitcnt lgkmcnt(0)
	s_bitcmp1_b32 s11, 0
	s_cselect_b32 s10, -1, 0
	s_bitcmp1_b32 s11, 16
	s_cselect_b32 s13, -1, 0
	s_xor_b32 s12, s10, -1
	s_delay_alu instid0(SALU_CYCLE_1) | instskip(NEXT) | instid1(SALU_CYCLE_1)
	s_or_b32 s12, s12, s13
	s_and_b32 vcc_lo, exec_lo, s12
	s_cbranch_vccnz .LBB12_2
; %bb.1:
	s_load_b32 s8, s[8:9], 0x0
	s_waitcnt lgkmcnt(0)
	v_mov_b32_e32 v6, s8
	s_branch .LBB12_3
.LBB12_2:
	v_cndmask_b32_e64 v6, 0, s8, s10
.LBB12_3:
	s_bitcmp1_b32 s11, 8
	s_cselect_b32 s12, -1, 0
	s_delay_alu instid0(SALU_CYCLE_1) | instskip(NEXT) | instid1(SALU_CYCLE_1)
	s_xor_b32 s8, s12, -1
	s_or_b32 s8, s8, s13
	s_delay_alu instid0(SALU_CYCLE_1)
	s_and_b32 vcc_lo, exec_lo, s8
	s_cbranch_vccnz .LBB12_5
; %bb.4:
	s_load_b32 s2, s[2:3], 0x0
	s_waitcnt lgkmcnt(0)
	v_mov_b32_e32 v5, s2
	s_branch .LBB12_6
.LBB12_5:
	v_cndmask_b32_e64 v5, 0, s2, s12
.LBB12_6:
	s_load_b32 s33, s[0:1], 0x0
	v_dual_mov_b32 v2, 0 :: v_dual_lshlrev_b32 v1, 2, v0
	s_mov_b32 s3, 0
	s_delay_alu instid0(VALU_DEP_1)
	v_add3_u32 v3, 0, 0x8000, v1
	v_add_nc_u32_e32 v1, 0, v1
	ds_store_2addr_stride64_b32 v3, v2, v2 offset0:16 offset1:32
	ds_store_2addr_stride64_b32 v3, v2, v2 offset0:48 offset1:64
	;; [unrolled: 1-line block ×3, first 2 shown]
	s_waitcnt lgkmcnt(0)
	v_dual_mov_b32 v4, s33 :: v_dual_mov_b32 v7, s33
	v_dual_mov_b32 v8, s33 :: v_dual_mov_b32 v9, s33
	;; [unrolled: 1-line block ×4, first 2 shown]
	ds_store_b32 v1, v2 offset:32768
	ds_store_b32 v3, v2 offset:28672
	ds_store_2addr_stride64_b32 v1, v4, v7 offset1:16
	ds_store_2addr_stride64_b32 v1, v8, v9 offset0:32 offset1:48
	ds_store_2addr_stride64_b32 v1, v10, v11 offset0:64 offset1:80
	;; [unrolled: 1-line block ×3, first 2 shown]
	s_waitcnt lgkmcnt(0)
	s_barrier
	buffer_gl0_inv
	s_load_b32 s2, s[4:5], 0x0
	s_waitcnt lgkmcnt(0)
	s_add_i32 s2, s2, s15
	s_delay_alu instid0(SALU_CYCLE_1) | instskip(NEXT) | instid1(SALU_CYCLE_1)
	s_lshl_b64 s[2:3], s[2:3], 2
	s_add_u32 s2, s6, s2
	s_addc_u32 s3, s7, s3
	s_and_not1_b32 vcc_lo, exec_lo, s10
	s_load_b32 s34, s[2:3], 0x0
	s_cbranch_vccnz .LBB12_26
; %bb.7:
	s_load_b64 s[2:3], s[0:1], 0x20
	s_waitcnt lgkmcnt(0)
	s_ashr_i32 s35, s34, 31
	v_lshrrev_b32_e32 v1, 6, v0
	s_lshl_b64 s[4:5], s[34:35], 2
	s_mov_b32 s14, exec_lo
	s_delay_alu instid0(VALU_DEP_1)
	v_subrev_nc_u32_e32 v1, s36, v1
	s_add_u32 s2, s2, s4
	s_addc_u32 s3, s3, s5
	s_load_b64 s[2:3], s[2:3], 0x0
	s_waitcnt lgkmcnt(0)
	v_add_nc_u32_e32 v1, s2, v1
	s_sub_i32 s13, s3, s36
	s_delay_alu instid0(VALU_DEP_1) | instid1(SALU_CYCLE_1)
	v_cmpx_gt_i32_e64 s13, v1
	s_cbranch_execz .LBB12_25
; %bb.8:
	s_clause 0x1
	s_load_b64 s[2:3], s[0:1], 0x48
	s_load_b256 s[4:11], s[0:1], 0x28
	v_and_b32_e32 v2, 63, v0
	s_mov_b32 s15, 0
	s_delay_alu instid0(VALU_DEP_1)
	v_subrev_nc_u32_e32 v7, s37, v2
	s_branch .LBB12_10
.LBB12_9:                               ;   in Loop: Header=BB12_10 Depth=1
	s_or_b32 exec_lo, exec_lo, s16
	v_add_nc_u32_e32 v1, 16, v1
	s_delay_alu instid0(VALU_DEP_1) | instskip(SKIP_1) | instid1(SALU_CYCLE_1)
	v_cmp_le_i32_e32 vcc_lo, s13, v1
	s_or_b32 s15, vcc_lo, s15
	s_and_not1_b32 exec_lo, exec_lo, s15
	s_cbranch_execz .LBB12_25
.LBB12_10:                              ; =>This Loop Header: Depth=1
                                        ;     Child Loop BB12_13 Depth 2
                                        ;       Child Loop BB12_15 Depth 3
	v_ashrrev_i32_e32 v2, 31, v1
	s_mov_b32 s16, exec_lo
	s_delay_alu instid0(VALU_DEP_1) | instskip(SKIP_1) | instid1(VALU_DEP_1)
	v_lshlrev_b64 v[3:4], 2, v[1:2]
	s_waitcnt lgkmcnt(0)
	v_add_co_u32 v8, vcc_lo, s4, v3
	s_delay_alu instid0(VALU_DEP_2) | instskip(SKIP_3) | instid1(VALU_DEP_1)
	v_add_co_ci_u32_e32 v9, vcc_lo, s5, v4, vcc_lo
	global_load_b32 v2, v[8:9], off
	s_waitcnt vmcnt(0)
	v_subrev_nc_u32_e32 v8, s36, v2
	v_ashrrev_i32_e32 v9, 31, v8
	s_delay_alu instid0(VALU_DEP_1) | instskip(NEXT) | instid1(VALU_DEP_1)
	v_lshlrev_b64 v[8:9], 2, v[8:9]
	v_add_co_u32 v8, vcc_lo, s8, v8
	s_delay_alu instid0(VALU_DEP_2) | instskip(SKIP_4) | instid1(VALU_DEP_1)
	v_add_co_ci_u32_e32 v9, vcc_lo, s9, v9, vcc_lo
	global_load_b64 v[9:10], v[8:9], off
	s_waitcnt vmcnt(0)
	v_subrev_nc_u32_e32 v8, s37, v10
	v_add_nc_u32_e32 v2, v9, v7
	v_cmpx_lt_i32_e64 v2, v8
	s_cbranch_execz .LBB12_9
; %bb.11:                               ;   in Loop: Header=BB12_10 Depth=1
	v_add_co_u32 v3, vcc_lo, s6, v3
	v_add_co_ci_u32_e32 v4, vcc_lo, s7, v4, vcc_lo
	s_mov_b32 s17, 0
	global_load_b32 v3, v[3:4], off
	s_waitcnt vmcnt(0)
	v_mul_f32_e32 v4, v6, v3
	s_branch .LBB12_13
.LBB12_12:                              ;   in Loop: Header=BB12_13 Depth=2
	s_or_b32 exec_lo, exec_lo, s18
	v_add_nc_u32_e32 v2, 64, v2
	s_delay_alu instid0(VALU_DEP_1) | instskip(SKIP_1) | instid1(SALU_CYCLE_1)
	v_cmp_ge_i32_e32 vcc_lo, v2, v8
	s_or_b32 s17, vcc_lo, s17
	s_and_not1_b32 exec_lo, exec_lo, s17
	s_cbranch_execz .LBB12_9
.LBB12_13:                              ;   Parent Loop BB12_10 Depth=1
                                        ; =>  This Loop Header: Depth=2
                                        ;       Child Loop BB12_15 Depth 3
	v_ashrrev_i32_e32 v3, 31, v2
	s_mov_b32 s18, 0
	s_delay_alu instid0(VALU_DEP_1) | instskip(NEXT) | instid1(VALU_DEP_1)
	v_lshlrev_b64 v[9:10], 2, v[2:3]
	v_add_co_u32 v11, vcc_lo, s10, v9
	s_delay_alu instid0(VALU_DEP_2)
	v_add_co_ci_u32_e32 v12, vcc_lo, s11, v10, vcc_lo
	v_add_co_u32 v9, vcc_lo, s2, v9
	v_add_co_ci_u32_e32 v10, vcc_lo, s3, v10, vcc_lo
	global_load_b32 v3, v[11:12], off
	global_load_b32 v9, v[9:10], off
	s_waitcnt vmcnt(1)
	v_subrev_nc_u32_e32 v3, s37, v3
	s_delay_alu instid0(VALU_DEP_1) | instskip(SKIP_1) | instid1(VALU_DEP_1)
	v_mul_lo_u32 v10, 0x89, v3
	s_waitcnt vmcnt(0)
	v_dual_mul_f32 v9, v4, v9 :: v_dual_and_b32 v10, 0x1fff, v10
	s_branch .LBB12_15
.LBB12_14:                              ;   in Loop: Header=BB12_15 Depth=3
	s_or_b32 exec_lo, exec_lo, s19
	s_xor_b32 s19, s20, -1
	s_delay_alu instid0(SALU_CYCLE_1) | instskip(NEXT) | instid1(SALU_CYCLE_1)
	s_and_b32 s19, exec_lo, s19
	s_or_b32 s18, s19, s18
	s_delay_alu instid0(SALU_CYCLE_1)
	s_and_not1_b32 exec_lo, exec_lo, s18
	s_cbranch_execz .LBB12_12
.LBB12_15:                              ;   Parent Loop BB12_10 Depth=1
                                        ;     Parent Loop BB12_13 Depth=2
                                        ; =>    This Inner Loop Header: Depth=3
	s_delay_alu instid0(VALU_DEP_1)
	v_lshl_add_u32 v11, v10, 2, 0
	s_mov_b32 s19, exec_lo
                                        ; implicit-def: $sgpr20
	ds_load_b32 v12, v11
	s_waitcnt lgkmcnt(0)
	v_cmpx_ne_u32_e64 v12, v3
	s_xor_b32 s19, exec_lo, s19
	s_cbranch_execz .LBB12_23
; %bb.16:                               ;   in Loop: Header=BB12_15 Depth=3
	s_mov_b32 s21, exec_lo
                                        ; implicit-def: $sgpr20
	v_cmpx_ne_u32_e64 s33, v12
	s_xor_b32 s21, exec_lo, s21
; %bb.17:                               ;   in Loop: Header=BB12_15 Depth=3
	v_add_nc_u32_e32 v10, 1, v10
	s_mov_b32 s20, -1
                                        ; implicit-def: $vgpr11
	s_delay_alu instid0(VALU_DEP_1)
	v_and_b32_e32 v10, 0x1fff, v10
; %bb.18:                               ;   in Loop: Header=BB12_15 Depth=3
	s_and_not1_saveexec_b32 s21, s21
	s_cbranch_execz .LBB12_22
; %bb.19:                               ;   in Loop: Header=BB12_15 Depth=3
	v_mov_b32_e32 v12, s33
	s_mov_b32 s22, -1
	s_mov_b32 s23, exec_lo
	ds_cmpstore_rtn_b32 v12, v11, v3, v12
	s_waitcnt lgkmcnt(0)
	v_cmpx_eq_u32_e64 s33, v12
	s_cbranch_execz .LBB12_21
; %bb.20:                               ;   in Loop: Header=BB12_15 Depth=3
	ds_add_f32 v11, v9 offset:32768
	s_xor_b32 s22, exec_lo, -1
.LBB12_21:                              ;   in Loop: Header=BB12_15 Depth=3
	s_or_b32 exec_lo, exec_lo, s23
	s_delay_alu instid0(SALU_CYCLE_1) | instskip(SKIP_1) | instid1(SALU_CYCLE_1)
	s_and_not1_b32 s20, s20, exec_lo
	s_and_b32 s22, s22, exec_lo
	s_or_b32 s20, s20, s22
.LBB12_22:                              ;   in Loop: Header=BB12_15 Depth=3
	s_or_b32 exec_lo, exec_lo, s21
	s_delay_alu instid0(SALU_CYCLE_1)
	s_and_b32 s20, s20, exec_lo
                                        ; implicit-def: $vgpr11
.LBB12_23:                              ;   in Loop: Header=BB12_15 Depth=3
	s_and_not1_saveexec_b32 s19, s19
	s_cbranch_execz .LBB12_14
; %bb.24:                               ;   in Loop: Header=BB12_15 Depth=3
	ds_add_f32 v11, v9 offset:32768
	s_and_not1_b32 s20, s20, exec_lo
	s_branch .LBB12_14
.LBB12_25:
	s_or_b32 exec_lo, exec_lo, s14
.LBB12_26:
	s_clause 0x1
	s_load_b64 s[36:37], s[0:1], 0x80
	s_load_b64 s[40:41], s[0:1], 0x70
	s_and_not1_b32 vcc_lo, exec_lo, s12
	s_cbranch_vccnz .LBB12_43
; %bb.27:
	s_load_b64 s[2:3], s[0:1], 0x58
	s_waitcnt lgkmcnt(0)
	s_ashr_i32 s35, s34, 31
	v_subrev_nc_u32_e32 v1, s39, v0
	s_lshl_b64 s[4:5], s[34:35], 2
	s_delay_alu instid0(SALU_CYCLE_1)
	s_add_u32 s2, s2, s4
	s_addc_u32 s3, s3, s5
	s_mov_b32 s5, exec_lo
	s_load_b64 s[2:3], s[2:3], 0x0
	s_waitcnt lgkmcnt(0)
	v_add_nc_u32_e32 v1, s2, v1
	s_sub_i32 s4, s3, s39
	s_delay_alu instid0(VALU_DEP_1) | instid1(SALU_CYCLE_1)
	v_cmpx_gt_i32_e64 s4, v1
	s_cbranch_execz .LBB12_42
; %bb.28:
	s_load_b128 s[0:3], s[0:1], 0x60
	s_mov_b32 s6, 0
	s_branch .LBB12_30
.LBB12_29:                              ;   in Loop: Header=BB12_30 Depth=1
	s_or_b32 exec_lo, exec_lo, s7
	v_add_nc_u32_e32 v1, 0x400, v1
	s_delay_alu instid0(VALU_DEP_1) | instskip(SKIP_1) | instid1(SALU_CYCLE_1)
	v_cmp_le_i32_e32 vcc_lo, s4, v1
	s_or_b32 s6, vcc_lo, s6
	s_and_not1_b32 exec_lo, exec_lo, s6
	s_cbranch_execz .LBB12_42
.LBB12_30:                              ; =>This Loop Header: Depth=1
                                        ;     Child Loop BB12_32 Depth 2
	v_ashrrev_i32_e32 v2, 31, v1
	s_mov_b32 s7, 0
	s_delay_alu instid0(VALU_DEP_1) | instskip(SKIP_1) | instid1(VALU_DEP_1)
	v_lshlrev_b64 v[2:3], 2, v[1:2]
	s_waitcnt lgkmcnt(0)
	v_add_co_u32 v6, vcc_lo, s0, v2
	s_delay_alu instid0(VALU_DEP_2)
	v_add_co_ci_u32_e32 v7, vcc_lo, s1, v3, vcc_lo
	v_add_co_u32 v2, vcc_lo, s2, v2
	v_add_co_ci_u32_e32 v3, vcc_lo, s3, v3, vcc_lo
	global_load_b32 v4, v[6:7], off
	global_load_b32 v3, v[2:3], off
	s_waitcnt vmcnt(1)
	v_subrev_nc_u32_e32 v2, s39, v4
	s_delay_alu instid0(VALU_DEP_1) | instskip(SKIP_1) | instid1(VALU_DEP_1)
	v_mul_lo_u32 v4, 0x89, v2
	s_waitcnt vmcnt(0)
	v_dual_mul_f32 v3, v5, v3 :: v_dual_and_b32 v4, 0x1fff, v4
	s_branch .LBB12_32
.LBB12_31:                              ;   in Loop: Header=BB12_32 Depth=2
	s_or_b32 exec_lo, exec_lo, s8
	s_xor_b32 s8, s9, -1
	s_delay_alu instid0(SALU_CYCLE_1) | instskip(NEXT) | instid1(SALU_CYCLE_1)
	s_and_b32 s8, exec_lo, s8
	s_or_b32 s7, s8, s7
	s_delay_alu instid0(SALU_CYCLE_1)
	s_and_not1_b32 exec_lo, exec_lo, s7
	s_cbranch_execz .LBB12_29
.LBB12_32:                              ;   Parent Loop BB12_30 Depth=1
                                        ; =>  This Inner Loop Header: Depth=2
	s_delay_alu instid0(VALU_DEP_1)
	v_lshl_add_u32 v6, v4, 2, 0
	s_mov_b32 s8, exec_lo
                                        ; implicit-def: $sgpr9
	ds_load_b32 v7, v6
	s_waitcnt lgkmcnt(0)
	v_cmpx_ne_u32_e64 v7, v2
	s_xor_b32 s8, exec_lo, s8
	s_cbranch_execz .LBB12_40
; %bb.33:                               ;   in Loop: Header=BB12_32 Depth=2
	s_mov_b32 s10, exec_lo
                                        ; implicit-def: $sgpr9
	v_cmpx_ne_u32_e64 s33, v7
	s_xor_b32 s10, exec_lo, s10
; %bb.34:                               ;   in Loop: Header=BB12_32 Depth=2
	v_add_nc_u32_e32 v4, 1, v4
	s_mov_b32 s9, -1
                                        ; implicit-def: $vgpr6
	s_delay_alu instid0(VALU_DEP_1)
	v_and_b32_e32 v4, 0x1fff, v4
; %bb.35:                               ;   in Loop: Header=BB12_32 Depth=2
	s_and_not1_saveexec_b32 s10, s10
	s_cbranch_execz .LBB12_39
; %bb.36:                               ;   in Loop: Header=BB12_32 Depth=2
	v_mov_b32_e32 v7, s33
	s_mov_b32 s11, -1
	s_mov_b32 s12, exec_lo
	ds_cmpstore_rtn_b32 v7, v6, v2, v7
	s_waitcnt lgkmcnt(0)
	v_cmpx_eq_u32_e64 s33, v7
	s_cbranch_execz .LBB12_38
; %bb.37:                               ;   in Loop: Header=BB12_32 Depth=2
	ds_add_f32 v6, v3 offset:32768
	s_xor_b32 s11, exec_lo, -1
.LBB12_38:                              ;   in Loop: Header=BB12_32 Depth=2
	s_or_b32 exec_lo, exec_lo, s12
	s_delay_alu instid0(SALU_CYCLE_1) | instskip(SKIP_1) | instid1(SALU_CYCLE_1)
	s_and_not1_b32 s9, s9, exec_lo
	s_and_b32 s11, s11, exec_lo
	s_or_b32 s9, s9, s11
.LBB12_39:                              ;   in Loop: Header=BB12_32 Depth=2
	s_or_b32 exec_lo, exec_lo, s10
	s_delay_alu instid0(SALU_CYCLE_1)
	s_and_b32 s9, s9, exec_lo
                                        ; implicit-def: $vgpr6
.LBB12_40:                              ;   in Loop: Header=BB12_32 Depth=2
	s_and_not1_saveexec_b32 s8, s8
	s_cbranch_execz .LBB12_31
; %bb.41:                               ;   in Loop: Header=BB12_32 Depth=2
	ds_add_f32 v6, v3 offset:32768
	s_and_not1_b32 s9, s9, exec_lo
	s_branch .LBB12_31
.LBB12_42:
	s_or_b32 exec_lo, exec_lo, s5
.LBB12_43:
	v_mbcnt_lo_u32_b32 v1, -1, 0
	v_lshrrev_b32_e32 v2, 3, v0
	s_add_i32 s68, 0, 0x1007c
	v_cmp_eq_u32_e32 vcc_lo, 0x3ff, v0
	v_cmp_lt_u32_e64 s0, 31, v0
	v_xor_b32_e32 v1, 63, v1
	v_dual_mov_b32 v8, s68 :: v_dual_and_b32 v3, 0x7c, v2
	v_cmp_lt_u32_e64 s1, 63, v0
	v_cmp_lt_u32_e64 s2, 0x5f, v0
	s_delay_alu instid0(VALU_DEP_4) | instskip(NEXT) | instid1(VALU_DEP_4)
	v_lshrrev_b64 v[1:2], v1, -1
	v_add3_u32 v4, 0, 0x10000, v3
	v_cmp_lt_u32_e64 s3, 0x7f, v0
	v_cmp_lt_u32_e64 s4, 0x9f, v0
	;; [unrolled: 1-line block ×28, first 2 shown]
	v_or_b32_e32 v5, 0xfffffc00, v0
	v_lshl_add_u32 v6, v0, 2, 0
	v_mov_b32_e32 v7, 0
	s_mov_b32 s35, 0
	s_add_i32 s39, 0, 0x10000
	s_add_i32 s42, 0, 0x10004
	;; [unrolled: 1-line block ×31, first 2 shown]
	s_waitcnt lgkmcnt(0)
	s_barrier
	buffer_gl0_inv
	s_branch .LBB12_45
.LBB12_44:                              ;   in Loop: Header=BB12_45 Depth=1
	s_or_b32 exec_lo, exec_lo, s31
	s_waitcnt lgkmcnt(0)
	s_barrier
	buffer_gl0_inv
	ds_load_b32 v2, v8
	v_add_nc_u32_e32 v5, 0x400, v5
	v_add_nc_u32_e32 v6, 0x1000, v6
	s_delay_alu instid0(VALU_DEP_2) | instskip(NEXT) | instid1(VALU_DEP_1)
	v_cmp_lt_u32_e64 s31, 0x1bff, v5
	s_or_b32 s35, s31, s35
	s_waitcnt lgkmcnt(0)
	v_add_nc_u32_e32 v7, v2, v7
	s_and_not1_b32 exec_lo, exec_lo, s35
	s_cbranch_execz .LBB12_111
.LBB12_45:                              ; =>This Inner Loop Header: Depth=1
	ds_load_2addr_stride64_b32 v[2:3], v6 offset1:128
	s_waitcnt lgkmcnt(0)
	s_barrier
	buffer_gl0_inv
	v_cmp_gt_i32_e64 s31, s33, v2
	s_delay_alu instid0(VALU_DEP_1) | instskip(NEXT) | instid1(SALU_CYCLE_1)
	s_bcnt1_i32_b32 s73, s31
	v_dual_mov_b32 v10, s73 :: v_dual_and_b32 v9, s31, v1
	s_delay_alu instid0(VALU_DEP_1)
	v_bcnt_u32_b32 v9, v9, 0
	ds_store_b32 v4, v10
	s_waitcnt lgkmcnt(0)
	s_barrier
	buffer_gl0_inv
	s_and_saveexec_b32 s73, s0
	s_cbranch_execnz .LBB12_78
; %bb.46:                               ;   in Loop: Header=BB12_45 Depth=1
	s_or_b32 exec_lo, exec_lo, s73
	s_and_saveexec_b32 s73, s1
	s_cbranch_execnz .LBB12_79
.LBB12_47:                              ;   in Loop: Header=BB12_45 Depth=1
	s_or_b32 exec_lo, exec_lo, s73
	s_and_saveexec_b32 s73, s2
	s_cbranch_execnz .LBB12_80
.LBB12_48:                              ;   in Loop: Header=BB12_45 Depth=1
	s_or_b32 exec_lo, exec_lo, s73
	s_and_saveexec_b32 s73, s3
	s_cbranch_execnz .LBB12_81
.LBB12_49:                              ;   in Loop: Header=BB12_45 Depth=1
	s_or_b32 exec_lo, exec_lo, s73
	s_and_saveexec_b32 s73, s4
	s_cbranch_execnz .LBB12_82
.LBB12_50:                              ;   in Loop: Header=BB12_45 Depth=1
	s_or_b32 exec_lo, exec_lo, s73
	s_and_saveexec_b32 s73, s5
	s_cbranch_execnz .LBB12_83
.LBB12_51:                              ;   in Loop: Header=BB12_45 Depth=1
	s_or_b32 exec_lo, exec_lo, s73
	s_and_saveexec_b32 s73, s6
	s_cbranch_execnz .LBB12_84
.LBB12_52:                              ;   in Loop: Header=BB12_45 Depth=1
	s_or_b32 exec_lo, exec_lo, s73
	s_and_saveexec_b32 s73, s7
	s_cbranch_execnz .LBB12_85
.LBB12_53:                              ;   in Loop: Header=BB12_45 Depth=1
	s_or_b32 exec_lo, exec_lo, s73
	s_and_saveexec_b32 s73, s8
	s_cbranch_execnz .LBB12_86
.LBB12_54:                              ;   in Loop: Header=BB12_45 Depth=1
	s_or_b32 exec_lo, exec_lo, s73
	s_and_saveexec_b32 s73, s9
	s_cbranch_execnz .LBB12_87
.LBB12_55:                              ;   in Loop: Header=BB12_45 Depth=1
	s_or_b32 exec_lo, exec_lo, s73
	s_and_saveexec_b32 s73, s10
	s_cbranch_execnz .LBB12_88
.LBB12_56:                              ;   in Loop: Header=BB12_45 Depth=1
	s_or_b32 exec_lo, exec_lo, s73
	s_and_saveexec_b32 s73, s11
	s_cbranch_execnz .LBB12_89
.LBB12_57:                              ;   in Loop: Header=BB12_45 Depth=1
	s_or_b32 exec_lo, exec_lo, s73
	s_and_saveexec_b32 s73, s12
	s_cbranch_execnz .LBB12_90
.LBB12_58:                              ;   in Loop: Header=BB12_45 Depth=1
	s_or_b32 exec_lo, exec_lo, s73
	s_and_saveexec_b32 s73, s13
	s_cbranch_execnz .LBB12_91
.LBB12_59:                              ;   in Loop: Header=BB12_45 Depth=1
	s_or_b32 exec_lo, exec_lo, s73
	s_and_saveexec_b32 s73, s14
	s_cbranch_execnz .LBB12_92
.LBB12_60:                              ;   in Loop: Header=BB12_45 Depth=1
	s_or_b32 exec_lo, exec_lo, s73
	s_and_saveexec_b32 s73, s15
	s_cbranch_execnz .LBB12_93
.LBB12_61:                              ;   in Loop: Header=BB12_45 Depth=1
	s_or_b32 exec_lo, exec_lo, s73
	s_and_saveexec_b32 s73, s16
	s_cbranch_execnz .LBB12_94
.LBB12_62:                              ;   in Loop: Header=BB12_45 Depth=1
	s_or_b32 exec_lo, exec_lo, s73
	s_and_saveexec_b32 s73, s17
	s_cbranch_execnz .LBB12_95
.LBB12_63:                              ;   in Loop: Header=BB12_45 Depth=1
	s_or_b32 exec_lo, exec_lo, s73
	s_and_saveexec_b32 s73, s18
	s_cbranch_execnz .LBB12_96
.LBB12_64:                              ;   in Loop: Header=BB12_45 Depth=1
	s_or_b32 exec_lo, exec_lo, s73
	s_and_saveexec_b32 s73, s19
	s_cbranch_execnz .LBB12_97
.LBB12_65:                              ;   in Loop: Header=BB12_45 Depth=1
	s_or_b32 exec_lo, exec_lo, s73
	s_and_saveexec_b32 s73, s20
	s_cbranch_execnz .LBB12_98
.LBB12_66:                              ;   in Loop: Header=BB12_45 Depth=1
	s_or_b32 exec_lo, exec_lo, s73
	s_and_saveexec_b32 s73, s21
	s_cbranch_execnz .LBB12_99
.LBB12_67:                              ;   in Loop: Header=BB12_45 Depth=1
	s_or_b32 exec_lo, exec_lo, s73
	s_and_saveexec_b32 s73, s22
	s_cbranch_execnz .LBB12_100
.LBB12_68:                              ;   in Loop: Header=BB12_45 Depth=1
	s_or_b32 exec_lo, exec_lo, s73
	s_and_saveexec_b32 s73, s23
	s_cbranch_execnz .LBB12_101
.LBB12_69:                              ;   in Loop: Header=BB12_45 Depth=1
	s_or_b32 exec_lo, exec_lo, s73
	s_and_saveexec_b32 s73, s24
	s_cbranch_execnz .LBB12_102
.LBB12_70:                              ;   in Loop: Header=BB12_45 Depth=1
	s_or_b32 exec_lo, exec_lo, s73
	s_and_saveexec_b32 s73, s25
	s_cbranch_execnz .LBB12_103
.LBB12_71:                              ;   in Loop: Header=BB12_45 Depth=1
	s_or_b32 exec_lo, exec_lo, s73
	s_and_saveexec_b32 s73, s26
	s_cbranch_execnz .LBB12_104
.LBB12_72:                              ;   in Loop: Header=BB12_45 Depth=1
	s_or_b32 exec_lo, exec_lo, s73
	s_and_saveexec_b32 s73, s27
	s_cbranch_execnz .LBB12_105
.LBB12_73:                              ;   in Loop: Header=BB12_45 Depth=1
	s_or_b32 exec_lo, exec_lo, s73
	s_and_saveexec_b32 s73, s28
	s_cbranch_execnz .LBB12_106
.LBB12_74:                              ;   in Loop: Header=BB12_45 Depth=1
	s_or_b32 exec_lo, exec_lo, s73
	s_and_saveexec_b32 s73, s29
	s_cbranch_execnz .LBB12_107
.LBB12_75:                              ;   in Loop: Header=BB12_45 Depth=1
	s_or_b32 exec_lo, exec_lo, s73
	s_and_saveexec_b32 s73, s30
	s_cbranch_execnz .LBB12_108
.LBB12_76:                              ;   in Loop: Header=BB12_45 Depth=1
	s_or_b32 exec_lo, exec_lo, s73
	s_and_saveexec_b32 s73, s31
	s_cbranch_execnz .LBB12_109
.LBB12_77:                              ;   in Loop: Header=BB12_45 Depth=1
	s_or_b32 exec_lo, exec_lo, s73
	s_and_saveexec_b32 s31, vcc_lo
	s_cbranch_execz .LBB12_44
	s_branch .LBB12_110
.LBB12_78:                              ;   in Loop: Header=BB12_45 Depth=1
	v_mov_b32_e32 v10, s39
	ds_load_b32 v10, v10
	s_waitcnt lgkmcnt(0)
	v_add_nc_u32_e32 v9, v10, v9
	s_or_b32 exec_lo, exec_lo, s73
	s_and_saveexec_b32 s73, s1
	s_cbranch_execz .LBB12_47
.LBB12_79:                              ;   in Loop: Header=BB12_45 Depth=1
	v_mov_b32_e32 v10, s42
	ds_load_b32 v10, v10
	s_waitcnt lgkmcnt(0)
	v_add_nc_u32_e32 v9, v10, v9
	s_or_b32 exec_lo, exec_lo, s73
	s_and_saveexec_b32 s73, s2
	s_cbranch_execz .LBB12_48
.LBB12_80:                              ;   in Loop: Header=BB12_45 Depth=1
	v_mov_b32_e32 v10, s43
	ds_load_b32 v10, v10
	s_waitcnt lgkmcnt(0)
	v_add_nc_u32_e32 v9, v10, v9
	s_or_b32 exec_lo, exec_lo, s73
	s_and_saveexec_b32 s73, s3
	s_cbranch_execz .LBB12_49
.LBB12_81:                              ;   in Loop: Header=BB12_45 Depth=1
	v_mov_b32_e32 v10, s44
	ds_load_b32 v10, v10
	s_waitcnt lgkmcnt(0)
	v_add_nc_u32_e32 v9, v10, v9
	s_or_b32 exec_lo, exec_lo, s73
	s_and_saveexec_b32 s73, s4
	s_cbranch_execz .LBB12_50
.LBB12_82:                              ;   in Loop: Header=BB12_45 Depth=1
	v_mov_b32_e32 v10, s45
	ds_load_b32 v10, v10
	s_waitcnt lgkmcnt(0)
	v_add_nc_u32_e32 v9, v10, v9
	s_or_b32 exec_lo, exec_lo, s73
	s_and_saveexec_b32 s73, s5
	s_cbranch_execz .LBB12_51
.LBB12_83:                              ;   in Loop: Header=BB12_45 Depth=1
	v_mov_b32_e32 v10, s46
	ds_load_b32 v10, v10
	s_waitcnt lgkmcnt(0)
	v_add_nc_u32_e32 v9, v10, v9
	s_or_b32 exec_lo, exec_lo, s73
	s_and_saveexec_b32 s73, s6
	s_cbranch_execz .LBB12_52
.LBB12_84:                              ;   in Loop: Header=BB12_45 Depth=1
	v_mov_b32_e32 v10, s47
	ds_load_b32 v10, v10
	s_waitcnt lgkmcnt(0)
	v_add_nc_u32_e32 v9, v10, v9
	s_or_b32 exec_lo, exec_lo, s73
	s_and_saveexec_b32 s73, s7
	s_cbranch_execz .LBB12_53
.LBB12_85:                              ;   in Loop: Header=BB12_45 Depth=1
	v_mov_b32_e32 v10, s48
	ds_load_b32 v10, v10
	s_waitcnt lgkmcnt(0)
	v_add_nc_u32_e32 v9, v10, v9
	s_or_b32 exec_lo, exec_lo, s73
	s_and_saveexec_b32 s73, s8
	s_cbranch_execz .LBB12_54
.LBB12_86:                              ;   in Loop: Header=BB12_45 Depth=1
	v_mov_b32_e32 v10, s49
	ds_load_b32 v10, v10
	s_waitcnt lgkmcnt(0)
	v_add_nc_u32_e32 v9, v10, v9
	s_or_b32 exec_lo, exec_lo, s73
	s_and_saveexec_b32 s73, s9
	s_cbranch_execz .LBB12_55
.LBB12_87:                              ;   in Loop: Header=BB12_45 Depth=1
	v_mov_b32_e32 v10, s50
	ds_load_b32 v10, v10
	s_waitcnt lgkmcnt(0)
	v_add_nc_u32_e32 v9, v10, v9
	s_or_b32 exec_lo, exec_lo, s73
	s_and_saveexec_b32 s73, s10
	s_cbranch_execz .LBB12_56
.LBB12_88:                              ;   in Loop: Header=BB12_45 Depth=1
	v_mov_b32_e32 v10, s51
	ds_load_b32 v10, v10
	s_waitcnt lgkmcnt(0)
	v_add_nc_u32_e32 v9, v10, v9
	s_or_b32 exec_lo, exec_lo, s73
	s_and_saveexec_b32 s73, s11
	s_cbranch_execz .LBB12_57
.LBB12_89:                              ;   in Loop: Header=BB12_45 Depth=1
	v_mov_b32_e32 v10, s52
	ds_load_b32 v10, v10
	s_waitcnt lgkmcnt(0)
	v_add_nc_u32_e32 v9, v10, v9
	s_or_b32 exec_lo, exec_lo, s73
	s_and_saveexec_b32 s73, s12
	s_cbranch_execz .LBB12_58
.LBB12_90:                              ;   in Loop: Header=BB12_45 Depth=1
	v_mov_b32_e32 v10, s53
	ds_load_b32 v10, v10
	s_waitcnt lgkmcnt(0)
	v_add_nc_u32_e32 v9, v10, v9
	s_or_b32 exec_lo, exec_lo, s73
	s_and_saveexec_b32 s73, s13
	s_cbranch_execz .LBB12_59
.LBB12_91:                              ;   in Loop: Header=BB12_45 Depth=1
	v_mov_b32_e32 v10, s54
	ds_load_b32 v10, v10
	s_waitcnt lgkmcnt(0)
	v_add_nc_u32_e32 v9, v10, v9
	s_or_b32 exec_lo, exec_lo, s73
	s_and_saveexec_b32 s73, s14
	s_cbranch_execz .LBB12_60
.LBB12_92:                              ;   in Loop: Header=BB12_45 Depth=1
	v_mov_b32_e32 v10, s55
	ds_load_b32 v10, v10
	s_waitcnt lgkmcnt(0)
	v_add_nc_u32_e32 v9, v10, v9
	s_or_b32 exec_lo, exec_lo, s73
	s_and_saveexec_b32 s73, s15
	s_cbranch_execz .LBB12_61
.LBB12_93:                              ;   in Loop: Header=BB12_45 Depth=1
	v_mov_b32_e32 v10, s56
	ds_load_b32 v10, v10
	s_waitcnt lgkmcnt(0)
	v_add_nc_u32_e32 v9, v10, v9
	s_or_b32 exec_lo, exec_lo, s73
	s_and_saveexec_b32 s73, s16
	s_cbranch_execz .LBB12_62
.LBB12_94:                              ;   in Loop: Header=BB12_45 Depth=1
	v_mov_b32_e32 v10, s57
	ds_load_b32 v10, v10
	s_waitcnt lgkmcnt(0)
	v_add_nc_u32_e32 v9, v10, v9
	s_or_b32 exec_lo, exec_lo, s73
	s_and_saveexec_b32 s73, s17
	s_cbranch_execz .LBB12_63
.LBB12_95:                              ;   in Loop: Header=BB12_45 Depth=1
	v_mov_b32_e32 v10, s58
	ds_load_b32 v10, v10
	s_waitcnt lgkmcnt(0)
	v_add_nc_u32_e32 v9, v10, v9
	s_or_b32 exec_lo, exec_lo, s73
	s_and_saveexec_b32 s73, s18
	s_cbranch_execz .LBB12_64
.LBB12_96:                              ;   in Loop: Header=BB12_45 Depth=1
	v_mov_b32_e32 v10, s59
	ds_load_b32 v10, v10
	s_waitcnt lgkmcnt(0)
	v_add_nc_u32_e32 v9, v10, v9
	s_or_b32 exec_lo, exec_lo, s73
	s_and_saveexec_b32 s73, s19
	s_cbranch_execz .LBB12_65
.LBB12_97:                              ;   in Loop: Header=BB12_45 Depth=1
	v_mov_b32_e32 v10, s60
	ds_load_b32 v10, v10
	s_waitcnt lgkmcnt(0)
	v_add_nc_u32_e32 v9, v10, v9
	s_or_b32 exec_lo, exec_lo, s73
	s_and_saveexec_b32 s73, s20
	s_cbranch_execz .LBB12_66
.LBB12_98:                              ;   in Loop: Header=BB12_45 Depth=1
	v_mov_b32_e32 v10, s61
	ds_load_b32 v10, v10
	s_waitcnt lgkmcnt(0)
	v_add_nc_u32_e32 v9, v10, v9
	s_or_b32 exec_lo, exec_lo, s73
	s_and_saveexec_b32 s73, s21
	s_cbranch_execz .LBB12_67
.LBB12_99:                              ;   in Loop: Header=BB12_45 Depth=1
	v_mov_b32_e32 v10, s62
	ds_load_b32 v10, v10
	s_waitcnt lgkmcnt(0)
	v_add_nc_u32_e32 v9, v10, v9
	s_or_b32 exec_lo, exec_lo, s73
	s_and_saveexec_b32 s73, s22
	s_cbranch_execz .LBB12_68
.LBB12_100:                             ;   in Loop: Header=BB12_45 Depth=1
	v_mov_b32_e32 v10, s63
	ds_load_b32 v10, v10
	s_waitcnt lgkmcnt(0)
	v_add_nc_u32_e32 v9, v10, v9
	s_or_b32 exec_lo, exec_lo, s73
	s_and_saveexec_b32 s73, s23
	s_cbranch_execz .LBB12_69
.LBB12_101:                             ;   in Loop: Header=BB12_45 Depth=1
	v_mov_b32_e32 v10, s64
	ds_load_b32 v10, v10
	s_waitcnt lgkmcnt(0)
	v_add_nc_u32_e32 v9, v10, v9
	s_or_b32 exec_lo, exec_lo, s73
	s_and_saveexec_b32 s73, s24
	s_cbranch_execz .LBB12_70
.LBB12_102:                             ;   in Loop: Header=BB12_45 Depth=1
	v_mov_b32_e32 v10, s65
	ds_load_b32 v10, v10
	s_waitcnt lgkmcnt(0)
	v_add_nc_u32_e32 v9, v10, v9
	s_or_b32 exec_lo, exec_lo, s73
	s_and_saveexec_b32 s73, s25
	s_cbranch_execz .LBB12_71
.LBB12_103:                             ;   in Loop: Header=BB12_45 Depth=1
	v_mov_b32_e32 v10, s66
	ds_load_b32 v10, v10
	s_waitcnt lgkmcnt(0)
	v_add_nc_u32_e32 v9, v10, v9
	s_or_b32 exec_lo, exec_lo, s73
	s_and_saveexec_b32 s73, s26
	s_cbranch_execz .LBB12_72
.LBB12_104:                             ;   in Loop: Header=BB12_45 Depth=1
	v_mov_b32_e32 v10, s67
	ds_load_b32 v10, v10
	s_waitcnt lgkmcnt(0)
	v_add_nc_u32_e32 v9, v10, v9
	s_or_b32 exec_lo, exec_lo, s73
	s_and_saveexec_b32 s73, s27
	s_cbranch_execz .LBB12_73
.LBB12_105:                             ;   in Loop: Header=BB12_45 Depth=1
	v_mov_b32_e32 v10, s69
	ds_load_b32 v10, v10
	s_waitcnt lgkmcnt(0)
	v_add_nc_u32_e32 v9, v10, v9
	s_or_b32 exec_lo, exec_lo, s73
	s_and_saveexec_b32 s73, s28
	s_cbranch_execz .LBB12_74
.LBB12_106:                             ;   in Loop: Header=BB12_45 Depth=1
	v_mov_b32_e32 v10, s70
	ds_load_b32 v10, v10
	s_waitcnt lgkmcnt(0)
	v_add_nc_u32_e32 v9, v10, v9
	s_or_b32 exec_lo, exec_lo, s73
	s_and_saveexec_b32 s73, s29
	s_cbranch_execz .LBB12_75
.LBB12_107:                             ;   in Loop: Header=BB12_45 Depth=1
	v_mov_b32_e32 v10, s71
	ds_load_b32 v10, v10
	s_waitcnt lgkmcnt(0)
	v_add_nc_u32_e32 v9, v10, v9
	s_or_b32 exec_lo, exec_lo, s73
	s_and_saveexec_b32 s73, s30
	s_cbranch_execz .LBB12_76
.LBB12_108:                             ;   in Loop: Header=BB12_45 Depth=1
	v_mov_b32_e32 v10, s72
	ds_load_b32 v10, v10
	s_waitcnt lgkmcnt(0)
	v_add_nc_u32_e32 v9, v10, v9
	s_or_b32 exec_lo, exec_lo, s73
	s_and_saveexec_b32 s73, s31
	s_cbranch_execz .LBB12_77
.LBB12_109:                             ;   in Loop: Header=BB12_45 Depth=1
	s_delay_alu instid0(VALU_DEP_1) | instskip(NEXT) | instid1(VALU_DEP_1)
	v_add3_u32 v10, v7, -1, v9
	v_lshl_add_u32 v10, v10, 2, 0
	ds_store_2addr_stride64_b32 v10, v2, v3 offset1:128
	s_or_b32 exec_lo, exec_lo, s73
	s_and_saveexec_b32 s31, vcc_lo
	s_cbranch_execz .LBB12_44
.LBB12_110:                             ;   in Loop: Header=BB12_45 Depth=1
	v_mov_b32_e32 v2, s68
	ds_store_b32 v2, v9
	s_branch .LBB12_44
.LBB12_111:
	s_or_b32 exec_lo, exec_lo, s35
	s_ashr_i32 s35, s34, 31
	s_mov_b32 s3, exec_lo
	s_lshl_b64 s[0:1], s[34:35], 2
	s_delay_alu instid0(SALU_CYCLE_1) | instskip(SKIP_4) | instid1(SALU_CYCLE_1)
	s_add_u32 s0, s40, s0
	s_addc_u32 s1, s41, s1
	s_load_b64 s[0:1], s[0:1], 0x0
	s_waitcnt lgkmcnt(0)
	s_sub_i32 s2, s1, s0
	v_cmpx_gt_i32_e64 s2, v0
	s_cbranch_execz .LBB12_121
; %bb.112:
	s_sub_i32 s3, s0, s38
	s_sub_i32 s0, s0, s1
	s_and_b32 s1, s2, 7
	s_cmp_lt_u32 s0, -7
	s_mov_b32 s7, 0
	s_cselect_b32 s4, -1, 0
	s_and_b32 s5, s2, -8
	s_cmp_lg_u32 s1, 0
	s_cselect_b32 s6, -1, 0
	s_branch .LBB12_114
.LBB12_113:                             ;   in Loop: Header=BB12_114 Depth=1
	s_delay_alu instid0(VALU_DEP_1) | instskip(SKIP_1) | instid1(VALU_DEP_2)
	v_ashrrev_i32_e32 v4, 31, v3
	v_add_nc_u32_e32 v0, 0x400, v0
	v_lshlrev_b64 v[3:4], 2, v[3:4]
	s_delay_alu instid0(VALU_DEP_2) | instskip(SKIP_1) | instid1(VALU_DEP_2)
	v_cmp_le_i32_e32 vcc_lo, s2, v0
	s_or_b32 s7, vcc_lo, s7
	v_add_co_u32 v3, s0, s36, v3
	s_delay_alu instid0(VALU_DEP_1)
	v_add_co_ci_u32_e64 v4, s0, s37, v4, s0
	s_waitcnt lgkmcnt(0)
	global_store_b32 v[3:4], v2, off
	s_and_not1_b32 exec_lo, exec_lo, s7
	s_cbranch_execz .LBB12_121
.LBB12_114:                             ; =>This Loop Header: Depth=1
                                        ;     Child Loop BB12_116 Depth 2
                                        ;     Child Loop BB12_120 Depth 2
	v_lshl_add_u32 v1, v0, 2, 0
	v_mov_b32_e32 v3, s3
	s_and_not1_b32 vcc_lo, exec_lo, s4
	s_mov_b32 s0, 0
	ds_load_2addr_stride64_b32 v[1:2], v1 offset1:128
	s_cbranch_vccnz .LBB12_118
; %bb.115:                              ;   in Loop: Header=BB12_114 Depth=1
	v_mov_b32_e32 v3, s3
	s_mov_b32 s8, 0
	s_set_inst_prefetch_distance 0x1
	.p2align	6
.LBB12_116:                             ;   Parent Loop BB12_114 Depth=1
                                        ; =>  This Inner Loop Header: Depth=2
	v_mov_b32_e32 v10, s8
	s_add_i32 s0, s0, 8
	s_add_i32 s8, s8, 32
	s_cmp_eq_u32 s5, s0
	ds_load_2addr_b32 v[4:5], v10 offset1:1
	ds_load_2addr_b32 v[6:7], v10 offset0:2 offset1:3
	ds_load_2addr_b32 v[8:9], v10 offset0:4 offset1:5
	;; [unrolled: 1-line block ×3, first 2 shown]
	s_waitcnt lgkmcnt(3)
	v_cmp_gt_i32_e32 vcc_lo, v1, v4
	v_cndmask_b32_e64 v4, 0, 1, vcc_lo
	s_waitcnt lgkmcnt(2)
	v_cmp_gt_i32_e32 vcc_lo, v1, v6
	v_cndmask_b32_e64 v6, 0, 1, vcc_lo
	v_cmp_gt_i32_e32 vcc_lo, v1, v5
	v_add_co_ci_u32_e32 v3, vcc_lo, v3, v4, vcc_lo
	s_waitcnt lgkmcnt(1)
	v_cmp_gt_i32_e32 vcc_lo, v1, v8
	v_cndmask_b32_e64 v4, 0, 1, vcc_lo
	v_cmp_gt_i32_e32 vcc_lo, v1, v7
	v_add_co_ci_u32_e32 v3, vcc_lo, v3, v6, vcc_lo
	;; [unrolled: 5-line block ×3, first 2 shown]
	v_cmp_gt_i32_e32 vcc_lo, v1, v11
	s_delay_alu instid0(VALU_DEP_2)
	v_add_co_ci_u32_e32 v3, vcc_lo, v3, v5, vcc_lo
	s_cbranch_scc0 .LBB12_116
; %bb.117:                              ;   in Loop: Header=BB12_114 Depth=1
	s_set_inst_prefetch_distance 0x2
	s_mov_b32 s0, s5
.LBB12_118:                             ;   in Loop: Header=BB12_114 Depth=1
	s_and_not1_b32 vcc_lo, exec_lo, s6
	s_cbranch_vccnz .LBB12_113
; %bb.119:                              ;   in Loop: Header=BB12_114 Depth=1
	s_lshl_b32 s0, s0, 2
	s_mov_b32 s8, s1
	s_add_i32 s0, s0, 0
.LBB12_120:                             ;   Parent Loop BB12_114 Depth=1
                                        ; =>  This Inner Loop Header: Depth=2
	s_delay_alu instid0(SALU_CYCLE_1)
	v_mov_b32_e32 v4, s0
	s_add_i32 s8, s8, -1
	s_add_i32 s0, s0, 4
	s_cmp_lg_u32 s8, 0
	ds_load_b32 v4, v4
	s_waitcnt lgkmcnt(0)
	v_cmp_gt_i32_e32 vcc_lo, v1, v4
	v_add_co_ci_u32_e32 v3, vcc_lo, 0, v3, vcc_lo
	s_cbranch_scc1 .LBB12_120
	s_branch .LBB12_113
.LBB12_121:
	s_nop 0
	s_sendmsg sendmsg(MSG_DEALLOC_VGPRS)
	s_endpgm
	.section	.rodata,"a",@progbits
	.p2align	6, 0x0
	.amdhsa_kernel _ZN9rocsparseL41csrgemm_numeric_fill_block_per_row_kernelILj1024ELj64ELj8192ELj137ELj32EiifEEvT5_PKS1_S3_NS_24const_host_device_scalarIT6_EEPKT4_S3_PKS5_S9_S3_SB_S6_S9_S3_SB_S9_S3_PS5_21rocsparse_index_base_SD_SD_SD_bbb
		.amdhsa_group_segment_fixed_size 0
		.amdhsa_private_segment_fixed_size 0
		.amdhsa_kernarg_size 156
		.amdhsa_user_sgpr_count 15
		.amdhsa_user_sgpr_dispatch_ptr 0
		.amdhsa_user_sgpr_queue_ptr 0
		.amdhsa_user_sgpr_kernarg_segment_ptr 1
		.amdhsa_user_sgpr_dispatch_id 0
		.amdhsa_user_sgpr_private_segment_size 0
		.amdhsa_wavefront_size32 1
		.amdhsa_uses_dynamic_stack 0
		.amdhsa_enable_private_segment 0
		.amdhsa_system_sgpr_workgroup_id_x 1
		.amdhsa_system_sgpr_workgroup_id_y 0
		.amdhsa_system_sgpr_workgroup_id_z 0
		.amdhsa_system_sgpr_workgroup_info 0
		.amdhsa_system_vgpr_workitem_id 0
		.amdhsa_next_free_vgpr 14
		.amdhsa_next_free_sgpr 74
		.amdhsa_reserve_vcc 1
		.amdhsa_float_round_mode_32 0
		.amdhsa_float_round_mode_16_64 0
		.amdhsa_float_denorm_mode_32 3
		.amdhsa_float_denorm_mode_16_64 3
		.amdhsa_dx10_clamp 1
		.amdhsa_ieee_mode 1
		.amdhsa_fp16_overflow 0
		.amdhsa_workgroup_processor_mode 1
		.amdhsa_memory_ordered 1
		.amdhsa_forward_progress 0
		.amdhsa_shared_vgpr_count 0
		.amdhsa_exception_fp_ieee_invalid_op 0
		.amdhsa_exception_fp_denorm_src 0
		.amdhsa_exception_fp_ieee_div_zero 0
		.amdhsa_exception_fp_ieee_overflow 0
		.amdhsa_exception_fp_ieee_underflow 0
		.amdhsa_exception_fp_ieee_inexact 0
		.amdhsa_exception_int_div_zero 0
	.end_amdhsa_kernel
	.section	.text._ZN9rocsparseL41csrgemm_numeric_fill_block_per_row_kernelILj1024ELj64ELj8192ELj137ELj32EiifEEvT5_PKS1_S3_NS_24const_host_device_scalarIT6_EEPKT4_S3_PKS5_S9_S3_SB_S6_S9_S3_SB_S9_S3_PS5_21rocsparse_index_base_SD_SD_SD_bbb,"axG",@progbits,_ZN9rocsparseL41csrgemm_numeric_fill_block_per_row_kernelILj1024ELj64ELj8192ELj137ELj32EiifEEvT5_PKS1_S3_NS_24const_host_device_scalarIT6_EEPKT4_S3_PKS5_S9_S3_SB_S6_S9_S3_SB_S9_S3_PS5_21rocsparse_index_base_SD_SD_SD_bbb,comdat
.Lfunc_end12:
	.size	_ZN9rocsparseL41csrgemm_numeric_fill_block_per_row_kernelILj1024ELj64ELj8192ELj137ELj32EiifEEvT5_PKS1_S3_NS_24const_host_device_scalarIT6_EEPKT4_S3_PKS5_S9_S3_SB_S6_S9_S3_SB_S9_S3_PS5_21rocsparse_index_base_SD_SD_SD_bbb, .Lfunc_end12-_ZN9rocsparseL41csrgemm_numeric_fill_block_per_row_kernelILj1024ELj64ELj8192ELj137ELj32EiifEEvT5_PKS1_S3_NS_24const_host_device_scalarIT6_EEPKT4_S3_PKS5_S9_S3_SB_S6_S9_S3_SB_S9_S3_PS5_21rocsparse_index_base_SD_SD_SD_bbb
                                        ; -- End function
	.section	.AMDGPU.csdata,"",@progbits
; Kernel info:
; codeLenInByte = 4332
; NumSgprs: 76
; NumVgprs: 14
; ScratchSize: 0
; MemoryBound: 0
; FloatMode: 240
; IeeeMode: 1
; LDSByteSize: 0 bytes/workgroup (compile time only)
; SGPRBlocks: 9
; VGPRBlocks: 1
; NumSGPRsForWavesPerEU: 76
; NumVGPRsForWavesPerEU: 14
; Occupancy: 16
; WaveLimiterHint : 1
; COMPUTE_PGM_RSRC2:SCRATCH_EN: 0
; COMPUTE_PGM_RSRC2:USER_SGPR: 15
; COMPUTE_PGM_RSRC2:TRAP_HANDLER: 0
; COMPUTE_PGM_RSRC2:TGID_X_EN: 1
; COMPUTE_PGM_RSRC2:TGID_Y_EN: 0
; COMPUTE_PGM_RSRC2:TGID_Z_EN: 0
; COMPUTE_PGM_RSRC2:TIDIG_COMP_CNT: 0
	.section	.text._ZN9rocsparseL41csrgemm_numeric_fill_block_per_row_kernelILj1024ELj64ELj8192ELj137ELj64EiifEEvT5_PKS1_S3_NS_24const_host_device_scalarIT6_EEPKT4_S3_PKS5_S9_S3_SB_S6_S9_S3_SB_S9_S3_PS5_21rocsparse_index_base_SD_SD_SD_bbb,"axG",@progbits,_ZN9rocsparseL41csrgemm_numeric_fill_block_per_row_kernelILj1024ELj64ELj8192ELj137ELj64EiifEEvT5_PKS1_S3_NS_24const_host_device_scalarIT6_EEPKT4_S3_PKS5_S9_S3_SB_S6_S9_S3_SB_S9_S3_PS5_21rocsparse_index_base_SD_SD_SD_bbb,comdat
	.globl	_ZN9rocsparseL41csrgemm_numeric_fill_block_per_row_kernelILj1024ELj64ELj8192ELj137ELj64EiifEEvT5_PKS1_S3_NS_24const_host_device_scalarIT6_EEPKT4_S3_PKS5_S9_S3_SB_S6_S9_S3_SB_S9_S3_PS5_21rocsparse_index_base_SD_SD_SD_bbb ; -- Begin function _ZN9rocsparseL41csrgemm_numeric_fill_block_per_row_kernelILj1024ELj64ELj8192ELj137ELj64EiifEEvT5_PKS1_S3_NS_24const_host_device_scalarIT6_EEPKT4_S3_PKS5_S9_S3_SB_S6_S9_S3_SB_S9_S3_PS5_21rocsparse_index_base_SD_SD_SD_bbb
	.p2align	8
	.type	_ZN9rocsparseL41csrgemm_numeric_fill_block_per_row_kernelILj1024ELj64ELj8192ELj137ELj64EiifEEvT5_PKS1_S3_NS_24const_host_device_scalarIT6_EEPKT4_S3_PKS5_S9_S3_SB_S6_S9_S3_SB_S9_S3_PS5_21rocsparse_index_base_SD_SD_SD_bbb,@function
_ZN9rocsparseL41csrgemm_numeric_fill_block_per_row_kernelILj1024ELj64ELj8192ELj137ELj64EiifEEvT5_PKS1_S3_NS_24const_host_device_scalarIT6_EEPKT4_S3_PKS5_S9_S3_SB_S6_S9_S3_SB_S9_S3_PS5_21rocsparse_index_base_SD_SD_SD_bbb: ; @_ZN9rocsparseL41csrgemm_numeric_fill_block_per_row_kernelILj1024ELj64ELj8192ELj137ELj64EiifEEvT5_PKS1_S3_NS_24const_host_device_scalarIT6_EEPKT4_S3_PKS5_S9_S3_SB_S6_S9_S3_SB_S9_S3_PS5_21rocsparse_index_base_SD_SD_SD_bbb
; %bb.0:
	s_clause 0x4
	s_load_b32 s11, s[0:1], 0x98
	s_load_b128 s[4:7], s[0:1], 0x8
	s_load_b64 s[8:9], s[0:1], 0x18
	s_load_b128 s[16:19], s[0:1], 0x88
	s_load_b64 s[2:3], s[0:1], 0x50
	s_waitcnt lgkmcnt(0)
	s_bitcmp1_b32 s11, 0
	s_cselect_b32 s10, -1, 0
	s_bitcmp1_b32 s11, 16
	s_cselect_b32 s13, -1, 0
	s_xor_b32 s12, s10, -1
	s_delay_alu instid0(SALU_CYCLE_1) | instskip(NEXT) | instid1(SALU_CYCLE_1)
	s_or_b32 s12, s12, s13
	s_and_b32 vcc_lo, exec_lo, s12
	s_cbranch_vccnz .LBB13_2
; %bb.1:
	s_load_b32 s8, s[8:9], 0x0
	s_waitcnt lgkmcnt(0)
	v_mov_b32_e32 v7, s8
	s_branch .LBB13_3
.LBB13_2:
	v_cndmask_b32_e64 v7, 0, s8, s10
.LBB13_3:
	s_bitcmp1_b32 s11, 8
	s_cselect_b32 s12, -1, 0
	s_delay_alu instid0(SALU_CYCLE_1) | instskip(NEXT) | instid1(SALU_CYCLE_1)
	s_xor_b32 s8, s12, -1
	s_or_b32 s8, s8, s13
	s_delay_alu instid0(SALU_CYCLE_1)
	s_and_b32 vcc_lo, exec_lo, s8
	s_cbranch_vccnz .LBB13_5
; %bb.4:
	s_load_b32 s2, s[2:3], 0x0
	s_waitcnt lgkmcnt(0)
	v_mov_b32_e32 v5, s2
	s_branch .LBB13_6
.LBB13_5:
	v_cndmask_b32_e64 v5, 0, s2, s12
.LBB13_6:
	s_load_b32 s24, s[0:1], 0x0
	v_dual_mov_b32 v2, 0 :: v_dual_lshlrev_b32 v1, 2, v0
	s_mov_b32 s3, 0
	s_delay_alu instid0(VALU_DEP_1)
	v_add3_u32 v3, 0, 0x8000, v1
	v_add_nc_u32_e32 v1, 0, v1
	ds_store_2addr_stride64_b32 v3, v2, v2 offset0:16 offset1:32
	ds_store_2addr_stride64_b32 v3, v2, v2 offset0:48 offset1:64
	;; [unrolled: 1-line block ×3, first 2 shown]
	s_waitcnt lgkmcnt(0)
	v_mov_b32_e32 v4, s24
	v_dual_mov_b32 v6, s24 :: v_dual_mov_b32 v9, s24
	v_dual_mov_b32 v8, s24 :: v_dual_mov_b32 v11, s24
	;; [unrolled: 1-line block ×3, first 2 shown]
	v_mov_b32_e32 v12, s24
	ds_store_b32 v1, v2 offset:32768
	ds_store_b32 v3, v2 offset:28672
	ds_store_2addr_stride64_b32 v1, v4, v6 offset1:16
	ds_store_2addr_stride64_b32 v1, v8, v9 offset0:32 offset1:48
	ds_store_2addr_stride64_b32 v1, v10, v11 offset0:64 offset1:80
	;; [unrolled: 1-line block ×3, first 2 shown]
	s_waitcnt lgkmcnt(0)
	s_barrier
	buffer_gl0_inv
	s_load_b32 s2, s[4:5], 0x0
	v_lshrrev_b32_e32 v6, 6, v0
	s_waitcnt lgkmcnt(0)
	s_add_i32 s2, s2, s15
	s_delay_alu instid0(SALU_CYCLE_1) | instskip(NEXT) | instid1(SALU_CYCLE_1)
	s_lshl_b64 s[2:3], s[2:3], 2
	s_add_u32 s2, s6, s2
	s_addc_u32 s3, s7, s3
	s_and_not1_b32 vcc_lo, exec_lo, s10
	s_load_b32 s20, s[2:3], 0x0
	s_cbranch_vccnz .LBB13_26
; %bb.7:
	s_load_b64 s[2:3], s[0:1], 0x20
	s_waitcnt lgkmcnt(0)
	s_ashr_i32 s21, s20, 31
	v_subrev_nc_u32_e32 v1, s16, v6
	s_lshl_b64 s[4:5], s[20:21], 2
	s_mov_b32 s14, exec_lo
	s_add_u32 s2, s2, s4
	s_addc_u32 s3, s3, s5
	s_load_b64 s[2:3], s[2:3], 0x0
	s_waitcnt lgkmcnt(0)
	v_add_nc_u32_e32 v1, s2, v1
	s_sub_i32 s13, s3, s16
	s_delay_alu instid0(VALU_DEP_1) | instid1(SALU_CYCLE_1)
	v_cmpx_gt_i32_e64 s13, v1
	s_cbranch_execz .LBB13_25
; %bb.8:
	s_clause 0x1
	s_load_b64 s[2:3], s[0:1], 0x48
	s_load_b256 s[4:11], s[0:1], 0x28
	v_and_b32_e32 v2, 63, v0
	s_mov_b32 s15, 0
	s_delay_alu instid0(VALU_DEP_1)
	v_subrev_nc_u32_e32 v8, s17, v2
	s_branch .LBB13_10
.LBB13_9:                               ;   in Loop: Header=BB13_10 Depth=1
	s_or_b32 exec_lo, exec_lo, s21
	v_add_nc_u32_e32 v1, 16, v1
	s_delay_alu instid0(VALU_DEP_1) | instskip(SKIP_1) | instid1(SALU_CYCLE_1)
	v_cmp_le_i32_e32 vcc_lo, s13, v1
	s_or_b32 s15, vcc_lo, s15
	s_and_not1_b32 exec_lo, exec_lo, s15
	s_cbranch_execz .LBB13_25
.LBB13_10:                              ; =>This Loop Header: Depth=1
                                        ;     Child Loop BB13_13 Depth 2
                                        ;       Child Loop BB13_15 Depth 3
	v_ashrrev_i32_e32 v2, 31, v1
	s_mov_b32 s21, exec_lo
	s_delay_alu instid0(VALU_DEP_1) | instskip(SKIP_1) | instid1(VALU_DEP_1)
	v_lshlrev_b64 v[3:4], 2, v[1:2]
	s_waitcnt lgkmcnt(0)
	v_add_co_u32 v9, vcc_lo, s4, v3
	s_delay_alu instid0(VALU_DEP_2) | instskip(SKIP_3) | instid1(VALU_DEP_1)
	v_add_co_ci_u32_e32 v10, vcc_lo, s5, v4, vcc_lo
	global_load_b32 v2, v[9:10], off
	s_waitcnt vmcnt(0)
	v_subrev_nc_u32_e32 v9, s16, v2
	v_ashrrev_i32_e32 v10, 31, v9
	s_delay_alu instid0(VALU_DEP_1) | instskip(NEXT) | instid1(VALU_DEP_1)
	v_lshlrev_b64 v[9:10], 2, v[9:10]
	v_add_co_u32 v9, vcc_lo, s8, v9
	s_delay_alu instid0(VALU_DEP_2) | instskip(SKIP_4) | instid1(VALU_DEP_1)
	v_add_co_ci_u32_e32 v10, vcc_lo, s9, v10, vcc_lo
	global_load_b64 v[10:11], v[9:10], off
	s_waitcnt vmcnt(0)
	v_subrev_nc_u32_e32 v9, s17, v11
	v_add_nc_u32_e32 v2, v10, v8
	v_cmpx_lt_i32_e64 v2, v9
	s_cbranch_execz .LBB13_9
; %bb.11:                               ;   in Loop: Header=BB13_10 Depth=1
	v_add_co_u32 v3, vcc_lo, s6, v3
	v_add_co_ci_u32_e32 v4, vcc_lo, s7, v4, vcc_lo
	s_mov_b32 s22, 0
	global_load_b32 v3, v[3:4], off
	s_waitcnt vmcnt(0)
	v_mul_f32_e32 v4, v7, v3
	s_branch .LBB13_13
.LBB13_12:                              ;   in Loop: Header=BB13_13 Depth=2
	s_or_b32 exec_lo, exec_lo, s23
	v_add_nc_u32_e32 v2, 64, v2
	s_delay_alu instid0(VALU_DEP_1) | instskip(SKIP_1) | instid1(SALU_CYCLE_1)
	v_cmp_ge_i32_e32 vcc_lo, v2, v9
	s_or_b32 s22, vcc_lo, s22
	s_and_not1_b32 exec_lo, exec_lo, s22
	s_cbranch_execz .LBB13_9
.LBB13_13:                              ;   Parent Loop BB13_10 Depth=1
                                        ; =>  This Loop Header: Depth=2
                                        ;       Child Loop BB13_15 Depth 3
	v_ashrrev_i32_e32 v3, 31, v2
	s_mov_b32 s23, 0
	s_delay_alu instid0(VALU_DEP_1) | instskip(NEXT) | instid1(VALU_DEP_1)
	v_lshlrev_b64 v[10:11], 2, v[2:3]
	v_add_co_u32 v12, vcc_lo, s10, v10
	s_delay_alu instid0(VALU_DEP_2)
	v_add_co_ci_u32_e32 v13, vcc_lo, s11, v11, vcc_lo
	v_add_co_u32 v10, vcc_lo, s2, v10
	v_add_co_ci_u32_e32 v11, vcc_lo, s3, v11, vcc_lo
	global_load_b32 v3, v[12:13], off
	global_load_b32 v10, v[10:11], off
	s_waitcnt vmcnt(1)
	v_subrev_nc_u32_e32 v3, s17, v3
	s_delay_alu instid0(VALU_DEP_1) | instskip(SKIP_1) | instid1(VALU_DEP_1)
	v_mul_lo_u32 v11, 0x89, v3
	s_waitcnt vmcnt(0)
	v_dual_mul_f32 v10, v4, v10 :: v_dual_and_b32 v11, 0x1fff, v11
	s_branch .LBB13_15
.LBB13_14:                              ;   in Loop: Header=BB13_15 Depth=3
	s_or_b32 exec_lo, exec_lo, s25
	s_xor_b32 s25, s26, -1
	s_delay_alu instid0(SALU_CYCLE_1) | instskip(NEXT) | instid1(SALU_CYCLE_1)
	s_and_b32 s25, exec_lo, s25
	s_or_b32 s23, s25, s23
	s_delay_alu instid0(SALU_CYCLE_1)
	s_and_not1_b32 exec_lo, exec_lo, s23
	s_cbranch_execz .LBB13_12
.LBB13_15:                              ;   Parent Loop BB13_10 Depth=1
                                        ;     Parent Loop BB13_13 Depth=2
                                        ; =>    This Inner Loop Header: Depth=3
	s_delay_alu instid0(VALU_DEP_1)
	v_lshl_add_u32 v12, v11, 2, 0
	s_mov_b32 s25, exec_lo
                                        ; implicit-def: $sgpr26
	ds_load_b32 v13, v12
	s_waitcnt lgkmcnt(0)
	v_cmpx_ne_u32_e64 v13, v3
	s_xor_b32 s25, exec_lo, s25
	s_cbranch_execz .LBB13_23
; %bb.16:                               ;   in Loop: Header=BB13_15 Depth=3
	s_mov_b32 s27, exec_lo
                                        ; implicit-def: $sgpr26
	v_cmpx_ne_u32_e64 s24, v13
	s_xor_b32 s27, exec_lo, s27
; %bb.17:                               ;   in Loop: Header=BB13_15 Depth=3
	v_add_nc_u32_e32 v11, 1, v11
	s_mov_b32 s26, -1
                                        ; implicit-def: $vgpr12
	s_delay_alu instid0(VALU_DEP_1)
	v_and_b32_e32 v11, 0x1fff, v11
; %bb.18:                               ;   in Loop: Header=BB13_15 Depth=3
	s_and_not1_saveexec_b32 s27, s27
	s_cbranch_execz .LBB13_22
; %bb.19:                               ;   in Loop: Header=BB13_15 Depth=3
	v_mov_b32_e32 v13, s24
	s_mov_b32 s28, -1
	s_mov_b32 s29, exec_lo
	ds_cmpstore_rtn_b32 v13, v12, v3, v13
	s_waitcnt lgkmcnt(0)
	v_cmpx_eq_u32_e64 s24, v13
	s_cbranch_execz .LBB13_21
; %bb.20:                               ;   in Loop: Header=BB13_15 Depth=3
	ds_add_f32 v12, v10 offset:32768
	s_xor_b32 s28, exec_lo, -1
.LBB13_21:                              ;   in Loop: Header=BB13_15 Depth=3
	s_or_b32 exec_lo, exec_lo, s29
	s_delay_alu instid0(SALU_CYCLE_1) | instskip(SKIP_1) | instid1(SALU_CYCLE_1)
	s_and_not1_b32 s26, s26, exec_lo
	s_and_b32 s28, s28, exec_lo
	s_or_b32 s26, s26, s28
.LBB13_22:                              ;   in Loop: Header=BB13_15 Depth=3
	s_or_b32 exec_lo, exec_lo, s27
	s_delay_alu instid0(SALU_CYCLE_1)
	s_and_b32 s26, s26, exec_lo
                                        ; implicit-def: $vgpr12
.LBB13_23:                              ;   in Loop: Header=BB13_15 Depth=3
	s_and_not1_saveexec_b32 s25, s25
	s_cbranch_execz .LBB13_14
; %bb.24:                               ;   in Loop: Header=BB13_15 Depth=3
	ds_add_f32 v12, v10 offset:32768
	s_and_not1_b32 s26, s26, exec_lo
	s_branch .LBB13_14
.LBB13_25:
	s_or_b32 exec_lo, exec_lo, s14
.LBB13_26:
	s_clause 0x1
	s_load_b64 s[16:17], s[0:1], 0x80
	s_load_b64 s[22:23], s[0:1], 0x70
	s_and_not1_b32 vcc_lo, exec_lo, s12
	s_cbranch_vccnz .LBB13_43
; %bb.27:
	s_load_b64 s[2:3], s[0:1], 0x58
	s_waitcnt lgkmcnt(0)
	s_ashr_i32 s21, s20, 31
	v_subrev_nc_u32_e32 v1, s19, v0
	s_lshl_b64 s[4:5], s[20:21], 2
	s_delay_alu instid0(SALU_CYCLE_1)
	s_add_u32 s2, s2, s4
	s_addc_u32 s3, s3, s5
	s_mov_b32 s5, exec_lo
	s_load_b64 s[2:3], s[2:3], 0x0
	s_waitcnt lgkmcnt(0)
	v_add_nc_u32_e32 v1, s2, v1
	s_sub_i32 s4, s3, s19
	s_delay_alu instid0(VALU_DEP_1) | instid1(SALU_CYCLE_1)
	v_cmpx_gt_i32_e64 s4, v1
	s_cbranch_execz .LBB13_42
; %bb.28:
	s_load_b128 s[0:3], s[0:1], 0x60
	s_mov_b32 s6, 0
	s_branch .LBB13_30
.LBB13_29:                              ;   in Loop: Header=BB13_30 Depth=1
	s_or_b32 exec_lo, exec_lo, s7
	v_add_nc_u32_e32 v1, 0x400, v1
	s_delay_alu instid0(VALU_DEP_1) | instskip(SKIP_1) | instid1(SALU_CYCLE_1)
	v_cmp_le_i32_e32 vcc_lo, s4, v1
	s_or_b32 s6, vcc_lo, s6
	s_and_not1_b32 exec_lo, exec_lo, s6
	s_cbranch_execz .LBB13_42
.LBB13_30:                              ; =>This Loop Header: Depth=1
                                        ;     Child Loop BB13_32 Depth 2
	v_ashrrev_i32_e32 v2, 31, v1
	s_mov_b32 s7, 0
	s_delay_alu instid0(VALU_DEP_1) | instskip(SKIP_1) | instid1(VALU_DEP_1)
	v_lshlrev_b64 v[2:3], 2, v[1:2]
	s_waitcnt lgkmcnt(0)
	v_add_co_u32 v7, vcc_lo, s0, v2
	s_delay_alu instid0(VALU_DEP_2)
	v_add_co_ci_u32_e32 v8, vcc_lo, s1, v3, vcc_lo
	v_add_co_u32 v2, vcc_lo, s2, v2
	v_add_co_ci_u32_e32 v3, vcc_lo, s3, v3, vcc_lo
	global_load_b32 v4, v[7:8], off
	global_load_b32 v3, v[2:3], off
	s_waitcnt vmcnt(1)
	v_subrev_nc_u32_e32 v2, s19, v4
	s_delay_alu instid0(VALU_DEP_1) | instskip(SKIP_1) | instid1(VALU_DEP_1)
	v_mul_lo_u32 v4, 0x89, v2
	s_waitcnt vmcnt(0)
	v_dual_mul_f32 v3, v5, v3 :: v_dual_and_b32 v4, 0x1fff, v4
	s_branch .LBB13_32
.LBB13_31:                              ;   in Loop: Header=BB13_32 Depth=2
	s_or_b32 exec_lo, exec_lo, s8
	s_xor_b32 s8, s9, -1
	s_delay_alu instid0(SALU_CYCLE_1) | instskip(NEXT) | instid1(SALU_CYCLE_1)
	s_and_b32 s8, exec_lo, s8
	s_or_b32 s7, s8, s7
	s_delay_alu instid0(SALU_CYCLE_1)
	s_and_not1_b32 exec_lo, exec_lo, s7
	s_cbranch_execz .LBB13_29
.LBB13_32:                              ;   Parent Loop BB13_30 Depth=1
                                        ; =>  This Inner Loop Header: Depth=2
	s_delay_alu instid0(VALU_DEP_1)
	v_lshl_add_u32 v7, v4, 2, 0
	s_mov_b32 s8, exec_lo
                                        ; implicit-def: $sgpr9
	ds_load_b32 v8, v7
	s_waitcnt lgkmcnt(0)
	v_cmpx_ne_u32_e64 v8, v2
	s_xor_b32 s8, exec_lo, s8
	s_cbranch_execz .LBB13_40
; %bb.33:                               ;   in Loop: Header=BB13_32 Depth=2
	s_mov_b32 s10, exec_lo
                                        ; implicit-def: $sgpr9
	v_cmpx_ne_u32_e64 s24, v8
	s_xor_b32 s10, exec_lo, s10
; %bb.34:                               ;   in Loop: Header=BB13_32 Depth=2
	v_add_nc_u32_e32 v4, 1, v4
	s_mov_b32 s9, -1
                                        ; implicit-def: $vgpr7
	s_delay_alu instid0(VALU_DEP_1)
	v_and_b32_e32 v4, 0x1fff, v4
; %bb.35:                               ;   in Loop: Header=BB13_32 Depth=2
	s_and_not1_saveexec_b32 s10, s10
	s_cbranch_execz .LBB13_39
; %bb.36:                               ;   in Loop: Header=BB13_32 Depth=2
	v_mov_b32_e32 v8, s24
	s_mov_b32 s11, -1
	s_mov_b32 s12, exec_lo
	ds_cmpstore_rtn_b32 v8, v7, v2, v8
	s_waitcnt lgkmcnt(0)
	v_cmpx_eq_u32_e64 s24, v8
	s_cbranch_execz .LBB13_38
; %bb.37:                               ;   in Loop: Header=BB13_32 Depth=2
	ds_add_f32 v7, v3 offset:32768
	s_xor_b32 s11, exec_lo, -1
.LBB13_38:                              ;   in Loop: Header=BB13_32 Depth=2
	s_or_b32 exec_lo, exec_lo, s12
	s_delay_alu instid0(SALU_CYCLE_1) | instskip(SKIP_1) | instid1(SALU_CYCLE_1)
	s_and_not1_b32 s9, s9, exec_lo
	s_and_b32 s11, s11, exec_lo
	s_or_b32 s9, s9, s11
.LBB13_39:                              ;   in Loop: Header=BB13_32 Depth=2
	s_or_b32 exec_lo, exec_lo, s10
	s_delay_alu instid0(SALU_CYCLE_1)
	s_and_b32 s9, s9, exec_lo
                                        ; implicit-def: $vgpr7
.LBB13_40:                              ;   in Loop: Header=BB13_32 Depth=2
	s_and_not1_saveexec_b32 s8, s8
	s_cbranch_execz .LBB13_31
; %bb.41:                               ;   in Loop: Header=BB13_32 Depth=2
	ds_add_f32 v7, v3 offset:32768
	s_and_not1_b32 s9, s9, exec_lo
	s_branch .LBB13_31
.LBB13_42:
	s_or_b32 exec_lo, exec_lo, s5
.LBB13_43:
	v_mbcnt_lo_u32_b32 v1, -1, 0
	v_dual_mov_b32 v7, 0 :: v_dual_lshlrev_b32 v2, 2, v6
	s_add_i32 s36, 0, 0x1003c
	v_cmp_eq_u32_e32 vcc_lo, 0x3ff, v0
	s_delay_alu instid0(VALU_DEP_3) | instskip(NEXT) | instid1(VALU_DEP_3)
	v_xor_b32_e32 v1, 63, v1
	v_add3_u32 v4, 0, 0x10000, v2
	v_cmp_lt_u32_e64 s0, 63, v0
	v_cmp_lt_u32_e64 s1, 0x7f, v0
	;; [unrolled: 1-line block ×3, first 2 shown]
	v_lshrrev_b64 v[1:2], v1, -1
	v_cmp_lt_u32_e64 s3, 0xff, v0
	v_cmp_lt_u32_e64 s4, 0x13f, v0
	;; [unrolled: 1-line block ×12, first 2 shown]
	v_or_b32_e32 v5, 0xfffffc00, v0
	v_lshl_add_u32 v6, v0, 2, 0
	v_mov_b32_e32 v8, s36
	s_mov_b32 s19, 0
	s_add_i32 s21, 0, 0x10000
	s_add_i32 s25, 0, 0x10004
	;; [unrolled: 1-line block ×15, first 2 shown]
	s_waitcnt lgkmcnt(0)
	s_barrier
	buffer_gl0_inv
	s_branch .LBB13_45
.LBB13_44:                              ;   in Loop: Header=BB13_45 Depth=1
	s_or_b32 exec_lo, exec_lo, s15
	s_waitcnt lgkmcnt(0)
	s_barrier
	buffer_gl0_inv
	ds_load_b32 v2, v8
	v_add_nc_u32_e32 v5, 0x400, v5
	v_add_nc_u32_e32 v6, 0x1000, v6
	s_delay_alu instid0(VALU_DEP_2) | instskip(NEXT) | instid1(VALU_DEP_1)
	v_cmp_lt_u32_e64 s15, 0x1bff, v5
	s_or_b32 s19, s15, s19
	s_waitcnt lgkmcnt(0)
	v_add_nc_u32_e32 v7, v2, v7
	s_and_not1_b32 exec_lo, exec_lo, s19
	s_cbranch_execz .LBB13_79
.LBB13_45:                              ; =>This Inner Loop Header: Depth=1
	ds_load_2addr_stride64_b32 v[2:3], v6 offset1:128
	s_waitcnt lgkmcnt(0)
	s_barrier
	buffer_gl0_inv
	v_cmp_gt_i32_e64 s15, s24, v2
	s_delay_alu instid0(VALU_DEP_1) | instskip(NEXT) | instid1(SALU_CYCLE_1)
	s_bcnt1_i32_b32 s41, s15
	v_dual_mov_b32 v10, s41 :: v_dual_and_b32 v9, s15, v1
	s_delay_alu instid0(VALU_DEP_1)
	v_bcnt_u32_b32 v9, v9, 0
	ds_store_b32 v4, v10
	s_waitcnt lgkmcnt(0)
	s_barrier
	buffer_gl0_inv
	s_and_saveexec_b32 s41, s0
	s_cbranch_execnz .LBB13_62
; %bb.46:                               ;   in Loop: Header=BB13_45 Depth=1
	s_or_b32 exec_lo, exec_lo, s41
	s_and_saveexec_b32 s41, s1
	s_cbranch_execnz .LBB13_63
.LBB13_47:                              ;   in Loop: Header=BB13_45 Depth=1
	s_or_b32 exec_lo, exec_lo, s41
	s_and_saveexec_b32 s41, s2
	s_cbranch_execnz .LBB13_64
.LBB13_48:                              ;   in Loop: Header=BB13_45 Depth=1
	s_or_b32 exec_lo, exec_lo, s41
	s_and_saveexec_b32 s41, s3
	s_cbranch_execnz .LBB13_65
.LBB13_49:                              ;   in Loop: Header=BB13_45 Depth=1
	s_or_b32 exec_lo, exec_lo, s41
	s_and_saveexec_b32 s41, s4
	s_cbranch_execnz .LBB13_66
.LBB13_50:                              ;   in Loop: Header=BB13_45 Depth=1
	s_or_b32 exec_lo, exec_lo, s41
	s_and_saveexec_b32 s41, s5
	s_cbranch_execnz .LBB13_67
.LBB13_51:                              ;   in Loop: Header=BB13_45 Depth=1
	s_or_b32 exec_lo, exec_lo, s41
	s_and_saveexec_b32 s41, s6
	s_cbranch_execnz .LBB13_68
.LBB13_52:                              ;   in Loop: Header=BB13_45 Depth=1
	s_or_b32 exec_lo, exec_lo, s41
	s_and_saveexec_b32 s41, s7
	s_cbranch_execnz .LBB13_69
.LBB13_53:                              ;   in Loop: Header=BB13_45 Depth=1
	s_or_b32 exec_lo, exec_lo, s41
	s_and_saveexec_b32 s41, s8
	s_cbranch_execnz .LBB13_70
.LBB13_54:                              ;   in Loop: Header=BB13_45 Depth=1
	s_or_b32 exec_lo, exec_lo, s41
	s_and_saveexec_b32 s41, s9
	s_cbranch_execnz .LBB13_71
.LBB13_55:                              ;   in Loop: Header=BB13_45 Depth=1
	s_or_b32 exec_lo, exec_lo, s41
	s_and_saveexec_b32 s41, s10
	s_cbranch_execnz .LBB13_72
.LBB13_56:                              ;   in Loop: Header=BB13_45 Depth=1
	s_or_b32 exec_lo, exec_lo, s41
	s_and_saveexec_b32 s41, s11
	s_cbranch_execnz .LBB13_73
.LBB13_57:                              ;   in Loop: Header=BB13_45 Depth=1
	s_or_b32 exec_lo, exec_lo, s41
	s_and_saveexec_b32 s41, s12
	s_cbranch_execnz .LBB13_74
.LBB13_58:                              ;   in Loop: Header=BB13_45 Depth=1
	s_or_b32 exec_lo, exec_lo, s41
	s_and_saveexec_b32 s41, s13
	s_cbranch_execnz .LBB13_75
.LBB13_59:                              ;   in Loop: Header=BB13_45 Depth=1
	s_or_b32 exec_lo, exec_lo, s41
	s_and_saveexec_b32 s41, s14
	s_cbranch_execnz .LBB13_76
.LBB13_60:                              ;   in Loop: Header=BB13_45 Depth=1
	s_or_b32 exec_lo, exec_lo, s41
	s_and_saveexec_b32 s41, s15
	s_cbranch_execnz .LBB13_77
.LBB13_61:                              ;   in Loop: Header=BB13_45 Depth=1
	s_or_b32 exec_lo, exec_lo, s41
	s_and_saveexec_b32 s15, vcc_lo
	s_cbranch_execz .LBB13_44
	s_branch .LBB13_78
.LBB13_62:                              ;   in Loop: Header=BB13_45 Depth=1
	v_mov_b32_e32 v10, s21
	ds_load_b32 v10, v10
	s_waitcnt lgkmcnt(0)
	v_add_nc_u32_e32 v9, v10, v9
	s_or_b32 exec_lo, exec_lo, s41
	s_and_saveexec_b32 s41, s1
	s_cbranch_execz .LBB13_47
.LBB13_63:                              ;   in Loop: Header=BB13_45 Depth=1
	v_mov_b32_e32 v10, s25
	ds_load_b32 v10, v10
	s_waitcnt lgkmcnt(0)
	v_add_nc_u32_e32 v9, v10, v9
	s_or_b32 exec_lo, exec_lo, s41
	s_and_saveexec_b32 s41, s2
	s_cbranch_execz .LBB13_48
.LBB13_64:                              ;   in Loop: Header=BB13_45 Depth=1
	v_mov_b32_e32 v10, s26
	ds_load_b32 v10, v10
	s_waitcnt lgkmcnt(0)
	v_add_nc_u32_e32 v9, v10, v9
	s_or_b32 exec_lo, exec_lo, s41
	s_and_saveexec_b32 s41, s3
	s_cbranch_execz .LBB13_49
.LBB13_65:                              ;   in Loop: Header=BB13_45 Depth=1
	v_mov_b32_e32 v10, s27
	ds_load_b32 v10, v10
	s_waitcnt lgkmcnt(0)
	v_add_nc_u32_e32 v9, v10, v9
	s_or_b32 exec_lo, exec_lo, s41
	s_and_saveexec_b32 s41, s4
	s_cbranch_execz .LBB13_50
.LBB13_66:                              ;   in Loop: Header=BB13_45 Depth=1
	v_mov_b32_e32 v10, s28
	ds_load_b32 v10, v10
	s_waitcnt lgkmcnt(0)
	v_add_nc_u32_e32 v9, v10, v9
	s_or_b32 exec_lo, exec_lo, s41
	s_and_saveexec_b32 s41, s5
	s_cbranch_execz .LBB13_51
.LBB13_67:                              ;   in Loop: Header=BB13_45 Depth=1
	v_mov_b32_e32 v10, s29
	ds_load_b32 v10, v10
	s_waitcnt lgkmcnt(0)
	v_add_nc_u32_e32 v9, v10, v9
	s_or_b32 exec_lo, exec_lo, s41
	s_and_saveexec_b32 s41, s6
	s_cbranch_execz .LBB13_52
.LBB13_68:                              ;   in Loop: Header=BB13_45 Depth=1
	v_mov_b32_e32 v10, s30
	ds_load_b32 v10, v10
	s_waitcnt lgkmcnt(0)
	v_add_nc_u32_e32 v9, v10, v9
	s_or_b32 exec_lo, exec_lo, s41
	s_and_saveexec_b32 s41, s7
	s_cbranch_execz .LBB13_53
.LBB13_69:                              ;   in Loop: Header=BB13_45 Depth=1
	v_mov_b32_e32 v10, s31
	ds_load_b32 v10, v10
	s_waitcnt lgkmcnt(0)
	v_add_nc_u32_e32 v9, v10, v9
	s_or_b32 exec_lo, exec_lo, s41
	s_and_saveexec_b32 s41, s8
	s_cbranch_execz .LBB13_54
.LBB13_70:                              ;   in Loop: Header=BB13_45 Depth=1
	v_mov_b32_e32 v10, s33
	ds_load_b32 v10, v10
	s_waitcnt lgkmcnt(0)
	v_add_nc_u32_e32 v9, v10, v9
	s_or_b32 exec_lo, exec_lo, s41
	s_and_saveexec_b32 s41, s9
	s_cbranch_execz .LBB13_55
.LBB13_71:                              ;   in Loop: Header=BB13_45 Depth=1
	v_mov_b32_e32 v10, s34
	ds_load_b32 v10, v10
	s_waitcnt lgkmcnt(0)
	v_add_nc_u32_e32 v9, v10, v9
	s_or_b32 exec_lo, exec_lo, s41
	s_and_saveexec_b32 s41, s10
	s_cbranch_execz .LBB13_56
.LBB13_72:                              ;   in Loop: Header=BB13_45 Depth=1
	v_mov_b32_e32 v10, s35
	ds_load_b32 v10, v10
	s_waitcnt lgkmcnt(0)
	v_add_nc_u32_e32 v9, v10, v9
	s_or_b32 exec_lo, exec_lo, s41
	s_and_saveexec_b32 s41, s11
	s_cbranch_execz .LBB13_57
.LBB13_73:                              ;   in Loop: Header=BB13_45 Depth=1
	v_mov_b32_e32 v10, s37
	ds_load_b32 v10, v10
	s_waitcnt lgkmcnt(0)
	v_add_nc_u32_e32 v9, v10, v9
	s_or_b32 exec_lo, exec_lo, s41
	s_and_saveexec_b32 s41, s12
	s_cbranch_execz .LBB13_58
.LBB13_74:                              ;   in Loop: Header=BB13_45 Depth=1
	v_mov_b32_e32 v10, s38
	ds_load_b32 v10, v10
	s_waitcnt lgkmcnt(0)
	v_add_nc_u32_e32 v9, v10, v9
	s_or_b32 exec_lo, exec_lo, s41
	s_and_saveexec_b32 s41, s13
	s_cbranch_execz .LBB13_59
.LBB13_75:                              ;   in Loop: Header=BB13_45 Depth=1
	v_mov_b32_e32 v10, s39
	ds_load_b32 v10, v10
	s_waitcnt lgkmcnt(0)
	v_add_nc_u32_e32 v9, v10, v9
	s_or_b32 exec_lo, exec_lo, s41
	s_and_saveexec_b32 s41, s14
	s_cbranch_execz .LBB13_60
.LBB13_76:                              ;   in Loop: Header=BB13_45 Depth=1
	v_mov_b32_e32 v10, s40
	ds_load_b32 v10, v10
	s_waitcnt lgkmcnt(0)
	v_add_nc_u32_e32 v9, v10, v9
	s_or_b32 exec_lo, exec_lo, s41
	s_and_saveexec_b32 s41, s15
	s_cbranch_execz .LBB13_61
.LBB13_77:                              ;   in Loop: Header=BB13_45 Depth=1
	s_delay_alu instid0(VALU_DEP_1) | instskip(NEXT) | instid1(VALU_DEP_1)
	v_add3_u32 v10, v7, -1, v9
	v_lshl_add_u32 v10, v10, 2, 0
	ds_store_2addr_stride64_b32 v10, v2, v3 offset1:128
	s_or_b32 exec_lo, exec_lo, s41
	s_and_saveexec_b32 s15, vcc_lo
	s_cbranch_execz .LBB13_44
.LBB13_78:                              ;   in Loop: Header=BB13_45 Depth=1
	v_mov_b32_e32 v2, s36
	ds_store_b32 v2, v9
	s_branch .LBB13_44
.LBB13_79:
	s_or_b32 exec_lo, exec_lo, s19
	s_ashr_i32 s21, s20, 31
	s_mov_b32 s3, exec_lo
	s_lshl_b64 s[0:1], s[20:21], 2
	s_delay_alu instid0(SALU_CYCLE_1) | instskip(SKIP_4) | instid1(SALU_CYCLE_1)
	s_add_u32 s0, s22, s0
	s_addc_u32 s1, s23, s1
	s_load_b64 s[0:1], s[0:1], 0x0
	s_waitcnt lgkmcnt(0)
	s_sub_i32 s2, s1, s0
	v_cmpx_gt_i32_e64 s2, v0
	s_cbranch_execz .LBB13_89
; %bb.80:
	s_sub_i32 s3, s0, s18
	s_sub_i32 s0, s0, s1
	s_and_b32 s1, s2, 7
	s_cmp_lt_u32 s0, -7
	s_mov_b32 s7, 0
	s_cselect_b32 s4, -1, 0
	s_and_b32 s5, s2, -8
	s_cmp_lg_u32 s1, 0
	s_cselect_b32 s6, -1, 0
	s_branch .LBB13_82
.LBB13_81:                              ;   in Loop: Header=BB13_82 Depth=1
	s_delay_alu instid0(VALU_DEP_1) | instskip(SKIP_1) | instid1(VALU_DEP_2)
	v_ashrrev_i32_e32 v4, 31, v3
	v_add_nc_u32_e32 v0, 0x400, v0
	v_lshlrev_b64 v[3:4], 2, v[3:4]
	s_delay_alu instid0(VALU_DEP_2) | instskip(SKIP_1) | instid1(VALU_DEP_2)
	v_cmp_le_i32_e32 vcc_lo, s2, v0
	s_or_b32 s7, vcc_lo, s7
	v_add_co_u32 v3, s0, s16, v3
	s_delay_alu instid0(VALU_DEP_1)
	v_add_co_ci_u32_e64 v4, s0, s17, v4, s0
	s_waitcnt lgkmcnt(0)
	global_store_b32 v[3:4], v2, off
	s_and_not1_b32 exec_lo, exec_lo, s7
	s_cbranch_execz .LBB13_89
.LBB13_82:                              ; =>This Loop Header: Depth=1
                                        ;     Child Loop BB13_84 Depth 2
                                        ;     Child Loop BB13_88 Depth 2
	v_lshl_add_u32 v1, v0, 2, 0
	v_mov_b32_e32 v3, s3
	s_and_not1_b32 vcc_lo, exec_lo, s4
	s_mov_b32 s0, 0
	ds_load_2addr_stride64_b32 v[1:2], v1 offset1:128
	s_cbranch_vccnz .LBB13_86
; %bb.83:                               ;   in Loop: Header=BB13_82 Depth=1
	v_mov_b32_e32 v3, s3
	s_mov_b32 s8, 0
	s_set_inst_prefetch_distance 0x1
	.p2align	6
.LBB13_84:                              ;   Parent Loop BB13_82 Depth=1
                                        ; =>  This Inner Loop Header: Depth=2
	v_mov_b32_e32 v10, s8
	s_add_i32 s0, s0, 8
	s_add_i32 s8, s8, 32
	s_cmp_eq_u32 s5, s0
	ds_load_2addr_b32 v[4:5], v10 offset1:1
	ds_load_2addr_b32 v[6:7], v10 offset0:2 offset1:3
	ds_load_2addr_b32 v[8:9], v10 offset0:4 offset1:5
	ds_load_2addr_b32 v[10:11], v10 offset0:6 offset1:7
	s_waitcnt lgkmcnt(3)
	v_cmp_gt_i32_e32 vcc_lo, v1, v4
	v_cndmask_b32_e64 v4, 0, 1, vcc_lo
	s_waitcnt lgkmcnt(2)
	v_cmp_gt_i32_e32 vcc_lo, v1, v6
	v_cndmask_b32_e64 v6, 0, 1, vcc_lo
	v_cmp_gt_i32_e32 vcc_lo, v1, v5
	v_add_co_ci_u32_e32 v3, vcc_lo, v3, v4, vcc_lo
	s_waitcnt lgkmcnt(1)
	v_cmp_gt_i32_e32 vcc_lo, v1, v8
	v_cndmask_b32_e64 v4, 0, 1, vcc_lo
	v_cmp_gt_i32_e32 vcc_lo, v1, v7
	v_add_co_ci_u32_e32 v3, vcc_lo, v3, v6, vcc_lo
	;; [unrolled: 5-line block ×3, first 2 shown]
	v_cmp_gt_i32_e32 vcc_lo, v1, v11
	s_delay_alu instid0(VALU_DEP_2)
	v_add_co_ci_u32_e32 v3, vcc_lo, v3, v5, vcc_lo
	s_cbranch_scc0 .LBB13_84
; %bb.85:                               ;   in Loop: Header=BB13_82 Depth=1
	s_set_inst_prefetch_distance 0x2
	s_mov_b32 s0, s5
.LBB13_86:                              ;   in Loop: Header=BB13_82 Depth=1
	s_and_not1_b32 vcc_lo, exec_lo, s6
	s_cbranch_vccnz .LBB13_81
; %bb.87:                               ;   in Loop: Header=BB13_82 Depth=1
	s_lshl_b32 s0, s0, 2
	s_mov_b32 s8, s1
	s_add_i32 s0, s0, 0
.LBB13_88:                              ;   Parent Loop BB13_82 Depth=1
                                        ; =>  This Inner Loop Header: Depth=2
	s_delay_alu instid0(SALU_CYCLE_1)
	v_mov_b32_e32 v4, s0
	s_add_i32 s8, s8, -1
	s_add_i32 s0, s0, 4
	s_cmp_lg_u32 s8, 0
	ds_load_b32 v4, v4
	s_waitcnt lgkmcnt(0)
	v_cmp_gt_i32_e32 vcc_lo, v1, v4
	v_add_co_ci_u32_e32 v3, vcc_lo, 0, v3, vcc_lo
	s_cbranch_scc1 .LBB13_88
	s_branch .LBB13_81
.LBB13_89:
	s_nop 0
	s_sendmsg sendmsg(MSG_DEALLOC_VGPRS)
	s_endpgm
	.section	.rodata,"a",@progbits
	.p2align	6, 0x0
	.amdhsa_kernel _ZN9rocsparseL41csrgemm_numeric_fill_block_per_row_kernelILj1024ELj64ELj8192ELj137ELj64EiifEEvT5_PKS1_S3_NS_24const_host_device_scalarIT6_EEPKT4_S3_PKS5_S9_S3_SB_S6_S9_S3_SB_S9_S3_PS5_21rocsparse_index_base_SD_SD_SD_bbb
		.amdhsa_group_segment_fixed_size 0
		.amdhsa_private_segment_fixed_size 0
		.amdhsa_kernarg_size 156
		.amdhsa_user_sgpr_count 15
		.amdhsa_user_sgpr_dispatch_ptr 0
		.amdhsa_user_sgpr_queue_ptr 0
		.amdhsa_user_sgpr_kernarg_segment_ptr 1
		.amdhsa_user_sgpr_dispatch_id 0
		.amdhsa_user_sgpr_private_segment_size 0
		.amdhsa_wavefront_size32 1
		.amdhsa_uses_dynamic_stack 0
		.amdhsa_enable_private_segment 0
		.amdhsa_system_sgpr_workgroup_id_x 1
		.amdhsa_system_sgpr_workgroup_id_y 0
		.amdhsa_system_sgpr_workgroup_id_z 0
		.amdhsa_system_sgpr_workgroup_info 0
		.amdhsa_system_vgpr_workitem_id 0
		.amdhsa_next_free_vgpr 14
		.amdhsa_next_free_sgpr 42
		.amdhsa_reserve_vcc 1
		.amdhsa_float_round_mode_32 0
		.amdhsa_float_round_mode_16_64 0
		.amdhsa_float_denorm_mode_32 3
		.amdhsa_float_denorm_mode_16_64 3
		.amdhsa_dx10_clamp 1
		.amdhsa_ieee_mode 1
		.amdhsa_fp16_overflow 0
		.amdhsa_workgroup_processor_mode 1
		.amdhsa_memory_ordered 1
		.amdhsa_forward_progress 0
		.amdhsa_shared_vgpr_count 0
		.amdhsa_exception_fp_ieee_invalid_op 0
		.amdhsa_exception_fp_denorm_src 0
		.amdhsa_exception_fp_ieee_div_zero 0
		.amdhsa_exception_fp_ieee_overflow 0
		.amdhsa_exception_fp_ieee_underflow 0
		.amdhsa_exception_fp_ieee_inexact 0
		.amdhsa_exception_int_div_zero 0
	.end_amdhsa_kernel
	.section	.text._ZN9rocsparseL41csrgemm_numeric_fill_block_per_row_kernelILj1024ELj64ELj8192ELj137ELj64EiifEEvT5_PKS1_S3_NS_24const_host_device_scalarIT6_EEPKT4_S3_PKS5_S9_S3_SB_S6_S9_S3_SB_S9_S3_PS5_21rocsparse_index_base_SD_SD_SD_bbb,"axG",@progbits,_ZN9rocsparseL41csrgemm_numeric_fill_block_per_row_kernelILj1024ELj64ELj8192ELj137ELj64EiifEEvT5_PKS1_S3_NS_24const_host_device_scalarIT6_EEPKT4_S3_PKS5_S9_S3_SB_S6_S9_S3_SB_S9_S3_PS5_21rocsparse_index_base_SD_SD_SD_bbb,comdat
.Lfunc_end13:
	.size	_ZN9rocsparseL41csrgemm_numeric_fill_block_per_row_kernelILj1024ELj64ELj8192ELj137ELj64EiifEEvT5_PKS1_S3_NS_24const_host_device_scalarIT6_EEPKT4_S3_PKS5_S9_S3_SB_S6_S9_S3_SB_S9_S3_PS5_21rocsparse_index_base_SD_SD_SD_bbb, .Lfunc_end13-_ZN9rocsparseL41csrgemm_numeric_fill_block_per_row_kernelILj1024ELj64ELj8192ELj137ELj64EiifEEvT5_PKS1_S3_NS_24const_host_device_scalarIT6_EEPKT4_S3_PKS5_S9_S3_SB_S6_S9_S3_SB_S9_S3_PS5_21rocsparse_index_base_SD_SD_SD_bbb
                                        ; -- End function
	.section	.AMDGPU.csdata,"",@progbits
; Kernel info:
; codeLenInByte = 3300
; NumSgprs: 44
; NumVgprs: 14
; ScratchSize: 0
; MemoryBound: 0
; FloatMode: 240
; IeeeMode: 1
; LDSByteSize: 0 bytes/workgroup (compile time only)
; SGPRBlocks: 5
; VGPRBlocks: 1
; NumSGPRsForWavesPerEU: 44
; NumVGPRsForWavesPerEU: 14
; Occupancy: 16
; WaveLimiterHint : 1
; COMPUTE_PGM_RSRC2:SCRATCH_EN: 0
; COMPUTE_PGM_RSRC2:USER_SGPR: 15
; COMPUTE_PGM_RSRC2:TRAP_HANDLER: 0
; COMPUTE_PGM_RSRC2:TGID_X_EN: 1
; COMPUTE_PGM_RSRC2:TGID_Y_EN: 0
; COMPUTE_PGM_RSRC2:TGID_Z_EN: 0
; COMPUTE_PGM_RSRC2:TIDIG_COMP_CNT: 0
	.section	.text._ZN9rocsparseL41csrgemm_numeric_fill_block_per_row_kernelILj1024ELj64ELj16384ELj137ELj32EiifEEvT5_PKS1_S3_NS_24const_host_device_scalarIT6_EEPKT4_S3_PKS5_S9_S3_SB_S6_S9_S3_SB_S9_S3_PS5_21rocsparse_index_base_SD_SD_SD_bbb,"axG",@progbits,_ZN9rocsparseL41csrgemm_numeric_fill_block_per_row_kernelILj1024ELj64ELj16384ELj137ELj32EiifEEvT5_PKS1_S3_NS_24const_host_device_scalarIT6_EEPKT4_S3_PKS5_S9_S3_SB_S6_S9_S3_SB_S9_S3_PS5_21rocsparse_index_base_SD_SD_SD_bbb,comdat
	.globl	_ZN9rocsparseL41csrgemm_numeric_fill_block_per_row_kernelILj1024ELj64ELj16384ELj137ELj32EiifEEvT5_PKS1_S3_NS_24const_host_device_scalarIT6_EEPKT4_S3_PKS5_S9_S3_SB_S6_S9_S3_SB_S9_S3_PS5_21rocsparse_index_base_SD_SD_SD_bbb ; -- Begin function _ZN9rocsparseL41csrgemm_numeric_fill_block_per_row_kernelILj1024ELj64ELj16384ELj137ELj32EiifEEvT5_PKS1_S3_NS_24const_host_device_scalarIT6_EEPKT4_S3_PKS5_S9_S3_SB_S6_S9_S3_SB_S9_S3_PS5_21rocsparse_index_base_SD_SD_SD_bbb
	.p2align	8
	.type	_ZN9rocsparseL41csrgemm_numeric_fill_block_per_row_kernelILj1024ELj64ELj16384ELj137ELj32EiifEEvT5_PKS1_S3_NS_24const_host_device_scalarIT6_EEPKT4_S3_PKS5_S9_S3_SB_S6_S9_S3_SB_S9_S3_PS5_21rocsparse_index_base_SD_SD_SD_bbb,@function
_ZN9rocsparseL41csrgemm_numeric_fill_block_per_row_kernelILj1024ELj64ELj16384ELj137ELj32EiifEEvT5_PKS1_S3_NS_24const_host_device_scalarIT6_EEPKT4_S3_PKS5_S9_S3_SB_S6_S9_S3_SB_S9_S3_PS5_21rocsparse_index_base_SD_SD_SD_bbb: ; @_ZN9rocsparseL41csrgemm_numeric_fill_block_per_row_kernelILj1024ELj64ELj16384ELj137ELj32EiifEEvT5_PKS1_S3_NS_24const_host_device_scalarIT6_EEPKT4_S3_PKS5_S9_S3_SB_S6_S9_S3_SB_S9_S3_PS5_21rocsparse_index_base_SD_SD_SD_bbb
; %bb.0:
	s_clause 0x3
	s_load_b32 s12, s[0:1], 0x98
	s_load_b128 s[44:47], s[0:1], 0x88
	s_load_b64 s[4:5], s[0:1], 0x18
	s_load_b64 s[2:3], s[0:1], 0x50
	s_waitcnt lgkmcnt(0)
	s_bitcmp1_b32 s12, 0
	s_cselect_b32 s13, -1, 0
	s_bitcmp1_b32 s12, 16
	s_cselect_b32 s14, -1, 0
	s_xor_b32 s6, s13, -1
	s_delay_alu instid0(SALU_CYCLE_1) | instskip(NEXT) | instid1(SALU_CYCLE_1)
	s_or_b32 s6, s6, s14
	s_and_b32 vcc_lo, exec_lo, s6
	s_cbranch_vccnz .LBB14_2
; %bb.1:
	s_load_b32 s4, s[4:5], 0x0
	s_waitcnt lgkmcnt(0)
	v_mov_b32_e32 v8, s4
	s_branch .LBB14_3
.LBB14_2:
	v_cndmask_b32_e64 v8, 0, s4, s13
.LBB14_3:
	s_clause 0x4
	s_load_b64 s[34:35], s[0:1], 0x80
	s_load_b256 s[36:43], s[0:1], 0x58
	s_load_b128 s[16:19], s[0:1], 0x40
	s_load_b128 s[20:23], s[0:1], 0x8
	s_load_b256 s[4:11], s[0:1], 0x20
	s_bitcmp1_b32 s12, 8
	s_cselect_b32 s12, -1, 0
	s_delay_alu instid0(SALU_CYCLE_1) | instskip(NEXT) | instid1(SALU_CYCLE_1)
	s_xor_b32 s24, s12, -1
	s_or_b32 s14, s24, s14
	s_delay_alu instid0(SALU_CYCLE_1)
	s_and_b32 vcc_lo, exec_lo, s14
	s_cbranch_vccnz .LBB14_5
; %bb.4:
	s_load_b32 s2, s[2:3], 0x0
	s_waitcnt lgkmcnt(0)
	v_mov_b32_e32 v7, s2
	s_branch .LBB14_6
.LBB14_5:
	v_cndmask_b32_e64 v7, 0, s2, s12
.LBB14_6:
	s_load_b32 s33, s[0:1], 0x0
	v_lshl_add_u32 v5, v0, 2, 0
	v_or_b32_e32 v6, 0xfffffc00, v0
	v_mov_b32_e32 v1, 0
	s_mov_b32 s0, 0
	s_delay_alu instid0(VALU_DEP_3)
	v_mov_b32_e32 v2, v5
	s_waitcnt lgkmcnt(0)
	v_dual_mov_b32 v4, v6 :: v_dual_mov_b32 v3, s33
.LBB14_7:                               ; =>This Inner Loop Header: Depth=1
	s_delay_alu instid0(VALU_DEP_1) | instskip(NEXT) | instid1(VALU_DEP_3)
	v_add_nc_u32_e32 v4, 0x400, v4
	v_add_nc_u32_e32 v9, 0x10000, v2
	ds_store_b32 v2, v3
	v_add_nc_u32_e32 v2, 0x1000, v2
	v_cmp_lt_u32_e32 vcc_lo, 0x3bff, v4
	ds_store_b32 v9, v1
	s_or_b32 s0, vcc_lo, s0
	s_delay_alu instid0(SALU_CYCLE_1)
	s_and_not1_b32 exec_lo, exec_lo, s0
	s_cbranch_execnz .LBB14_7
; %bb.8:
	s_or_b32 exec_lo, exec_lo, s0
	s_waitcnt lgkmcnt(0)
	s_barrier
	buffer_gl0_inv
	s_load_b32 s0, s[20:21], 0x0
	s_mov_b32 s1, 0
	s_waitcnt lgkmcnt(0)
	s_add_i32 s0, s0, s15
	s_delay_alu instid0(SALU_CYCLE_1) | instskip(NEXT) | instid1(SALU_CYCLE_1)
	s_lshl_b64 s[0:1], s[0:1], 2
	s_add_u32 s0, s22, s0
	s_addc_u32 s1, s23, s1
	s_and_b32 vcc_lo, exec_lo, s13
	s_load_b32 s48, s[0:1], 0x0
	s_cbranch_vccz .LBB14_28
; %bb.9:
	s_waitcnt lgkmcnt(0)
	s_ashr_i32 s49, s48, 31
	v_lshrrev_b32_e32 v1, 6, v0
	s_lshl_b64 s[0:1], s[48:49], 2
	s_delay_alu instid0(SALU_CYCLE_1) | instskip(SKIP_1) | instid1(VALU_DEP_1)
	s_add_u32 s0, s4, s0
	s_addc_u32 s1, s5, s1
	v_subrev_nc_u32_e32 v1, s44, v1
	s_load_b64 s[0:1], s[0:1], 0x0
	s_waitcnt lgkmcnt(0)
	s_delay_alu instid0(VALU_DEP_1) | instskip(SKIP_2) | instid1(VALU_DEP_1)
	v_add_nc_u32_e32 v1, s0, v1
	s_sub_i32 s0, s1, s44
	s_mov_b32 s1, exec_lo
	v_cmpx_gt_i32_e64 s0, v1
	s_cbranch_execz .LBB14_27
; %bb.10:
	v_and_b32_e32 v2, 63, v0
	s_mov_b32 s2, 0
	s_delay_alu instid0(VALU_DEP_1)
	v_subrev_nc_u32_e32 v9, s45, v2
	s_branch .LBB14_12
.LBB14_11:                              ;   in Loop: Header=BB14_12 Depth=1
	s_or_b32 exec_lo, exec_lo, s3
	v_add_nc_u32_e32 v1, 16, v1
	s_delay_alu instid0(VALU_DEP_1) | instskip(SKIP_1) | instid1(SALU_CYCLE_1)
	v_cmp_le_i32_e32 vcc_lo, s0, v1
	s_or_b32 s2, vcc_lo, s2
	s_and_not1_b32 exec_lo, exec_lo, s2
	s_cbranch_execz .LBB14_27
.LBB14_12:                              ; =>This Loop Header: Depth=1
                                        ;     Child Loop BB14_15 Depth 2
                                        ;       Child Loop BB14_17 Depth 3
	v_ashrrev_i32_e32 v2, 31, v1
	s_mov_b32 s3, exec_lo
	s_delay_alu instid0(VALU_DEP_1) | instskip(NEXT) | instid1(VALU_DEP_1)
	v_lshlrev_b64 v[3:4], 2, v[1:2]
	v_add_co_u32 v10, vcc_lo, s6, v3
	s_delay_alu instid0(VALU_DEP_2) | instskip(SKIP_3) | instid1(VALU_DEP_1)
	v_add_co_ci_u32_e32 v11, vcc_lo, s7, v4, vcc_lo
	global_load_b32 v2, v[10:11], off
	s_waitcnt vmcnt(0)
	v_subrev_nc_u32_e32 v10, s44, v2
	v_ashrrev_i32_e32 v11, 31, v10
	s_delay_alu instid0(VALU_DEP_1) | instskip(NEXT) | instid1(VALU_DEP_1)
	v_lshlrev_b64 v[10:11], 2, v[10:11]
	v_add_co_u32 v10, vcc_lo, s10, v10
	s_delay_alu instid0(VALU_DEP_2) | instskip(SKIP_4) | instid1(VALU_DEP_1)
	v_add_co_ci_u32_e32 v11, vcc_lo, s11, v11, vcc_lo
	global_load_b64 v[11:12], v[10:11], off
	s_waitcnt vmcnt(0)
	v_subrev_nc_u32_e32 v10, s45, v12
	v_add_nc_u32_e32 v2, v11, v9
	v_cmpx_lt_i32_e64 v2, v10
	s_cbranch_execz .LBB14_11
; %bb.13:                               ;   in Loop: Header=BB14_12 Depth=1
	v_add_co_u32 v3, vcc_lo, s8, v3
	v_add_co_ci_u32_e32 v4, vcc_lo, s9, v4, vcc_lo
	s_mov_b32 s4, 0
	global_load_b32 v3, v[3:4], off
	s_waitcnt vmcnt(0)
	v_mul_f32_e32 v4, v8, v3
	s_branch .LBB14_15
.LBB14_14:                              ;   in Loop: Header=BB14_15 Depth=2
	s_or_b32 exec_lo, exec_lo, s5
	v_add_nc_u32_e32 v2, 64, v2
	s_delay_alu instid0(VALU_DEP_1) | instskip(SKIP_1) | instid1(SALU_CYCLE_1)
	v_cmp_ge_i32_e32 vcc_lo, v2, v10
	s_or_b32 s4, vcc_lo, s4
	s_and_not1_b32 exec_lo, exec_lo, s4
	s_cbranch_execz .LBB14_11
.LBB14_15:                              ;   Parent Loop BB14_12 Depth=1
                                        ; =>  This Loop Header: Depth=2
                                        ;       Child Loop BB14_17 Depth 3
	v_ashrrev_i32_e32 v3, 31, v2
	s_mov_b32 s5, 0
	s_delay_alu instid0(VALU_DEP_1) | instskip(NEXT) | instid1(VALU_DEP_1)
	v_lshlrev_b64 v[11:12], 2, v[2:3]
	v_add_co_u32 v13, vcc_lo, s16, v11
	s_delay_alu instid0(VALU_DEP_2)
	v_add_co_ci_u32_e32 v14, vcc_lo, s17, v12, vcc_lo
	v_add_co_u32 v11, vcc_lo, s18, v11
	v_add_co_ci_u32_e32 v12, vcc_lo, s19, v12, vcc_lo
	global_load_b32 v3, v[13:14], off
	global_load_b32 v11, v[11:12], off
	s_waitcnt vmcnt(1)
	v_subrev_nc_u32_e32 v3, s45, v3
	s_delay_alu instid0(VALU_DEP_1) | instskip(SKIP_1) | instid1(VALU_DEP_1)
	v_mul_lo_u32 v12, 0x89, v3
	s_waitcnt vmcnt(0)
	v_dual_mul_f32 v11, v4, v11 :: v_dual_and_b32 v12, 0x3fff, v12
	s_branch .LBB14_17
.LBB14_16:                              ;   in Loop: Header=BB14_17 Depth=3
	s_or_b32 exec_lo, exec_lo, s13
	s_xor_b32 s13, s14, -1
	s_delay_alu instid0(SALU_CYCLE_1) | instskip(NEXT) | instid1(SALU_CYCLE_1)
	s_and_b32 s13, exec_lo, s13
	s_or_b32 s5, s13, s5
	s_delay_alu instid0(SALU_CYCLE_1)
	s_and_not1_b32 exec_lo, exec_lo, s5
	s_cbranch_execz .LBB14_14
.LBB14_17:                              ;   Parent Loop BB14_12 Depth=1
                                        ;     Parent Loop BB14_15 Depth=2
                                        ; =>    This Inner Loop Header: Depth=3
	s_delay_alu instid0(VALU_DEP_1)
	v_lshl_add_u32 v13, v12, 2, 0
	s_mov_b32 s13, exec_lo
                                        ; implicit-def: $sgpr14
	ds_load_b32 v14, v13
	s_waitcnt lgkmcnt(0)
	v_cmpx_ne_u32_e64 v14, v3
	s_xor_b32 s13, exec_lo, s13
	s_cbranch_execz .LBB14_25
; %bb.18:                               ;   in Loop: Header=BB14_17 Depth=3
	s_mov_b32 s15, exec_lo
                                        ; implicit-def: $sgpr14
	v_cmpx_ne_u32_e64 s33, v14
	s_xor_b32 s15, exec_lo, s15
; %bb.19:                               ;   in Loop: Header=BB14_17 Depth=3
	v_add_nc_u32_e32 v12, 1, v12
	s_mov_b32 s14, -1
                                        ; implicit-def: $vgpr13
	s_delay_alu instid0(VALU_DEP_1)
	v_and_b32_e32 v12, 0x3fff, v12
; %bb.20:                               ;   in Loop: Header=BB14_17 Depth=3
	s_and_not1_saveexec_b32 s15, s15
	s_cbranch_execz .LBB14_24
; %bb.21:                               ;   in Loop: Header=BB14_17 Depth=3
	v_mov_b32_e32 v14, s33
	s_mov_b32 s20, -1
	s_mov_b32 s21, exec_lo
	ds_cmpstore_rtn_b32 v13, v13, v3, v14
	s_waitcnt lgkmcnt(0)
	v_cmpx_eq_u32_e64 s33, v13
	s_cbranch_execz .LBB14_23
; %bb.22:                               ;   in Loop: Header=BB14_17 Depth=3
	v_lshlrev_b32_e32 v13, 2, v12
	s_xor_b32 s20, exec_lo, -1
	s_delay_alu instid0(VALU_DEP_1)
	v_add3_u32 v13, 0, v13, 0x10000
	ds_add_f32 v13, v11
.LBB14_23:                              ;   in Loop: Header=BB14_17 Depth=3
	s_or_b32 exec_lo, exec_lo, s21
	s_delay_alu instid0(SALU_CYCLE_1) | instskip(SKIP_1) | instid1(SALU_CYCLE_1)
	s_and_not1_b32 s14, s14, exec_lo
	s_and_b32 s20, s20, exec_lo
	s_or_b32 s14, s14, s20
.LBB14_24:                              ;   in Loop: Header=BB14_17 Depth=3
	s_or_b32 exec_lo, exec_lo, s15
	s_delay_alu instid0(SALU_CYCLE_1)
	s_and_b32 s14, s14, exec_lo
.LBB14_25:                              ;   in Loop: Header=BB14_17 Depth=3
	s_and_not1_saveexec_b32 s13, s13
	s_cbranch_execz .LBB14_16
; %bb.26:                               ;   in Loop: Header=BB14_17 Depth=3
	v_lshlrev_b32_e32 v13, 2, v12
	s_and_not1_b32 s14, s14, exec_lo
	s_delay_alu instid0(VALU_DEP_1)
	v_add3_u32 v13, 0, v13, 0x10000
	ds_add_f32 v13, v11
	s_branch .LBB14_16
.LBB14_27:
	s_or_b32 exec_lo, exec_lo, s1
.LBB14_28:
	s_delay_alu instid0(SALU_CYCLE_1)
	s_and_not1_b32 vcc_lo, exec_lo, s12
	s_cbranch_vccnz .LBB14_45
; %bb.29:
	s_waitcnt lgkmcnt(0)
	s_ashr_i32 s49, s48, 31
	v_subrev_nc_u32_e32 v1, s47, v0
	s_lshl_b64 s[0:1], s[48:49], 2
	s_delay_alu instid0(SALU_CYCLE_1)
	s_add_u32 s0, s36, s0
	s_addc_u32 s1, s37, s1
	s_load_b64 s[0:1], s[0:1], 0x0
	s_waitcnt lgkmcnt(0)
	v_add_nc_u32_e32 v1, s0, v1
	s_sub_i32 s0, s1, s47
	s_mov_b32 s1, exec_lo
	s_delay_alu instid0(VALU_DEP_1)
	v_cmpx_gt_i32_e64 s0, v1
	s_cbranch_execz .LBB14_44
; %bb.30:
	s_mov_b32 s2, 0
	s_branch .LBB14_32
.LBB14_31:                              ;   in Loop: Header=BB14_32 Depth=1
	s_or_b32 exec_lo, exec_lo, s3
	v_add_nc_u32_e32 v1, 0x400, v1
	s_delay_alu instid0(VALU_DEP_1) | instskip(SKIP_1) | instid1(SALU_CYCLE_1)
	v_cmp_le_i32_e32 vcc_lo, s0, v1
	s_or_b32 s2, vcc_lo, s2
	s_and_not1_b32 exec_lo, exec_lo, s2
	s_cbranch_execz .LBB14_44
.LBB14_32:                              ; =>This Loop Header: Depth=1
                                        ;     Child Loop BB14_34 Depth 2
	v_ashrrev_i32_e32 v2, 31, v1
	s_mov_b32 s3, 0
	s_delay_alu instid0(VALU_DEP_1) | instskip(NEXT) | instid1(VALU_DEP_1)
	v_lshlrev_b64 v[2:3], 2, v[1:2]
	v_add_co_u32 v8, vcc_lo, s38, v2
	s_delay_alu instid0(VALU_DEP_2)
	v_add_co_ci_u32_e32 v9, vcc_lo, s39, v3, vcc_lo
	v_add_co_u32 v2, vcc_lo, s40, v2
	v_add_co_ci_u32_e32 v3, vcc_lo, s41, v3, vcc_lo
	global_load_b32 v4, v[8:9], off
	global_load_b32 v3, v[2:3], off
	s_waitcnt vmcnt(1)
	v_subrev_nc_u32_e32 v2, s47, v4
	s_delay_alu instid0(VALU_DEP_1) | instskip(SKIP_1) | instid1(VALU_DEP_1)
	v_mul_lo_u32 v4, 0x89, v2
	s_waitcnt vmcnt(0)
	v_dual_mul_f32 v3, v7, v3 :: v_dual_and_b32 v4, 0x3fff, v4
	s_branch .LBB14_34
.LBB14_33:                              ;   in Loop: Header=BB14_34 Depth=2
	s_or_b32 exec_lo, exec_lo, s4
	s_xor_b32 s4, s5, -1
	s_delay_alu instid0(SALU_CYCLE_1) | instskip(NEXT) | instid1(SALU_CYCLE_1)
	s_and_b32 s4, exec_lo, s4
	s_or_b32 s3, s4, s3
	s_delay_alu instid0(SALU_CYCLE_1)
	s_and_not1_b32 exec_lo, exec_lo, s3
	s_cbranch_execz .LBB14_31
.LBB14_34:                              ;   Parent Loop BB14_32 Depth=1
                                        ; =>  This Inner Loop Header: Depth=2
	s_delay_alu instid0(VALU_DEP_1)
	v_lshl_add_u32 v8, v4, 2, 0
	s_mov_b32 s4, exec_lo
                                        ; implicit-def: $sgpr5
	ds_load_b32 v9, v8
	s_waitcnt lgkmcnt(0)
	v_cmpx_ne_u32_e64 v9, v2
	s_xor_b32 s4, exec_lo, s4
	s_cbranch_execz .LBB14_42
; %bb.35:                               ;   in Loop: Header=BB14_34 Depth=2
	s_mov_b32 s6, exec_lo
                                        ; implicit-def: $sgpr5
	v_cmpx_ne_u32_e64 s33, v9
	s_xor_b32 s6, exec_lo, s6
; %bb.36:                               ;   in Loop: Header=BB14_34 Depth=2
	v_add_nc_u32_e32 v4, 1, v4
	s_mov_b32 s5, -1
                                        ; implicit-def: $vgpr8
	s_delay_alu instid0(VALU_DEP_1)
	v_and_b32_e32 v4, 0x3fff, v4
; %bb.37:                               ;   in Loop: Header=BB14_34 Depth=2
	s_and_not1_saveexec_b32 s6, s6
	s_cbranch_execz .LBB14_41
; %bb.38:                               ;   in Loop: Header=BB14_34 Depth=2
	v_mov_b32_e32 v9, s33
	s_mov_b32 s7, -1
	s_mov_b32 s8, exec_lo
	ds_cmpstore_rtn_b32 v8, v8, v2, v9
	s_waitcnt lgkmcnt(0)
	v_cmpx_eq_u32_e64 s33, v8
	s_cbranch_execz .LBB14_40
; %bb.39:                               ;   in Loop: Header=BB14_34 Depth=2
	v_lshlrev_b32_e32 v8, 2, v4
	s_xor_b32 s7, exec_lo, -1
	s_delay_alu instid0(VALU_DEP_1)
	v_add3_u32 v8, 0, v8, 0x10000
	ds_add_f32 v8, v3
.LBB14_40:                              ;   in Loop: Header=BB14_34 Depth=2
	s_or_b32 exec_lo, exec_lo, s8
	s_delay_alu instid0(SALU_CYCLE_1) | instskip(SKIP_1) | instid1(SALU_CYCLE_1)
	s_and_not1_b32 s5, s5, exec_lo
	s_and_b32 s7, s7, exec_lo
	s_or_b32 s5, s5, s7
.LBB14_41:                              ;   in Loop: Header=BB14_34 Depth=2
	s_or_b32 exec_lo, exec_lo, s6
	s_delay_alu instid0(SALU_CYCLE_1)
	s_and_b32 s5, s5, exec_lo
.LBB14_42:                              ;   in Loop: Header=BB14_34 Depth=2
	s_and_not1_saveexec_b32 s4, s4
	s_cbranch_execz .LBB14_33
; %bb.43:                               ;   in Loop: Header=BB14_34 Depth=2
	v_lshlrev_b32_e32 v8, 2, v4
	s_and_not1_b32 s5, s5, exec_lo
	s_delay_alu instid0(VALU_DEP_1)
	v_add3_u32 v8, 0, v8, 0x10000
	ds_add_f32 v8, v3
	s_branch .LBB14_33
.LBB14_44:
	s_or_b32 exec_lo, exec_lo, s1
.LBB14_45:
	v_mbcnt_lo_u32_b32 v1, -1, 0
	v_lshrrev_b32_e32 v2, 3, v0
	s_add_i32 s68, 0, 0x2007c
	v_cmp_eq_u32_e32 vcc_lo, 0x3ff, v0
	v_cmp_lt_u32_e64 s0, 31, v0
	v_xor_b32_e32 v1, 63, v1
	v_dual_mov_b32 v4, s68 :: v_dual_and_b32 v3, 0x7c, v2
	v_cmp_lt_u32_e64 s1, 63, v0
	v_cmp_lt_u32_e64 s2, 0x5f, v0
	s_delay_alu instid0(VALU_DEP_4) | instskip(NEXT) | instid1(VALU_DEP_4)
	v_lshrrev_b64 v[1:2], v1, -1
	v_add3_u32 v2, 0, 0x20000, v3
	v_cmp_lt_u32_e64 s3, 0x7f, v0
	v_cmp_lt_u32_e64 s4, 0x9f, v0
	;; [unrolled: 1-line block ×28, first 2 shown]
	v_mov_b32_e32 v3, 0
	s_mov_b32 s36, 0
	s_add_i32 s37, 0, 0x20000
	s_add_i32 s38, 0, 0x20004
	;; [unrolled: 1-line block ×31, first 2 shown]
	s_waitcnt lgkmcnt(0)
	s_barrier
	buffer_gl0_inv
	s_branch .LBB14_47
.LBB14_46:                              ;   in Loop: Header=BB14_47 Depth=1
	s_or_b32 exec_lo, exec_lo, s31
	s_waitcnt lgkmcnt(0)
	s_barrier
	buffer_gl0_inv
	ds_load_b32 v7, v4
	v_add_nc_u32_e32 v6, 0x400, v6
	v_add_nc_u32_e32 v5, 0x1000, v5
	s_delay_alu instid0(VALU_DEP_2) | instskip(NEXT) | instid1(VALU_DEP_1)
	v_cmp_lt_u32_e64 s31, 0x3bff, v6
	s_or_b32 s36, s31, s36
	s_waitcnt lgkmcnt(0)
	v_add_nc_u32_e32 v3, v7, v3
	s_and_not1_b32 exec_lo, exec_lo, s36
	s_cbranch_execz .LBB14_113
.LBB14_47:                              ; =>This Inner Loop Header: Depth=1
	ds_load_b32 v7, v5
	v_add_nc_u32_e32 v8, 0x10000, v5
	ds_load_b32 v8, v8
	s_waitcnt lgkmcnt(0)
	s_barrier
	buffer_gl0_inv
	v_cmp_gt_i32_e64 s31, s33, v7
	s_delay_alu instid0(VALU_DEP_1) | instskip(NEXT) | instid1(SALU_CYCLE_1)
	s_bcnt1_i32_b32 s73, s31
	v_dual_mov_b32 v10, s73 :: v_dual_and_b32 v9, s31, v1
	s_delay_alu instid0(VALU_DEP_1)
	v_bcnt_u32_b32 v9, v9, 0
	ds_store_b32 v2, v10
	s_waitcnt lgkmcnt(0)
	s_barrier
	buffer_gl0_inv
	s_and_saveexec_b32 s73, s0
	s_cbranch_execnz .LBB14_80
; %bb.48:                               ;   in Loop: Header=BB14_47 Depth=1
	s_or_b32 exec_lo, exec_lo, s73
	s_and_saveexec_b32 s73, s1
	s_cbranch_execnz .LBB14_81
.LBB14_49:                              ;   in Loop: Header=BB14_47 Depth=1
	s_or_b32 exec_lo, exec_lo, s73
	s_and_saveexec_b32 s73, s2
	s_cbranch_execnz .LBB14_82
.LBB14_50:                              ;   in Loop: Header=BB14_47 Depth=1
	s_or_b32 exec_lo, exec_lo, s73
	s_and_saveexec_b32 s73, s3
	s_cbranch_execnz .LBB14_83
.LBB14_51:                              ;   in Loop: Header=BB14_47 Depth=1
	s_or_b32 exec_lo, exec_lo, s73
	s_and_saveexec_b32 s73, s4
	s_cbranch_execnz .LBB14_84
.LBB14_52:                              ;   in Loop: Header=BB14_47 Depth=1
	s_or_b32 exec_lo, exec_lo, s73
	s_and_saveexec_b32 s73, s5
	s_cbranch_execnz .LBB14_85
.LBB14_53:                              ;   in Loop: Header=BB14_47 Depth=1
	s_or_b32 exec_lo, exec_lo, s73
	s_and_saveexec_b32 s73, s6
	s_cbranch_execnz .LBB14_86
.LBB14_54:                              ;   in Loop: Header=BB14_47 Depth=1
	s_or_b32 exec_lo, exec_lo, s73
	s_and_saveexec_b32 s73, s7
	s_cbranch_execnz .LBB14_87
.LBB14_55:                              ;   in Loop: Header=BB14_47 Depth=1
	s_or_b32 exec_lo, exec_lo, s73
	s_and_saveexec_b32 s73, s8
	s_cbranch_execnz .LBB14_88
.LBB14_56:                              ;   in Loop: Header=BB14_47 Depth=1
	s_or_b32 exec_lo, exec_lo, s73
	s_and_saveexec_b32 s73, s9
	s_cbranch_execnz .LBB14_89
.LBB14_57:                              ;   in Loop: Header=BB14_47 Depth=1
	s_or_b32 exec_lo, exec_lo, s73
	s_and_saveexec_b32 s73, s10
	s_cbranch_execnz .LBB14_90
.LBB14_58:                              ;   in Loop: Header=BB14_47 Depth=1
	s_or_b32 exec_lo, exec_lo, s73
	s_and_saveexec_b32 s73, s11
	s_cbranch_execnz .LBB14_91
.LBB14_59:                              ;   in Loop: Header=BB14_47 Depth=1
	s_or_b32 exec_lo, exec_lo, s73
	s_and_saveexec_b32 s73, s12
	s_cbranch_execnz .LBB14_92
.LBB14_60:                              ;   in Loop: Header=BB14_47 Depth=1
	s_or_b32 exec_lo, exec_lo, s73
	s_and_saveexec_b32 s73, s13
	s_cbranch_execnz .LBB14_93
.LBB14_61:                              ;   in Loop: Header=BB14_47 Depth=1
	s_or_b32 exec_lo, exec_lo, s73
	s_and_saveexec_b32 s73, s14
	s_cbranch_execnz .LBB14_94
.LBB14_62:                              ;   in Loop: Header=BB14_47 Depth=1
	s_or_b32 exec_lo, exec_lo, s73
	s_and_saveexec_b32 s73, s15
	s_cbranch_execnz .LBB14_95
.LBB14_63:                              ;   in Loop: Header=BB14_47 Depth=1
	s_or_b32 exec_lo, exec_lo, s73
	s_and_saveexec_b32 s73, s16
	s_cbranch_execnz .LBB14_96
.LBB14_64:                              ;   in Loop: Header=BB14_47 Depth=1
	s_or_b32 exec_lo, exec_lo, s73
	s_and_saveexec_b32 s73, s17
	s_cbranch_execnz .LBB14_97
.LBB14_65:                              ;   in Loop: Header=BB14_47 Depth=1
	s_or_b32 exec_lo, exec_lo, s73
	s_and_saveexec_b32 s73, s18
	s_cbranch_execnz .LBB14_98
.LBB14_66:                              ;   in Loop: Header=BB14_47 Depth=1
	s_or_b32 exec_lo, exec_lo, s73
	s_and_saveexec_b32 s73, s19
	s_cbranch_execnz .LBB14_99
.LBB14_67:                              ;   in Loop: Header=BB14_47 Depth=1
	s_or_b32 exec_lo, exec_lo, s73
	s_and_saveexec_b32 s73, s20
	s_cbranch_execnz .LBB14_100
.LBB14_68:                              ;   in Loop: Header=BB14_47 Depth=1
	s_or_b32 exec_lo, exec_lo, s73
	s_and_saveexec_b32 s73, s21
	s_cbranch_execnz .LBB14_101
.LBB14_69:                              ;   in Loop: Header=BB14_47 Depth=1
	s_or_b32 exec_lo, exec_lo, s73
	s_and_saveexec_b32 s73, s22
	s_cbranch_execnz .LBB14_102
.LBB14_70:                              ;   in Loop: Header=BB14_47 Depth=1
	s_or_b32 exec_lo, exec_lo, s73
	s_and_saveexec_b32 s73, s23
	s_cbranch_execnz .LBB14_103
.LBB14_71:                              ;   in Loop: Header=BB14_47 Depth=1
	s_or_b32 exec_lo, exec_lo, s73
	s_and_saveexec_b32 s73, s24
	s_cbranch_execnz .LBB14_104
.LBB14_72:                              ;   in Loop: Header=BB14_47 Depth=1
	s_or_b32 exec_lo, exec_lo, s73
	s_and_saveexec_b32 s73, s25
	s_cbranch_execnz .LBB14_105
.LBB14_73:                              ;   in Loop: Header=BB14_47 Depth=1
	s_or_b32 exec_lo, exec_lo, s73
	s_and_saveexec_b32 s73, s26
	s_cbranch_execnz .LBB14_106
.LBB14_74:                              ;   in Loop: Header=BB14_47 Depth=1
	s_or_b32 exec_lo, exec_lo, s73
	s_and_saveexec_b32 s73, s27
	s_cbranch_execnz .LBB14_107
.LBB14_75:                              ;   in Loop: Header=BB14_47 Depth=1
	s_or_b32 exec_lo, exec_lo, s73
	s_and_saveexec_b32 s73, s28
	s_cbranch_execnz .LBB14_108
.LBB14_76:                              ;   in Loop: Header=BB14_47 Depth=1
	s_or_b32 exec_lo, exec_lo, s73
	s_and_saveexec_b32 s73, s29
	s_cbranch_execnz .LBB14_109
.LBB14_77:                              ;   in Loop: Header=BB14_47 Depth=1
	s_or_b32 exec_lo, exec_lo, s73
	s_and_saveexec_b32 s73, s30
	s_cbranch_execnz .LBB14_110
.LBB14_78:                              ;   in Loop: Header=BB14_47 Depth=1
	s_or_b32 exec_lo, exec_lo, s73
	s_and_saveexec_b32 s73, s31
	s_cbranch_execnz .LBB14_111
.LBB14_79:                              ;   in Loop: Header=BB14_47 Depth=1
	s_or_b32 exec_lo, exec_lo, s73
	s_and_saveexec_b32 s31, vcc_lo
	s_cbranch_execz .LBB14_46
	s_branch .LBB14_112
.LBB14_80:                              ;   in Loop: Header=BB14_47 Depth=1
	v_mov_b32_e32 v10, s37
	ds_load_b32 v10, v10
	s_waitcnt lgkmcnt(0)
	v_add_nc_u32_e32 v9, v10, v9
	s_or_b32 exec_lo, exec_lo, s73
	s_and_saveexec_b32 s73, s1
	s_cbranch_execz .LBB14_49
.LBB14_81:                              ;   in Loop: Header=BB14_47 Depth=1
	v_mov_b32_e32 v10, s38
	ds_load_b32 v10, v10
	s_waitcnt lgkmcnt(0)
	v_add_nc_u32_e32 v9, v10, v9
	s_or_b32 exec_lo, exec_lo, s73
	s_and_saveexec_b32 s73, s2
	s_cbranch_execz .LBB14_50
.LBB14_82:                              ;   in Loop: Header=BB14_47 Depth=1
	v_mov_b32_e32 v10, s39
	ds_load_b32 v10, v10
	s_waitcnt lgkmcnt(0)
	v_add_nc_u32_e32 v9, v10, v9
	s_or_b32 exec_lo, exec_lo, s73
	s_and_saveexec_b32 s73, s3
	s_cbranch_execz .LBB14_51
.LBB14_83:                              ;   in Loop: Header=BB14_47 Depth=1
	v_mov_b32_e32 v10, s40
	ds_load_b32 v10, v10
	s_waitcnt lgkmcnt(0)
	v_add_nc_u32_e32 v9, v10, v9
	s_or_b32 exec_lo, exec_lo, s73
	s_and_saveexec_b32 s73, s4
	s_cbranch_execz .LBB14_52
.LBB14_84:                              ;   in Loop: Header=BB14_47 Depth=1
	v_mov_b32_e32 v10, s41
	ds_load_b32 v10, v10
	s_waitcnt lgkmcnt(0)
	v_add_nc_u32_e32 v9, v10, v9
	s_or_b32 exec_lo, exec_lo, s73
	s_and_saveexec_b32 s73, s5
	s_cbranch_execz .LBB14_53
.LBB14_85:                              ;   in Loop: Header=BB14_47 Depth=1
	v_mov_b32_e32 v10, s44
	ds_load_b32 v10, v10
	s_waitcnt lgkmcnt(0)
	v_add_nc_u32_e32 v9, v10, v9
	s_or_b32 exec_lo, exec_lo, s73
	s_and_saveexec_b32 s73, s6
	s_cbranch_execz .LBB14_54
.LBB14_86:                              ;   in Loop: Header=BB14_47 Depth=1
	v_mov_b32_e32 v10, s45
	ds_load_b32 v10, v10
	s_waitcnt lgkmcnt(0)
	v_add_nc_u32_e32 v9, v10, v9
	s_or_b32 exec_lo, exec_lo, s73
	s_and_saveexec_b32 s73, s7
	s_cbranch_execz .LBB14_55
.LBB14_87:                              ;   in Loop: Header=BB14_47 Depth=1
	v_mov_b32_e32 v10, s47
	ds_load_b32 v10, v10
	s_waitcnt lgkmcnt(0)
	v_add_nc_u32_e32 v9, v10, v9
	s_or_b32 exec_lo, exec_lo, s73
	s_and_saveexec_b32 s73, s8
	s_cbranch_execz .LBB14_56
.LBB14_88:                              ;   in Loop: Header=BB14_47 Depth=1
	v_mov_b32_e32 v10, s49
	ds_load_b32 v10, v10
	s_waitcnt lgkmcnt(0)
	v_add_nc_u32_e32 v9, v10, v9
	s_or_b32 exec_lo, exec_lo, s73
	s_and_saveexec_b32 s73, s9
	s_cbranch_execz .LBB14_57
.LBB14_89:                              ;   in Loop: Header=BB14_47 Depth=1
	v_mov_b32_e32 v10, s50
	ds_load_b32 v10, v10
	s_waitcnt lgkmcnt(0)
	v_add_nc_u32_e32 v9, v10, v9
	s_or_b32 exec_lo, exec_lo, s73
	s_and_saveexec_b32 s73, s10
	s_cbranch_execz .LBB14_58
.LBB14_90:                              ;   in Loop: Header=BB14_47 Depth=1
	v_mov_b32_e32 v10, s51
	ds_load_b32 v10, v10
	s_waitcnt lgkmcnt(0)
	v_add_nc_u32_e32 v9, v10, v9
	s_or_b32 exec_lo, exec_lo, s73
	s_and_saveexec_b32 s73, s11
	s_cbranch_execz .LBB14_59
.LBB14_91:                              ;   in Loop: Header=BB14_47 Depth=1
	v_mov_b32_e32 v10, s52
	ds_load_b32 v10, v10
	s_waitcnt lgkmcnt(0)
	v_add_nc_u32_e32 v9, v10, v9
	s_or_b32 exec_lo, exec_lo, s73
	s_and_saveexec_b32 s73, s12
	s_cbranch_execz .LBB14_60
.LBB14_92:                              ;   in Loop: Header=BB14_47 Depth=1
	v_mov_b32_e32 v10, s53
	ds_load_b32 v10, v10
	s_waitcnt lgkmcnt(0)
	v_add_nc_u32_e32 v9, v10, v9
	s_or_b32 exec_lo, exec_lo, s73
	s_and_saveexec_b32 s73, s13
	s_cbranch_execz .LBB14_61
.LBB14_93:                              ;   in Loop: Header=BB14_47 Depth=1
	v_mov_b32_e32 v10, s54
	ds_load_b32 v10, v10
	s_waitcnt lgkmcnt(0)
	v_add_nc_u32_e32 v9, v10, v9
	s_or_b32 exec_lo, exec_lo, s73
	s_and_saveexec_b32 s73, s14
	s_cbranch_execz .LBB14_62
.LBB14_94:                              ;   in Loop: Header=BB14_47 Depth=1
	v_mov_b32_e32 v10, s55
	ds_load_b32 v10, v10
	s_waitcnt lgkmcnt(0)
	v_add_nc_u32_e32 v9, v10, v9
	s_or_b32 exec_lo, exec_lo, s73
	s_and_saveexec_b32 s73, s15
	s_cbranch_execz .LBB14_63
.LBB14_95:                              ;   in Loop: Header=BB14_47 Depth=1
	v_mov_b32_e32 v10, s56
	ds_load_b32 v10, v10
	s_waitcnt lgkmcnt(0)
	v_add_nc_u32_e32 v9, v10, v9
	s_or_b32 exec_lo, exec_lo, s73
	s_and_saveexec_b32 s73, s16
	s_cbranch_execz .LBB14_64
.LBB14_96:                              ;   in Loop: Header=BB14_47 Depth=1
	v_mov_b32_e32 v10, s57
	ds_load_b32 v10, v10
	s_waitcnt lgkmcnt(0)
	v_add_nc_u32_e32 v9, v10, v9
	s_or_b32 exec_lo, exec_lo, s73
	s_and_saveexec_b32 s73, s17
	s_cbranch_execz .LBB14_65
.LBB14_97:                              ;   in Loop: Header=BB14_47 Depth=1
	v_mov_b32_e32 v10, s58
	ds_load_b32 v10, v10
	s_waitcnt lgkmcnt(0)
	v_add_nc_u32_e32 v9, v10, v9
	s_or_b32 exec_lo, exec_lo, s73
	s_and_saveexec_b32 s73, s18
	s_cbranch_execz .LBB14_66
.LBB14_98:                              ;   in Loop: Header=BB14_47 Depth=1
	v_mov_b32_e32 v10, s59
	ds_load_b32 v10, v10
	s_waitcnt lgkmcnt(0)
	v_add_nc_u32_e32 v9, v10, v9
	s_or_b32 exec_lo, exec_lo, s73
	s_and_saveexec_b32 s73, s19
	s_cbranch_execz .LBB14_67
.LBB14_99:                              ;   in Loop: Header=BB14_47 Depth=1
	v_mov_b32_e32 v10, s60
	ds_load_b32 v10, v10
	s_waitcnt lgkmcnt(0)
	v_add_nc_u32_e32 v9, v10, v9
	s_or_b32 exec_lo, exec_lo, s73
	s_and_saveexec_b32 s73, s20
	s_cbranch_execz .LBB14_68
.LBB14_100:                             ;   in Loop: Header=BB14_47 Depth=1
	v_mov_b32_e32 v10, s61
	ds_load_b32 v10, v10
	s_waitcnt lgkmcnt(0)
	v_add_nc_u32_e32 v9, v10, v9
	s_or_b32 exec_lo, exec_lo, s73
	s_and_saveexec_b32 s73, s21
	s_cbranch_execz .LBB14_69
.LBB14_101:                             ;   in Loop: Header=BB14_47 Depth=1
	v_mov_b32_e32 v10, s62
	ds_load_b32 v10, v10
	s_waitcnt lgkmcnt(0)
	v_add_nc_u32_e32 v9, v10, v9
	s_or_b32 exec_lo, exec_lo, s73
	s_and_saveexec_b32 s73, s22
	s_cbranch_execz .LBB14_70
.LBB14_102:                             ;   in Loop: Header=BB14_47 Depth=1
	v_mov_b32_e32 v10, s63
	ds_load_b32 v10, v10
	s_waitcnt lgkmcnt(0)
	v_add_nc_u32_e32 v9, v10, v9
	s_or_b32 exec_lo, exec_lo, s73
	s_and_saveexec_b32 s73, s23
	s_cbranch_execz .LBB14_71
.LBB14_103:                             ;   in Loop: Header=BB14_47 Depth=1
	v_mov_b32_e32 v10, s64
	ds_load_b32 v10, v10
	s_waitcnt lgkmcnt(0)
	v_add_nc_u32_e32 v9, v10, v9
	s_or_b32 exec_lo, exec_lo, s73
	s_and_saveexec_b32 s73, s24
	s_cbranch_execz .LBB14_72
.LBB14_104:                             ;   in Loop: Header=BB14_47 Depth=1
	v_mov_b32_e32 v10, s65
	ds_load_b32 v10, v10
	s_waitcnt lgkmcnt(0)
	v_add_nc_u32_e32 v9, v10, v9
	s_or_b32 exec_lo, exec_lo, s73
	s_and_saveexec_b32 s73, s25
	s_cbranch_execz .LBB14_73
.LBB14_105:                             ;   in Loop: Header=BB14_47 Depth=1
	v_mov_b32_e32 v10, s66
	ds_load_b32 v10, v10
	s_waitcnt lgkmcnt(0)
	v_add_nc_u32_e32 v9, v10, v9
	s_or_b32 exec_lo, exec_lo, s73
	s_and_saveexec_b32 s73, s26
	s_cbranch_execz .LBB14_74
.LBB14_106:                             ;   in Loop: Header=BB14_47 Depth=1
	v_mov_b32_e32 v10, s67
	ds_load_b32 v10, v10
	s_waitcnt lgkmcnt(0)
	v_add_nc_u32_e32 v9, v10, v9
	s_or_b32 exec_lo, exec_lo, s73
	s_and_saveexec_b32 s73, s27
	s_cbranch_execz .LBB14_75
.LBB14_107:                             ;   in Loop: Header=BB14_47 Depth=1
	v_mov_b32_e32 v10, s69
	ds_load_b32 v10, v10
	s_waitcnt lgkmcnt(0)
	v_add_nc_u32_e32 v9, v10, v9
	s_or_b32 exec_lo, exec_lo, s73
	s_and_saveexec_b32 s73, s28
	s_cbranch_execz .LBB14_76
.LBB14_108:                             ;   in Loop: Header=BB14_47 Depth=1
	v_mov_b32_e32 v10, s70
	ds_load_b32 v10, v10
	s_waitcnt lgkmcnt(0)
	v_add_nc_u32_e32 v9, v10, v9
	s_or_b32 exec_lo, exec_lo, s73
	s_and_saveexec_b32 s73, s29
	s_cbranch_execz .LBB14_77
.LBB14_109:                             ;   in Loop: Header=BB14_47 Depth=1
	v_mov_b32_e32 v10, s71
	ds_load_b32 v10, v10
	s_waitcnt lgkmcnt(0)
	v_add_nc_u32_e32 v9, v10, v9
	s_or_b32 exec_lo, exec_lo, s73
	s_and_saveexec_b32 s73, s30
	s_cbranch_execz .LBB14_78
.LBB14_110:                             ;   in Loop: Header=BB14_47 Depth=1
	v_mov_b32_e32 v10, s72
	ds_load_b32 v10, v10
	s_waitcnt lgkmcnt(0)
	v_add_nc_u32_e32 v9, v10, v9
	s_or_b32 exec_lo, exec_lo, s73
	s_and_saveexec_b32 s73, s31
	s_cbranch_execz .LBB14_79
.LBB14_111:                             ;   in Loop: Header=BB14_47 Depth=1
	s_delay_alu instid0(VALU_DEP_1) | instskip(NEXT) | instid1(VALU_DEP_1)
	v_add3_u32 v10, v3, -1, v9
	v_lshl_add_u32 v10, v10, 2, 0
	s_delay_alu instid0(VALU_DEP_1)
	v_add_nc_u32_e32 v11, 0x10000, v10
	ds_store_b32 v10, v7
	ds_store_b32 v11, v8
	s_or_b32 exec_lo, exec_lo, s73
	s_and_saveexec_b32 s31, vcc_lo
	s_cbranch_execz .LBB14_46
.LBB14_112:                             ;   in Loop: Header=BB14_47 Depth=1
	v_mov_b32_e32 v7, s68
	ds_store_b32 v7, v9
	s_branch .LBB14_46
.LBB14_113:
	s_or_b32 exec_lo, exec_lo, s36
	s_ashr_i32 s49, s48, 31
	s_mov_b32 s3, exec_lo
	s_lshl_b64 s[0:1], s[48:49], 2
	s_delay_alu instid0(SALU_CYCLE_1) | instskip(SKIP_4) | instid1(SALU_CYCLE_1)
	s_add_u32 s0, s42, s0
	s_addc_u32 s1, s43, s1
	s_load_b64 s[0:1], s[0:1], 0x0
	s_waitcnt lgkmcnt(0)
	s_sub_i32 s2, s1, s0
	v_cmpx_gt_i32_e64 s2, v0
	s_cbranch_execz .LBB14_123
; %bb.114:
	s_sub_i32 s3, s0, s46
	s_sub_i32 s0, s0, s1
	s_and_b32 s1, s2, 7
	s_cmp_lt_u32 s0, -7
	s_mov_b32 s7, 0
	s_cselect_b32 s4, -1, 0
	s_and_b32 s5, s2, -8
	s_cmp_lg_u32 s1, 0
	s_cselect_b32 s6, -1, 0
	s_branch .LBB14_116
.LBB14_115:                             ;   in Loop: Header=BB14_116 Depth=1
	s_waitcnt lgkmcnt(1)
	s_delay_alu instid0(VALU_DEP_1) | instskip(SKIP_1) | instid1(VALU_DEP_2)
	v_ashrrev_i32_e32 v2, 31, v1
	v_add_nc_u32_e32 v0, 0x400, v0
	v_lshlrev_b64 v[1:2], 2, v[1:2]
	s_delay_alu instid0(VALU_DEP_2) | instskip(SKIP_1) | instid1(VALU_DEP_2)
	v_cmp_le_i32_e32 vcc_lo, s2, v0
	s_or_b32 s7, vcc_lo, s7
	v_add_co_u32 v1, s0, s34, v1
	s_delay_alu instid0(VALU_DEP_1)
	v_add_co_ci_u32_e64 v2, s0, s35, v2, s0
	s_waitcnt lgkmcnt(0)
	global_store_b32 v[1:2], v3, off
	s_and_not1_b32 exec_lo, exec_lo, s7
	s_cbranch_execz .LBB14_123
.LBB14_116:                             ; =>This Loop Header: Depth=1
                                        ;     Child Loop BB14_118 Depth 2
                                        ;     Child Loop BB14_122 Depth 2
	v_lshl_add_u32 v1, v0, 2, 0
	s_and_not1_b32 vcc_lo, exec_lo, s4
	s_mov_b32 s0, 0
	s_delay_alu instid0(VALU_DEP_1)
	v_add_nc_u32_e32 v3, 0x10000, v1
	ds_load_b32 v2, v1
	ds_load_b32 v3, v3
	v_mov_b32_e32 v1, s3
	s_cbranch_vccnz .LBB14_120
; %bb.117:                              ;   in Loop: Header=BB14_116 Depth=1
	v_mov_b32_e32 v1, s3
	s_mov_b32 s8, 0
	s_set_inst_prefetch_distance 0x1
	.p2align	6
.LBB14_118:                             ;   Parent Loop BB14_116 Depth=1
                                        ; =>  This Inner Loop Header: Depth=2
	v_mov_b32_e32 v10, s8
	s_add_i32 s0, s0, 8
	s_add_i32 s8, s8, 32
	s_cmp_eq_u32 s5, s0
	ds_load_2addr_b32 v[4:5], v10 offset1:1
	ds_load_2addr_b32 v[6:7], v10 offset0:2 offset1:3
	ds_load_2addr_b32 v[8:9], v10 offset0:4 offset1:5
	;; [unrolled: 1-line block ×3, first 2 shown]
	s_waitcnt lgkmcnt(3)
	v_cmp_gt_i32_e32 vcc_lo, v2, v4
	v_cndmask_b32_e64 v4, 0, 1, vcc_lo
	s_waitcnt lgkmcnt(2)
	v_cmp_gt_i32_e32 vcc_lo, v2, v6
	v_cndmask_b32_e64 v6, 0, 1, vcc_lo
	v_cmp_gt_i32_e32 vcc_lo, v2, v5
	v_add_co_ci_u32_e32 v1, vcc_lo, v1, v4, vcc_lo
	s_waitcnt lgkmcnt(1)
	v_cmp_gt_i32_e32 vcc_lo, v2, v8
	v_cndmask_b32_e64 v4, 0, 1, vcc_lo
	v_cmp_gt_i32_e32 vcc_lo, v2, v7
	v_add_co_ci_u32_e32 v1, vcc_lo, v1, v6, vcc_lo
	;; [unrolled: 5-line block ×3, first 2 shown]
	v_cmp_gt_i32_e32 vcc_lo, v2, v11
	s_delay_alu instid0(VALU_DEP_2)
	v_add_co_ci_u32_e32 v1, vcc_lo, v1, v5, vcc_lo
	s_cbranch_scc0 .LBB14_118
; %bb.119:                              ;   in Loop: Header=BB14_116 Depth=1
	s_set_inst_prefetch_distance 0x2
	s_mov_b32 s0, s5
.LBB14_120:                             ;   in Loop: Header=BB14_116 Depth=1
	s_and_not1_b32 vcc_lo, exec_lo, s6
	s_cbranch_vccnz .LBB14_115
; %bb.121:                              ;   in Loop: Header=BB14_116 Depth=1
	s_lshl_b32 s0, s0, 2
	s_mov_b32 s8, s1
	s_add_i32 s0, s0, 0
.LBB14_122:                             ;   Parent Loop BB14_116 Depth=1
                                        ; =>  This Inner Loop Header: Depth=2
	s_delay_alu instid0(SALU_CYCLE_1)
	v_mov_b32_e32 v4, s0
	s_add_i32 s8, s8, -1
	s_add_i32 s0, s0, 4
	s_cmp_lg_u32 s8, 0
	ds_load_b32 v4, v4
	s_waitcnt lgkmcnt(0)
	v_cmp_gt_i32_e32 vcc_lo, v2, v4
	v_add_co_ci_u32_e32 v1, vcc_lo, 0, v1, vcc_lo
	s_cbranch_scc1 .LBB14_122
	s_branch .LBB14_115
.LBB14_123:
	s_nop 0
	s_sendmsg sendmsg(MSG_DEALLOC_VGPRS)
	s_endpgm
	.section	.rodata,"a",@progbits
	.p2align	6, 0x0
	.amdhsa_kernel _ZN9rocsparseL41csrgemm_numeric_fill_block_per_row_kernelILj1024ELj64ELj16384ELj137ELj32EiifEEvT5_PKS1_S3_NS_24const_host_device_scalarIT6_EEPKT4_S3_PKS5_S9_S3_SB_S6_S9_S3_SB_S9_S3_PS5_21rocsparse_index_base_SD_SD_SD_bbb
		.amdhsa_group_segment_fixed_size 0
		.amdhsa_private_segment_fixed_size 0
		.amdhsa_kernarg_size 156
		.amdhsa_user_sgpr_count 15
		.amdhsa_user_sgpr_dispatch_ptr 0
		.amdhsa_user_sgpr_queue_ptr 0
		.amdhsa_user_sgpr_kernarg_segment_ptr 1
		.amdhsa_user_sgpr_dispatch_id 0
		.amdhsa_user_sgpr_private_segment_size 0
		.amdhsa_wavefront_size32 1
		.amdhsa_uses_dynamic_stack 0
		.amdhsa_enable_private_segment 0
		.amdhsa_system_sgpr_workgroup_id_x 1
		.amdhsa_system_sgpr_workgroup_id_y 0
		.amdhsa_system_sgpr_workgroup_id_z 0
		.amdhsa_system_sgpr_workgroup_info 0
		.amdhsa_system_vgpr_workitem_id 0
		.amdhsa_next_free_vgpr 15
		.amdhsa_next_free_sgpr 74
		.amdhsa_reserve_vcc 1
		.amdhsa_float_round_mode_32 0
		.amdhsa_float_round_mode_16_64 0
		.amdhsa_float_denorm_mode_32 3
		.amdhsa_float_denorm_mode_16_64 3
		.amdhsa_dx10_clamp 1
		.amdhsa_ieee_mode 1
		.amdhsa_fp16_overflow 0
		.amdhsa_workgroup_processor_mode 1
		.amdhsa_memory_ordered 1
		.amdhsa_forward_progress 0
		.amdhsa_shared_vgpr_count 0
		.amdhsa_exception_fp_ieee_invalid_op 0
		.amdhsa_exception_fp_denorm_src 0
		.amdhsa_exception_fp_ieee_div_zero 0
		.amdhsa_exception_fp_ieee_overflow 0
		.amdhsa_exception_fp_ieee_underflow 0
		.amdhsa_exception_fp_ieee_inexact 0
		.amdhsa_exception_int_div_zero 0
	.end_amdhsa_kernel
	.section	.text._ZN9rocsparseL41csrgemm_numeric_fill_block_per_row_kernelILj1024ELj64ELj16384ELj137ELj32EiifEEvT5_PKS1_S3_NS_24const_host_device_scalarIT6_EEPKT4_S3_PKS5_S9_S3_SB_S6_S9_S3_SB_S9_S3_PS5_21rocsparse_index_base_SD_SD_SD_bbb,"axG",@progbits,_ZN9rocsparseL41csrgemm_numeric_fill_block_per_row_kernelILj1024ELj64ELj16384ELj137ELj32EiifEEvT5_PKS1_S3_NS_24const_host_device_scalarIT6_EEPKT4_S3_PKS5_S9_S3_SB_S6_S9_S3_SB_S9_S3_PS5_21rocsparse_index_base_SD_SD_SD_bbb,comdat
.Lfunc_end14:
	.size	_ZN9rocsparseL41csrgemm_numeric_fill_block_per_row_kernelILj1024ELj64ELj16384ELj137ELj32EiifEEvT5_PKS1_S3_NS_24const_host_device_scalarIT6_EEPKT4_S3_PKS5_S9_S3_SB_S6_S9_S3_SB_S9_S3_PS5_21rocsparse_index_base_SD_SD_SD_bbb, .Lfunc_end14-_ZN9rocsparseL41csrgemm_numeric_fill_block_per_row_kernelILj1024ELj64ELj16384ELj137ELj32EiifEEvT5_PKS1_S3_NS_24const_host_device_scalarIT6_EEPKT4_S3_PKS5_S9_S3_SB_S6_S9_S3_SB_S9_S3_PS5_21rocsparse_index_base_SD_SD_SD_bbb
                                        ; -- End function
	.section	.AMDGPU.csdata,"",@progbits
; Kernel info:
; codeLenInByte = 4404
; NumSgprs: 76
; NumVgprs: 15
; ScratchSize: 0
; MemoryBound: 0
; FloatMode: 240
; IeeeMode: 1
; LDSByteSize: 0 bytes/workgroup (compile time only)
; SGPRBlocks: 9
; VGPRBlocks: 1
; NumSGPRsForWavesPerEU: 76
; NumVGPRsForWavesPerEU: 15
; Occupancy: 16
; WaveLimiterHint : 1
; COMPUTE_PGM_RSRC2:SCRATCH_EN: 0
; COMPUTE_PGM_RSRC2:USER_SGPR: 15
; COMPUTE_PGM_RSRC2:TRAP_HANDLER: 0
; COMPUTE_PGM_RSRC2:TGID_X_EN: 1
; COMPUTE_PGM_RSRC2:TGID_Y_EN: 0
; COMPUTE_PGM_RSRC2:TGID_Z_EN: 0
; COMPUTE_PGM_RSRC2:TIDIG_COMP_CNT: 0
	.section	.text._ZN9rocsparseL41csrgemm_numeric_fill_block_per_row_kernelILj1024ELj64ELj16384ELj137ELj64EiifEEvT5_PKS1_S3_NS_24const_host_device_scalarIT6_EEPKT4_S3_PKS5_S9_S3_SB_S6_S9_S3_SB_S9_S3_PS5_21rocsparse_index_base_SD_SD_SD_bbb,"axG",@progbits,_ZN9rocsparseL41csrgemm_numeric_fill_block_per_row_kernelILj1024ELj64ELj16384ELj137ELj64EiifEEvT5_PKS1_S3_NS_24const_host_device_scalarIT6_EEPKT4_S3_PKS5_S9_S3_SB_S6_S9_S3_SB_S9_S3_PS5_21rocsparse_index_base_SD_SD_SD_bbb,comdat
	.globl	_ZN9rocsparseL41csrgemm_numeric_fill_block_per_row_kernelILj1024ELj64ELj16384ELj137ELj64EiifEEvT5_PKS1_S3_NS_24const_host_device_scalarIT6_EEPKT4_S3_PKS5_S9_S3_SB_S6_S9_S3_SB_S9_S3_PS5_21rocsparse_index_base_SD_SD_SD_bbb ; -- Begin function _ZN9rocsparseL41csrgemm_numeric_fill_block_per_row_kernelILj1024ELj64ELj16384ELj137ELj64EiifEEvT5_PKS1_S3_NS_24const_host_device_scalarIT6_EEPKT4_S3_PKS5_S9_S3_SB_S6_S9_S3_SB_S9_S3_PS5_21rocsparse_index_base_SD_SD_SD_bbb
	.p2align	8
	.type	_ZN9rocsparseL41csrgemm_numeric_fill_block_per_row_kernelILj1024ELj64ELj16384ELj137ELj64EiifEEvT5_PKS1_S3_NS_24const_host_device_scalarIT6_EEPKT4_S3_PKS5_S9_S3_SB_S6_S9_S3_SB_S9_S3_PS5_21rocsparse_index_base_SD_SD_SD_bbb,@function
_ZN9rocsparseL41csrgemm_numeric_fill_block_per_row_kernelILj1024ELj64ELj16384ELj137ELj64EiifEEvT5_PKS1_S3_NS_24const_host_device_scalarIT6_EEPKT4_S3_PKS5_S9_S3_SB_S6_S9_S3_SB_S9_S3_PS5_21rocsparse_index_base_SD_SD_SD_bbb: ; @_ZN9rocsparseL41csrgemm_numeric_fill_block_per_row_kernelILj1024ELj64ELj16384ELj137ELj64EiifEEvT5_PKS1_S3_NS_24const_host_device_scalarIT6_EEPKT4_S3_PKS5_S9_S3_SB_S6_S9_S3_SB_S9_S3_PS5_21rocsparse_index_base_SD_SD_SD_bbb
; %bb.0:
	s_clause 0x3
	s_load_b32 s12, s[0:1], 0x98
	s_load_b128 s[24:27], s[0:1], 0x88
	s_load_b64 s[4:5], s[0:1], 0x18
	s_load_b64 s[2:3], s[0:1], 0x50
	s_waitcnt lgkmcnt(0)
	s_bitcmp1_b32 s12, 0
	s_cselect_b32 s13, -1, 0
	s_bitcmp1_b32 s12, 16
	s_cselect_b32 s14, -1, 0
	s_xor_b32 s6, s13, -1
	s_delay_alu instid0(SALU_CYCLE_1) | instskip(NEXT) | instid1(SALU_CYCLE_1)
	s_or_b32 s6, s6, s14
	s_and_b32 vcc_lo, exec_lo, s6
	s_cbranch_vccnz .LBB15_2
; %bb.1:
	s_load_b32 s4, s[4:5], 0x0
	s_waitcnt lgkmcnt(0)
	v_mov_b32_e32 v9, s4
	s_branch .LBB15_3
.LBB15_2:
	v_cndmask_b32_e64 v9, 0, s4, s13
.LBB15_3:
	s_clause 0x4
	s_load_b64 s[34:35], s[0:1], 0x80
	s_load_b256 s[16:23], s[0:1], 0x58
	s_load_b128 s[28:31], s[0:1], 0x40
	s_load_b128 s[36:39], s[0:1], 0x8
	s_load_b256 s[4:11], s[0:1], 0x20
	s_bitcmp1_b32 s12, 8
	s_cselect_b32 s12, -1, 0
	s_delay_alu instid0(SALU_CYCLE_1) | instskip(NEXT) | instid1(SALU_CYCLE_1)
	s_xor_b32 s33, s12, -1
	s_or_b32 s14, s33, s14
	s_delay_alu instid0(SALU_CYCLE_1)
	s_and_b32 vcc_lo, exec_lo, s14
	s_cbranch_vccnz .LBB15_5
; %bb.4:
	s_load_b32 s2, s[2:3], 0x0
	s_waitcnt lgkmcnt(0)
	v_mov_b32_e32 v7, s2
	s_branch .LBB15_6
.LBB15_5:
	v_cndmask_b32_e64 v7, 0, s2, s12
.LBB15_6:
	s_load_b32 s33, s[0:1], 0x0
	v_lshl_add_u32 v5, v0, 2, 0
	v_or_b32_e32 v6, 0xfffffc00, v0
	v_mov_b32_e32 v1, 0
	s_mov_b32 s0, 0
	s_delay_alu instid0(VALU_DEP_3)
	v_mov_b32_e32 v2, v5
	s_waitcnt lgkmcnt(0)
	v_dual_mov_b32 v4, v6 :: v_dual_mov_b32 v3, s33
.LBB15_7:                               ; =>This Inner Loop Header: Depth=1
	s_delay_alu instid0(VALU_DEP_1) | instskip(NEXT) | instid1(VALU_DEP_3)
	v_add_nc_u32_e32 v4, 0x400, v4
	v_add_nc_u32_e32 v8, 0x10000, v2
	ds_store_b32 v2, v3
	v_add_nc_u32_e32 v2, 0x1000, v2
	v_cmp_lt_u32_e32 vcc_lo, 0x3bff, v4
	ds_store_b32 v8, v1
	s_or_b32 s0, vcc_lo, s0
	s_delay_alu instid0(SALU_CYCLE_1)
	s_and_not1_b32 exec_lo, exec_lo, s0
	s_cbranch_execnz .LBB15_7
; %bb.8:
	s_or_b32 exec_lo, exec_lo, s0
	s_waitcnt lgkmcnt(0)
	s_barrier
	buffer_gl0_inv
	s_load_b32 s0, s[36:37], 0x0
	s_mov_b32 s1, 0
	v_lshrrev_b32_e32 v8, 6, v0
	s_waitcnt lgkmcnt(0)
	s_add_i32 s0, s0, s15
	s_delay_alu instid0(SALU_CYCLE_1) | instskip(NEXT) | instid1(SALU_CYCLE_1)
	s_lshl_b64 s[0:1], s[0:1], 2
	s_add_u32 s0, s38, s0
	s_addc_u32 s1, s39, s1
	s_and_b32 vcc_lo, exec_lo, s13
	s_load_b32 s36, s[0:1], 0x0
	s_cbranch_vccz .LBB15_28
; %bb.9:
	s_waitcnt lgkmcnt(0)
	s_ashr_i32 s37, s36, 31
	v_subrev_nc_u32_e32 v1, s24, v8
	s_lshl_b64 s[0:1], s[36:37], 2
	s_delay_alu instid0(SALU_CYCLE_1)
	s_add_u32 s0, s4, s0
	s_addc_u32 s1, s5, s1
	s_load_b64 s[0:1], s[0:1], 0x0
	s_waitcnt lgkmcnt(0)
	v_add_nc_u32_e32 v1, s0, v1
	s_sub_i32 s0, s1, s24
	s_mov_b32 s1, exec_lo
	s_delay_alu instid0(VALU_DEP_1)
	v_cmpx_gt_i32_e64 s0, v1
	s_cbranch_execz .LBB15_27
; %bb.10:
	v_and_b32_e32 v2, 63, v0
	s_mov_b32 s2, 0
	s_delay_alu instid0(VALU_DEP_1)
	v_subrev_nc_u32_e32 v10, s25, v2
	s_branch .LBB15_12
.LBB15_11:                              ;   in Loop: Header=BB15_12 Depth=1
	s_or_b32 exec_lo, exec_lo, s3
	v_add_nc_u32_e32 v1, 16, v1
	s_delay_alu instid0(VALU_DEP_1) | instskip(SKIP_1) | instid1(SALU_CYCLE_1)
	v_cmp_le_i32_e32 vcc_lo, s0, v1
	s_or_b32 s2, vcc_lo, s2
	s_and_not1_b32 exec_lo, exec_lo, s2
	s_cbranch_execz .LBB15_27
.LBB15_12:                              ; =>This Loop Header: Depth=1
                                        ;     Child Loop BB15_15 Depth 2
                                        ;       Child Loop BB15_17 Depth 3
	v_ashrrev_i32_e32 v2, 31, v1
	s_mov_b32 s3, exec_lo
	s_delay_alu instid0(VALU_DEP_1) | instskip(NEXT) | instid1(VALU_DEP_1)
	v_lshlrev_b64 v[3:4], 2, v[1:2]
	v_add_co_u32 v11, vcc_lo, s6, v3
	s_delay_alu instid0(VALU_DEP_2) | instskip(SKIP_3) | instid1(VALU_DEP_1)
	v_add_co_ci_u32_e32 v12, vcc_lo, s7, v4, vcc_lo
	global_load_b32 v2, v[11:12], off
	s_waitcnt vmcnt(0)
	v_subrev_nc_u32_e32 v11, s24, v2
	v_ashrrev_i32_e32 v12, 31, v11
	s_delay_alu instid0(VALU_DEP_1) | instskip(NEXT) | instid1(VALU_DEP_1)
	v_lshlrev_b64 v[11:12], 2, v[11:12]
	v_add_co_u32 v11, vcc_lo, s10, v11
	s_delay_alu instid0(VALU_DEP_2) | instskip(SKIP_4) | instid1(VALU_DEP_1)
	v_add_co_ci_u32_e32 v12, vcc_lo, s11, v12, vcc_lo
	global_load_b64 v[12:13], v[11:12], off
	s_waitcnt vmcnt(0)
	v_subrev_nc_u32_e32 v11, s25, v13
	v_add_nc_u32_e32 v2, v12, v10
	v_cmpx_lt_i32_e64 v2, v11
	s_cbranch_execz .LBB15_11
; %bb.13:                               ;   in Loop: Header=BB15_12 Depth=1
	v_add_co_u32 v3, vcc_lo, s8, v3
	v_add_co_ci_u32_e32 v4, vcc_lo, s9, v4, vcc_lo
	s_mov_b32 s4, 0
	global_load_b32 v3, v[3:4], off
	s_waitcnt vmcnt(0)
	v_mul_f32_e32 v4, v9, v3
	s_branch .LBB15_15
.LBB15_14:                              ;   in Loop: Header=BB15_15 Depth=2
	s_or_b32 exec_lo, exec_lo, s5
	v_add_nc_u32_e32 v2, 64, v2
	s_delay_alu instid0(VALU_DEP_1) | instskip(SKIP_1) | instid1(SALU_CYCLE_1)
	v_cmp_ge_i32_e32 vcc_lo, v2, v11
	s_or_b32 s4, vcc_lo, s4
	s_and_not1_b32 exec_lo, exec_lo, s4
	s_cbranch_execz .LBB15_11
.LBB15_15:                              ;   Parent Loop BB15_12 Depth=1
                                        ; =>  This Loop Header: Depth=2
                                        ;       Child Loop BB15_17 Depth 3
	v_ashrrev_i32_e32 v3, 31, v2
	s_mov_b32 s5, 0
	s_delay_alu instid0(VALU_DEP_1) | instskip(NEXT) | instid1(VALU_DEP_1)
	v_lshlrev_b64 v[12:13], 2, v[2:3]
	v_add_co_u32 v14, vcc_lo, s28, v12
	s_delay_alu instid0(VALU_DEP_2)
	v_add_co_ci_u32_e32 v15, vcc_lo, s29, v13, vcc_lo
	v_add_co_u32 v12, vcc_lo, s30, v12
	v_add_co_ci_u32_e32 v13, vcc_lo, s31, v13, vcc_lo
	global_load_b32 v3, v[14:15], off
	global_load_b32 v12, v[12:13], off
	s_waitcnt vmcnt(1)
	v_subrev_nc_u32_e32 v3, s25, v3
	s_delay_alu instid0(VALU_DEP_1) | instskip(SKIP_1) | instid1(VALU_DEP_1)
	v_mul_lo_u32 v13, 0x89, v3
	s_waitcnt vmcnt(0)
	v_dual_mul_f32 v12, v4, v12 :: v_dual_and_b32 v13, 0x3fff, v13
	s_branch .LBB15_17
.LBB15_16:                              ;   in Loop: Header=BB15_17 Depth=3
	s_or_b32 exec_lo, exec_lo, s13
	s_xor_b32 s13, s14, -1
	s_delay_alu instid0(SALU_CYCLE_1) | instskip(NEXT) | instid1(SALU_CYCLE_1)
	s_and_b32 s13, exec_lo, s13
	s_or_b32 s5, s13, s5
	s_delay_alu instid0(SALU_CYCLE_1)
	s_and_not1_b32 exec_lo, exec_lo, s5
	s_cbranch_execz .LBB15_14
.LBB15_17:                              ;   Parent Loop BB15_12 Depth=1
                                        ;     Parent Loop BB15_15 Depth=2
                                        ; =>    This Inner Loop Header: Depth=3
	s_delay_alu instid0(VALU_DEP_1)
	v_lshl_add_u32 v14, v13, 2, 0
	s_mov_b32 s13, exec_lo
                                        ; implicit-def: $sgpr14
	ds_load_b32 v15, v14
	s_waitcnt lgkmcnt(0)
	v_cmpx_ne_u32_e64 v15, v3
	s_xor_b32 s13, exec_lo, s13
	s_cbranch_execz .LBB15_25
; %bb.18:                               ;   in Loop: Header=BB15_17 Depth=3
	s_mov_b32 s15, exec_lo
                                        ; implicit-def: $sgpr14
	v_cmpx_ne_u32_e64 s33, v15
	s_xor_b32 s15, exec_lo, s15
; %bb.19:                               ;   in Loop: Header=BB15_17 Depth=3
	v_add_nc_u32_e32 v13, 1, v13
	s_mov_b32 s14, -1
                                        ; implicit-def: $vgpr14
	s_delay_alu instid0(VALU_DEP_1)
	v_and_b32_e32 v13, 0x3fff, v13
; %bb.20:                               ;   in Loop: Header=BB15_17 Depth=3
	s_and_not1_saveexec_b32 s15, s15
	s_cbranch_execz .LBB15_24
; %bb.21:                               ;   in Loop: Header=BB15_17 Depth=3
	v_mov_b32_e32 v15, s33
	s_mov_b32 s37, -1
	s_mov_b32 s38, exec_lo
	ds_cmpstore_rtn_b32 v14, v14, v3, v15
	s_waitcnt lgkmcnt(0)
	v_cmpx_eq_u32_e64 s33, v14
	s_cbranch_execz .LBB15_23
; %bb.22:                               ;   in Loop: Header=BB15_17 Depth=3
	v_lshlrev_b32_e32 v14, 2, v13
	s_xor_b32 s37, exec_lo, -1
	s_delay_alu instid0(VALU_DEP_1)
	v_add3_u32 v14, 0, v14, 0x10000
	ds_add_f32 v14, v12
.LBB15_23:                              ;   in Loop: Header=BB15_17 Depth=3
	s_or_b32 exec_lo, exec_lo, s38
	s_delay_alu instid0(SALU_CYCLE_1) | instskip(SKIP_1) | instid1(SALU_CYCLE_1)
	s_and_not1_b32 s14, s14, exec_lo
	s_and_b32 s37, s37, exec_lo
	s_or_b32 s14, s14, s37
.LBB15_24:                              ;   in Loop: Header=BB15_17 Depth=3
	s_or_b32 exec_lo, exec_lo, s15
	s_delay_alu instid0(SALU_CYCLE_1)
	s_and_b32 s14, s14, exec_lo
.LBB15_25:                              ;   in Loop: Header=BB15_17 Depth=3
	s_and_not1_saveexec_b32 s13, s13
	s_cbranch_execz .LBB15_16
; %bb.26:                               ;   in Loop: Header=BB15_17 Depth=3
	v_lshlrev_b32_e32 v14, 2, v13
	s_and_not1_b32 s14, s14, exec_lo
	s_delay_alu instid0(VALU_DEP_1)
	v_add3_u32 v14, 0, v14, 0x10000
	ds_add_f32 v14, v12
	s_branch .LBB15_16
.LBB15_27:
	s_or_b32 exec_lo, exec_lo, s1
.LBB15_28:
	s_delay_alu instid0(SALU_CYCLE_1)
	s_and_not1_b32 vcc_lo, exec_lo, s12
	s_cbranch_vccnz .LBB15_45
; %bb.29:
	s_waitcnt lgkmcnt(0)
	s_ashr_i32 s37, s36, 31
	v_subrev_nc_u32_e32 v1, s27, v0
	s_lshl_b64 s[0:1], s[36:37], 2
	s_delay_alu instid0(SALU_CYCLE_1)
	s_add_u32 s0, s16, s0
	s_addc_u32 s1, s17, s1
	s_load_b64 s[0:1], s[0:1], 0x0
	s_waitcnt lgkmcnt(0)
	v_add_nc_u32_e32 v1, s0, v1
	s_sub_i32 s0, s1, s27
	s_mov_b32 s1, exec_lo
	s_delay_alu instid0(VALU_DEP_1)
	v_cmpx_gt_i32_e64 s0, v1
	s_cbranch_execz .LBB15_44
; %bb.30:
	s_mov_b32 s2, 0
	s_branch .LBB15_32
.LBB15_31:                              ;   in Loop: Header=BB15_32 Depth=1
	s_or_b32 exec_lo, exec_lo, s3
	v_add_nc_u32_e32 v1, 0x400, v1
	s_delay_alu instid0(VALU_DEP_1) | instskip(SKIP_1) | instid1(SALU_CYCLE_1)
	v_cmp_le_i32_e32 vcc_lo, s0, v1
	s_or_b32 s2, vcc_lo, s2
	s_and_not1_b32 exec_lo, exec_lo, s2
	s_cbranch_execz .LBB15_44
.LBB15_32:                              ; =>This Loop Header: Depth=1
                                        ;     Child Loop BB15_34 Depth 2
	v_ashrrev_i32_e32 v2, 31, v1
	s_mov_b32 s3, 0
	s_delay_alu instid0(VALU_DEP_1) | instskip(NEXT) | instid1(VALU_DEP_1)
	v_lshlrev_b64 v[2:3], 2, v[1:2]
	v_add_co_u32 v9, vcc_lo, s18, v2
	s_delay_alu instid0(VALU_DEP_2)
	v_add_co_ci_u32_e32 v10, vcc_lo, s19, v3, vcc_lo
	v_add_co_u32 v2, vcc_lo, s20, v2
	v_add_co_ci_u32_e32 v3, vcc_lo, s21, v3, vcc_lo
	global_load_b32 v4, v[9:10], off
	global_load_b32 v3, v[2:3], off
	s_waitcnt vmcnt(1)
	v_subrev_nc_u32_e32 v2, s27, v4
	s_delay_alu instid0(VALU_DEP_1) | instskip(SKIP_1) | instid1(VALU_DEP_1)
	v_mul_lo_u32 v4, 0x89, v2
	s_waitcnt vmcnt(0)
	v_dual_mul_f32 v3, v7, v3 :: v_dual_and_b32 v4, 0x3fff, v4
	s_branch .LBB15_34
.LBB15_33:                              ;   in Loop: Header=BB15_34 Depth=2
	s_or_b32 exec_lo, exec_lo, s4
	s_xor_b32 s4, s5, -1
	s_delay_alu instid0(SALU_CYCLE_1) | instskip(NEXT) | instid1(SALU_CYCLE_1)
	s_and_b32 s4, exec_lo, s4
	s_or_b32 s3, s4, s3
	s_delay_alu instid0(SALU_CYCLE_1)
	s_and_not1_b32 exec_lo, exec_lo, s3
	s_cbranch_execz .LBB15_31
.LBB15_34:                              ;   Parent Loop BB15_32 Depth=1
                                        ; =>  This Inner Loop Header: Depth=2
	s_delay_alu instid0(VALU_DEP_1)
	v_lshl_add_u32 v9, v4, 2, 0
	s_mov_b32 s4, exec_lo
                                        ; implicit-def: $sgpr5
	ds_load_b32 v10, v9
	s_waitcnt lgkmcnt(0)
	v_cmpx_ne_u32_e64 v10, v2
	s_xor_b32 s4, exec_lo, s4
	s_cbranch_execz .LBB15_42
; %bb.35:                               ;   in Loop: Header=BB15_34 Depth=2
	s_mov_b32 s6, exec_lo
                                        ; implicit-def: $sgpr5
	v_cmpx_ne_u32_e64 s33, v10
	s_xor_b32 s6, exec_lo, s6
; %bb.36:                               ;   in Loop: Header=BB15_34 Depth=2
	v_add_nc_u32_e32 v4, 1, v4
	s_mov_b32 s5, -1
                                        ; implicit-def: $vgpr9
	s_delay_alu instid0(VALU_DEP_1)
	v_and_b32_e32 v4, 0x3fff, v4
; %bb.37:                               ;   in Loop: Header=BB15_34 Depth=2
	s_and_not1_saveexec_b32 s6, s6
	s_cbranch_execz .LBB15_41
; %bb.38:                               ;   in Loop: Header=BB15_34 Depth=2
	v_mov_b32_e32 v10, s33
	s_mov_b32 s7, -1
	s_mov_b32 s8, exec_lo
	ds_cmpstore_rtn_b32 v9, v9, v2, v10
	s_waitcnt lgkmcnt(0)
	v_cmpx_eq_u32_e64 s33, v9
	s_cbranch_execz .LBB15_40
; %bb.39:                               ;   in Loop: Header=BB15_34 Depth=2
	v_lshlrev_b32_e32 v9, 2, v4
	s_xor_b32 s7, exec_lo, -1
	s_delay_alu instid0(VALU_DEP_1)
	v_add3_u32 v9, 0, v9, 0x10000
	ds_add_f32 v9, v3
.LBB15_40:                              ;   in Loop: Header=BB15_34 Depth=2
	s_or_b32 exec_lo, exec_lo, s8
	s_delay_alu instid0(SALU_CYCLE_1) | instskip(SKIP_1) | instid1(SALU_CYCLE_1)
	s_and_not1_b32 s5, s5, exec_lo
	s_and_b32 s7, s7, exec_lo
	s_or_b32 s5, s5, s7
.LBB15_41:                              ;   in Loop: Header=BB15_34 Depth=2
	s_or_b32 exec_lo, exec_lo, s6
	s_delay_alu instid0(SALU_CYCLE_1)
	s_and_b32 s5, s5, exec_lo
.LBB15_42:                              ;   in Loop: Header=BB15_34 Depth=2
	s_and_not1_saveexec_b32 s4, s4
	s_cbranch_execz .LBB15_33
; %bb.43:                               ;   in Loop: Header=BB15_34 Depth=2
	v_lshlrev_b32_e32 v9, 2, v4
	s_and_not1_b32 s5, s5, exec_lo
	s_delay_alu instid0(VALU_DEP_1)
	v_add3_u32 v9, 0, v9, 0x10000
	ds_add_f32 v9, v3
	s_branch .LBB15_33
.LBB15_44:
	s_or_b32 exec_lo, exec_lo, s1
.LBB15_45:
	v_mbcnt_lo_u32_b32 v1, -1, 0
	v_lshlrev_b32_e32 v2, 2, v8
	s_add_i32 s31, 0, 0x2003c
	v_cmp_eq_u32_e32 vcc_lo, 0x3ff, v0
	v_cmp_lt_u32_e64 s0, 63, v0
	v_xor_b32_e32 v1, 63, v1
	v_add3_u32 v3, 0, 0x20000, v2
	v_cmp_lt_u32_e64 s1, 0x7f, v0
	v_cmp_lt_u32_e64 s2, 0xbf, v0
	;; [unrolled: 1-line block ×3, first 2 shown]
	v_lshrrev_b64 v[1:2], v1, -1
	v_cmp_lt_u32_e64 s4, 0x13f, v0
	v_cmp_lt_u32_e64 s5, 0x17f, v0
	;; [unrolled: 1-line block ×11, first 2 shown]
	v_mov_b32_e32 v2, 0
	v_mov_b32_e32 v4, s31
	s_mov_b32 s16, 0
	s_add_i32 s17, 0, 0x20000
	s_add_i32 s18, 0, 0x20004
	;; [unrolled: 1-line block ×15, first 2 shown]
	s_waitcnt lgkmcnt(0)
	s_barrier
	buffer_gl0_inv
	s_branch .LBB15_47
.LBB15_46:                              ;   in Loop: Header=BB15_47 Depth=1
	s_or_b32 exec_lo, exec_lo, s15
	s_waitcnt lgkmcnt(0)
	s_barrier
	buffer_gl0_inv
	ds_load_b32 v7, v4
	v_add_nc_u32_e32 v6, 0x400, v6
	v_add_nc_u32_e32 v5, 0x1000, v5
	s_delay_alu instid0(VALU_DEP_2) | instskip(NEXT) | instid1(VALU_DEP_1)
	v_cmp_lt_u32_e64 s15, 0x3bff, v6
	s_or_b32 s16, s15, s16
	s_waitcnt lgkmcnt(0)
	v_add_nc_u32_e32 v2, v7, v2
	s_and_not1_b32 exec_lo, exec_lo, s16
	s_cbranch_execz .LBB15_81
.LBB15_47:                              ; =>This Inner Loop Header: Depth=1
	ds_load_b32 v7, v5
	v_add_nc_u32_e32 v8, 0x10000, v5
	ds_load_b32 v8, v8
	s_waitcnt lgkmcnt(0)
	s_barrier
	buffer_gl0_inv
	v_cmp_gt_i32_e64 s15, s33, v7
	s_delay_alu instid0(VALU_DEP_1) | instskip(NEXT) | instid1(SALU_CYCLE_1)
	s_bcnt1_i32_b32 s41, s15
	v_dual_mov_b32 v10, s41 :: v_dual_and_b32 v9, s15, v1
	s_delay_alu instid0(VALU_DEP_1)
	v_bcnt_u32_b32 v9, v9, 0
	ds_store_b32 v3, v10
	s_waitcnt lgkmcnt(0)
	s_barrier
	buffer_gl0_inv
	s_and_saveexec_b32 s41, s0
	s_cbranch_execnz .LBB15_64
; %bb.48:                               ;   in Loop: Header=BB15_47 Depth=1
	s_or_b32 exec_lo, exec_lo, s41
	s_and_saveexec_b32 s41, s1
	s_cbranch_execnz .LBB15_65
.LBB15_49:                              ;   in Loop: Header=BB15_47 Depth=1
	s_or_b32 exec_lo, exec_lo, s41
	s_and_saveexec_b32 s41, s2
	s_cbranch_execnz .LBB15_66
.LBB15_50:                              ;   in Loop: Header=BB15_47 Depth=1
	s_or_b32 exec_lo, exec_lo, s41
	s_and_saveexec_b32 s41, s3
	s_cbranch_execnz .LBB15_67
.LBB15_51:                              ;   in Loop: Header=BB15_47 Depth=1
	s_or_b32 exec_lo, exec_lo, s41
	s_and_saveexec_b32 s41, s4
	s_cbranch_execnz .LBB15_68
.LBB15_52:                              ;   in Loop: Header=BB15_47 Depth=1
	s_or_b32 exec_lo, exec_lo, s41
	s_and_saveexec_b32 s41, s5
	s_cbranch_execnz .LBB15_69
.LBB15_53:                              ;   in Loop: Header=BB15_47 Depth=1
	s_or_b32 exec_lo, exec_lo, s41
	s_and_saveexec_b32 s41, s6
	s_cbranch_execnz .LBB15_70
.LBB15_54:                              ;   in Loop: Header=BB15_47 Depth=1
	s_or_b32 exec_lo, exec_lo, s41
	s_and_saveexec_b32 s41, s7
	s_cbranch_execnz .LBB15_71
.LBB15_55:                              ;   in Loop: Header=BB15_47 Depth=1
	s_or_b32 exec_lo, exec_lo, s41
	s_and_saveexec_b32 s41, s8
	s_cbranch_execnz .LBB15_72
.LBB15_56:                              ;   in Loop: Header=BB15_47 Depth=1
	s_or_b32 exec_lo, exec_lo, s41
	s_and_saveexec_b32 s41, s9
	s_cbranch_execnz .LBB15_73
.LBB15_57:                              ;   in Loop: Header=BB15_47 Depth=1
	s_or_b32 exec_lo, exec_lo, s41
	s_and_saveexec_b32 s41, s10
	s_cbranch_execnz .LBB15_74
.LBB15_58:                              ;   in Loop: Header=BB15_47 Depth=1
	s_or_b32 exec_lo, exec_lo, s41
	s_and_saveexec_b32 s41, s11
	s_cbranch_execnz .LBB15_75
.LBB15_59:                              ;   in Loop: Header=BB15_47 Depth=1
	s_or_b32 exec_lo, exec_lo, s41
	s_and_saveexec_b32 s41, s12
	s_cbranch_execnz .LBB15_76
.LBB15_60:                              ;   in Loop: Header=BB15_47 Depth=1
	s_or_b32 exec_lo, exec_lo, s41
	s_and_saveexec_b32 s41, s13
	s_cbranch_execnz .LBB15_77
.LBB15_61:                              ;   in Loop: Header=BB15_47 Depth=1
	s_or_b32 exec_lo, exec_lo, s41
	s_and_saveexec_b32 s41, s14
	s_cbranch_execnz .LBB15_78
.LBB15_62:                              ;   in Loop: Header=BB15_47 Depth=1
	s_or_b32 exec_lo, exec_lo, s41
	s_and_saveexec_b32 s41, s15
	s_cbranch_execnz .LBB15_79
.LBB15_63:                              ;   in Loop: Header=BB15_47 Depth=1
	s_or_b32 exec_lo, exec_lo, s41
	s_and_saveexec_b32 s15, vcc_lo
	s_cbranch_execz .LBB15_46
	s_branch .LBB15_80
.LBB15_64:                              ;   in Loop: Header=BB15_47 Depth=1
	v_mov_b32_e32 v10, s17
	ds_load_b32 v10, v10
	s_waitcnt lgkmcnt(0)
	v_add_nc_u32_e32 v9, v10, v9
	s_or_b32 exec_lo, exec_lo, s41
	s_and_saveexec_b32 s41, s1
	s_cbranch_execz .LBB15_49
.LBB15_65:                              ;   in Loop: Header=BB15_47 Depth=1
	v_mov_b32_e32 v10, s18
	ds_load_b32 v10, v10
	s_waitcnt lgkmcnt(0)
	v_add_nc_u32_e32 v9, v10, v9
	s_or_b32 exec_lo, exec_lo, s41
	s_and_saveexec_b32 s41, s2
	s_cbranch_execz .LBB15_50
.LBB15_66:                              ;   in Loop: Header=BB15_47 Depth=1
	v_mov_b32_e32 v10, s19
	ds_load_b32 v10, v10
	s_waitcnt lgkmcnt(0)
	v_add_nc_u32_e32 v9, v10, v9
	s_or_b32 exec_lo, exec_lo, s41
	s_and_saveexec_b32 s41, s3
	s_cbranch_execz .LBB15_51
.LBB15_67:                              ;   in Loop: Header=BB15_47 Depth=1
	v_mov_b32_e32 v10, s20
	ds_load_b32 v10, v10
	s_waitcnt lgkmcnt(0)
	v_add_nc_u32_e32 v9, v10, v9
	s_or_b32 exec_lo, exec_lo, s41
	s_and_saveexec_b32 s41, s4
	s_cbranch_execz .LBB15_52
.LBB15_68:                              ;   in Loop: Header=BB15_47 Depth=1
	v_mov_b32_e32 v10, s21
	ds_load_b32 v10, v10
	s_waitcnt lgkmcnt(0)
	v_add_nc_u32_e32 v9, v10, v9
	s_or_b32 exec_lo, exec_lo, s41
	s_and_saveexec_b32 s41, s5
	s_cbranch_execz .LBB15_53
.LBB15_69:                              ;   in Loop: Header=BB15_47 Depth=1
	v_mov_b32_e32 v10, s24
	ds_load_b32 v10, v10
	s_waitcnt lgkmcnt(0)
	v_add_nc_u32_e32 v9, v10, v9
	s_or_b32 exec_lo, exec_lo, s41
	s_and_saveexec_b32 s41, s6
	s_cbranch_execz .LBB15_54
.LBB15_70:                              ;   in Loop: Header=BB15_47 Depth=1
	v_mov_b32_e32 v10, s25
	ds_load_b32 v10, v10
	s_waitcnt lgkmcnt(0)
	v_add_nc_u32_e32 v9, v10, v9
	s_or_b32 exec_lo, exec_lo, s41
	s_and_saveexec_b32 s41, s7
	s_cbranch_execz .LBB15_55
.LBB15_71:                              ;   in Loop: Header=BB15_47 Depth=1
	v_mov_b32_e32 v10, s27
	ds_load_b32 v10, v10
	s_waitcnt lgkmcnt(0)
	v_add_nc_u32_e32 v9, v10, v9
	s_or_b32 exec_lo, exec_lo, s41
	s_and_saveexec_b32 s41, s8
	s_cbranch_execz .LBB15_56
.LBB15_72:                              ;   in Loop: Header=BB15_47 Depth=1
	v_mov_b32_e32 v10, s28
	ds_load_b32 v10, v10
	s_waitcnt lgkmcnt(0)
	v_add_nc_u32_e32 v9, v10, v9
	s_or_b32 exec_lo, exec_lo, s41
	s_and_saveexec_b32 s41, s9
	s_cbranch_execz .LBB15_57
.LBB15_73:                              ;   in Loop: Header=BB15_47 Depth=1
	v_mov_b32_e32 v10, s29
	ds_load_b32 v10, v10
	s_waitcnt lgkmcnt(0)
	v_add_nc_u32_e32 v9, v10, v9
	s_or_b32 exec_lo, exec_lo, s41
	s_and_saveexec_b32 s41, s10
	s_cbranch_execz .LBB15_58
.LBB15_74:                              ;   in Loop: Header=BB15_47 Depth=1
	v_mov_b32_e32 v10, s30
	ds_load_b32 v10, v10
	s_waitcnt lgkmcnt(0)
	v_add_nc_u32_e32 v9, v10, v9
	s_or_b32 exec_lo, exec_lo, s41
	s_and_saveexec_b32 s41, s11
	s_cbranch_execz .LBB15_59
.LBB15_75:                              ;   in Loop: Header=BB15_47 Depth=1
	v_mov_b32_e32 v10, s37
	ds_load_b32 v10, v10
	s_waitcnt lgkmcnt(0)
	v_add_nc_u32_e32 v9, v10, v9
	s_or_b32 exec_lo, exec_lo, s41
	s_and_saveexec_b32 s41, s12
	s_cbranch_execz .LBB15_60
.LBB15_76:                              ;   in Loop: Header=BB15_47 Depth=1
	v_mov_b32_e32 v10, s38
	ds_load_b32 v10, v10
	s_waitcnt lgkmcnt(0)
	v_add_nc_u32_e32 v9, v10, v9
	s_or_b32 exec_lo, exec_lo, s41
	s_and_saveexec_b32 s41, s13
	s_cbranch_execz .LBB15_61
.LBB15_77:                              ;   in Loop: Header=BB15_47 Depth=1
	v_mov_b32_e32 v10, s39
	ds_load_b32 v10, v10
	s_waitcnt lgkmcnt(0)
	v_add_nc_u32_e32 v9, v10, v9
	s_or_b32 exec_lo, exec_lo, s41
	s_and_saveexec_b32 s41, s14
	s_cbranch_execz .LBB15_62
.LBB15_78:                              ;   in Loop: Header=BB15_47 Depth=1
	v_mov_b32_e32 v10, s40
	ds_load_b32 v10, v10
	s_waitcnt lgkmcnt(0)
	v_add_nc_u32_e32 v9, v10, v9
	s_or_b32 exec_lo, exec_lo, s41
	s_and_saveexec_b32 s41, s15
	s_cbranch_execz .LBB15_63
.LBB15_79:                              ;   in Loop: Header=BB15_47 Depth=1
	s_delay_alu instid0(VALU_DEP_1) | instskip(NEXT) | instid1(VALU_DEP_1)
	v_add3_u32 v10, v2, -1, v9
	v_lshl_add_u32 v10, v10, 2, 0
	s_delay_alu instid0(VALU_DEP_1)
	v_add_nc_u32_e32 v11, 0x10000, v10
	ds_store_b32 v10, v7
	ds_store_b32 v11, v8
	s_or_b32 exec_lo, exec_lo, s41
	s_and_saveexec_b32 s15, vcc_lo
	s_cbranch_execz .LBB15_46
.LBB15_80:                              ;   in Loop: Header=BB15_47 Depth=1
	v_mov_b32_e32 v7, s31
	ds_store_b32 v7, v9
	s_branch .LBB15_46
.LBB15_81:
	s_or_b32 exec_lo, exec_lo, s16
	s_ashr_i32 s37, s36, 31
	s_mov_b32 s3, exec_lo
	s_lshl_b64 s[0:1], s[36:37], 2
	s_delay_alu instid0(SALU_CYCLE_1) | instskip(SKIP_4) | instid1(SALU_CYCLE_1)
	s_add_u32 s0, s22, s0
	s_addc_u32 s1, s23, s1
	s_load_b64 s[0:1], s[0:1], 0x0
	s_waitcnt lgkmcnt(0)
	s_sub_i32 s2, s1, s0
	v_cmpx_gt_i32_e64 s2, v0
	s_cbranch_execz .LBB15_91
; %bb.82:
	s_sub_i32 s3, s0, s26
	s_sub_i32 s0, s0, s1
	s_and_b32 s1, s2, 7
	s_cmp_lt_u32 s0, -7
	s_mov_b32 s7, 0
	s_cselect_b32 s4, -1, 0
	s_and_b32 s5, s2, -8
	s_cmp_lg_u32 s1, 0
	s_cselect_b32 s6, -1, 0
	s_branch .LBB15_84
.LBB15_83:                              ;   in Loop: Header=BB15_84 Depth=1
	s_waitcnt lgkmcnt(1)
	s_delay_alu instid0(VALU_DEP_1) | instskip(SKIP_1) | instid1(VALU_DEP_2)
	v_ashrrev_i32_e32 v2, 31, v1
	v_add_nc_u32_e32 v0, 0x400, v0
	v_lshlrev_b64 v[1:2], 2, v[1:2]
	s_delay_alu instid0(VALU_DEP_2) | instskip(SKIP_1) | instid1(VALU_DEP_2)
	v_cmp_le_i32_e32 vcc_lo, s2, v0
	s_or_b32 s7, vcc_lo, s7
	v_add_co_u32 v1, s0, s34, v1
	s_delay_alu instid0(VALU_DEP_1)
	v_add_co_ci_u32_e64 v2, s0, s35, v2, s0
	s_waitcnt lgkmcnt(0)
	global_store_b32 v[1:2], v3, off
	s_and_not1_b32 exec_lo, exec_lo, s7
	s_cbranch_execz .LBB15_91
.LBB15_84:                              ; =>This Loop Header: Depth=1
                                        ;     Child Loop BB15_86 Depth 2
                                        ;     Child Loop BB15_90 Depth 2
	v_lshl_add_u32 v1, v0, 2, 0
	s_and_not1_b32 vcc_lo, exec_lo, s4
	s_mov_b32 s0, 0
	s_delay_alu instid0(VALU_DEP_1)
	v_add_nc_u32_e32 v3, 0x10000, v1
	ds_load_b32 v2, v1
	ds_load_b32 v3, v3
	v_mov_b32_e32 v1, s3
	s_cbranch_vccnz .LBB15_88
; %bb.85:                               ;   in Loop: Header=BB15_84 Depth=1
	v_mov_b32_e32 v1, s3
	s_mov_b32 s8, 0
	s_set_inst_prefetch_distance 0x1
	.p2align	6
.LBB15_86:                              ;   Parent Loop BB15_84 Depth=1
                                        ; =>  This Inner Loop Header: Depth=2
	v_mov_b32_e32 v10, s8
	s_add_i32 s0, s0, 8
	s_add_i32 s8, s8, 32
	s_cmp_eq_u32 s5, s0
	ds_load_2addr_b32 v[4:5], v10 offset1:1
	ds_load_2addr_b32 v[6:7], v10 offset0:2 offset1:3
	ds_load_2addr_b32 v[8:9], v10 offset0:4 offset1:5
	;; [unrolled: 1-line block ×3, first 2 shown]
	s_waitcnt lgkmcnt(3)
	v_cmp_gt_i32_e32 vcc_lo, v2, v4
	v_cndmask_b32_e64 v4, 0, 1, vcc_lo
	s_waitcnt lgkmcnt(2)
	v_cmp_gt_i32_e32 vcc_lo, v2, v6
	v_cndmask_b32_e64 v6, 0, 1, vcc_lo
	v_cmp_gt_i32_e32 vcc_lo, v2, v5
	v_add_co_ci_u32_e32 v1, vcc_lo, v1, v4, vcc_lo
	s_waitcnt lgkmcnt(1)
	v_cmp_gt_i32_e32 vcc_lo, v2, v8
	v_cndmask_b32_e64 v4, 0, 1, vcc_lo
	v_cmp_gt_i32_e32 vcc_lo, v2, v7
	v_add_co_ci_u32_e32 v1, vcc_lo, v1, v6, vcc_lo
	;; [unrolled: 5-line block ×3, first 2 shown]
	v_cmp_gt_i32_e32 vcc_lo, v2, v11
	s_delay_alu instid0(VALU_DEP_2)
	v_add_co_ci_u32_e32 v1, vcc_lo, v1, v5, vcc_lo
	s_cbranch_scc0 .LBB15_86
; %bb.87:                               ;   in Loop: Header=BB15_84 Depth=1
	s_set_inst_prefetch_distance 0x2
	s_mov_b32 s0, s5
.LBB15_88:                              ;   in Loop: Header=BB15_84 Depth=1
	s_and_not1_b32 vcc_lo, exec_lo, s6
	s_cbranch_vccnz .LBB15_83
; %bb.89:                               ;   in Loop: Header=BB15_84 Depth=1
	s_lshl_b32 s0, s0, 2
	s_mov_b32 s8, s1
	s_add_i32 s0, s0, 0
.LBB15_90:                              ;   Parent Loop BB15_84 Depth=1
                                        ; =>  This Inner Loop Header: Depth=2
	s_delay_alu instid0(SALU_CYCLE_1)
	v_mov_b32_e32 v4, s0
	s_add_i32 s8, s8, -1
	s_add_i32 s0, s0, 4
	s_cmp_lg_u32 s8, 0
	ds_load_b32 v4, v4
	s_waitcnt lgkmcnt(0)
	v_cmp_gt_i32_e32 vcc_lo, v2, v4
	v_add_co_ci_u32_e32 v1, vcc_lo, 0, v1, vcc_lo
	s_cbranch_scc1 .LBB15_90
	s_branch .LBB15_83
.LBB15_91:
	s_nop 0
	s_sendmsg sendmsg(MSG_DEALLOC_VGPRS)
	s_endpgm
	.section	.rodata,"a",@progbits
	.p2align	6, 0x0
	.amdhsa_kernel _ZN9rocsparseL41csrgemm_numeric_fill_block_per_row_kernelILj1024ELj64ELj16384ELj137ELj64EiifEEvT5_PKS1_S3_NS_24const_host_device_scalarIT6_EEPKT4_S3_PKS5_S9_S3_SB_S6_S9_S3_SB_S9_S3_PS5_21rocsparse_index_base_SD_SD_SD_bbb
		.amdhsa_group_segment_fixed_size 0
		.amdhsa_private_segment_fixed_size 0
		.amdhsa_kernarg_size 156
		.amdhsa_user_sgpr_count 15
		.amdhsa_user_sgpr_dispatch_ptr 0
		.amdhsa_user_sgpr_queue_ptr 0
		.amdhsa_user_sgpr_kernarg_segment_ptr 1
		.amdhsa_user_sgpr_dispatch_id 0
		.amdhsa_user_sgpr_private_segment_size 0
		.amdhsa_wavefront_size32 1
		.amdhsa_uses_dynamic_stack 0
		.amdhsa_enable_private_segment 0
		.amdhsa_system_sgpr_workgroup_id_x 1
		.amdhsa_system_sgpr_workgroup_id_y 0
		.amdhsa_system_sgpr_workgroup_id_z 0
		.amdhsa_system_sgpr_workgroup_info 0
		.amdhsa_system_vgpr_workitem_id 0
		.amdhsa_next_free_vgpr 16
		.amdhsa_next_free_sgpr 42
		.amdhsa_reserve_vcc 1
		.amdhsa_float_round_mode_32 0
		.amdhsa_float_round_mode_16_64 0
		.amdhsa_float_denorm_mode_32 3
		.amdhsa_float_denorm_mode_16_64 3
		.amdhsa_dx10_clamp 1
		.amdhsa_ieee_mode 1
		.amdhsa_fp16_overflow 0
		.amdhsa_workgroup_processor_mode 1
		.amdhsa_memory_ordered 1
		.amdhsa_forward_progress 0
		.amdhsa_shared_vgpr_count 0
		.amdhsa_exception_fp_ieee_invalid_op 0
		.amdhsa_exception_fp_denorm_src 0
		.amdhsa_exception_fp_ieee_div_zero 0
		.amdhsa_exception_fp_ieee_overflow 0
		.amdhsa_exception_fp_ieee_underflow 0
		.amdhsa_exception_fp_ieee_inexact 0
		.amdhsa_exception_int_div_zero 0
	.end_amdhsa_kernel
	.section	.text._ZN9rocsparseL41csrgemm_numeric_fill_block_per_row_kernelILj1024ELj64ELj16384ELj137ELj64EiifEEvT5_PKS1_S3_NS_24const_host_device_scalarIT6_EEPKT4_S3_PKS5_S9_S3_SB_S6_S9_S3_SB_S9_S3_PS5_21rocsparse_index_base_SD_SD_SD_bbb,"axG",@progbits,_ZN9rocsparseL41csrgemm_numeric_fill_block_per_row_kernelILj1024ELj64ELj16384ELj137ELj64EiifEEvT5_PKS1_S3_NS_24const_host_device_scalarIT6_EEPKT4_S3_PKS5_S9_S3_SB_S6_S9_S3_SB_S9_S3_PS5_21rocsparse_index_base_SD_SD_SD_bbb,comdat
.Lfunc_end15:
	.size	_ZN9rocsparseL41csrgemm_numeric_fill_block_per_row_kernelILj1024ELj64ELj16384ELj137ELj64EiifEEvT5_PKS1_S3_NS_24const_host_device_scalarIT6_EEPKT4_S3_PKS5_S9_S3_SB_S6_S9_S3_SB_S9_S3_PS5_21rocsparse_index_base_SD_SD_SD_bbb, .Lfunc_end15-_ZN9rocsparseL41csrgemm_numeric_fill_block_per_row_kernelILj1024ELj64ELj16384ELj137ELj64EiifEEvT5_PKS1_S3_NS_24const_host_device_scalarIT6_EEPKT4_S3_PKS5_S9_S3_SB_S6_S9_S3_SB_S9_S3_PS5_21rocsparse_index_base_SD_SD_SD_bbb
                                        ; -- End function
	.section	.AMDGPU.csdata,"",@progbits
; Kernel info:
; codeLenInByte = 3372
; NumSgprs: 44
; NumVgprs: 16
; ScratchSize: 0
; MemoryBound: 0
; FloatMode: 240
; IeeeMode: 1
; LDSByteSize: 0 bytes/workgroup (compile time only)
; SGPRBlocks: 5
; VGPRBlocks: 1
; NumSGPRsForWavesPerEU: 44
; NumVGPRsForWavesPerEU: 16
; Occupancy: 16
; WaveLimiterHint : 1
; COMPUTE_PGM_RSRC2:SCRATCH_EN: 0
; COMPUTE_PGM_RSRC2:USER_SGPR: 15
; COMPUTE_PGM_RSRC2:TRAP_HANDLER: 0
; COMPUTE_PGM_RSRC2:TGID_X_EN: 1
; COMPUTE_PGM_RSRC2:TGID_Y_EN: 0
; COMPUTE_PGM_RSRC2:TGID_Z_EN: 0
; COMPUTE_PGM_RSRC2:TIDIG_COMP_CNT: 0
	.section	.text._ZN9rocsparseL41csrgemm_numeric_fill_block_per_row_kernelILj1024ELj64ELj32768ELj137ELj32EiifEEvT5_PKS1_S3_NS_24const_host_device_scalarIT6_EEPKT4_S3_PKS5_S9_S3_SB_S6_S9_S3_SB_S9_S3_PS5_21rocsparse_index_base_SD_SD_SD_bbb,"axG",@progbits,_ZN9rocsparseL41csrgemm_numeric_fill_block_per_row_kernelILj1024ELj64ELj32768ELj137ELj32EiifEEvT5_PKS1_S3_NS_24const_host_device_scalarIT6_EEPKT4_S3_PKS5_S9_S3_SB_S6_S9_S3_SB_S9_S3_PS5_21rocsparse_index_base_SD_SD_SD_bbb,comdat
	.globl	_ZN9rocsparseL41csrgemm_numeric_fill_block_per_row_kernelILj1024ELj64ELj32768ELj137ELj32EiifEEvT5_PKS1_S3_NS_24const_host_device_scalarIT6_EEPKT4_S3_PKS5_S9_S3_SB_S6_S9_S3_SB_S9_S3_PS5_21rocsparse_index_base_SD_SD_SD_bbb ; -- Begin function _ZN9rocsparseL41csrgemm_numeric_fill_block_per_row_kernelILj1024ELj64ELj32768ELj137ELj32EiifEEvT5_PKS1_S3_NS_24const_host_device_scalarIT6_EEPKT4_S3_PKS5_S9_S3_SB_S6_S9_S3_SB_S9_S3_PS5_21rocsparse_index_base_SD_SD_SD_bbb
	.p2align	8
	.type	_ZN9rocsparseL41csrgemm_numeric_fill_block_per_row_kernelILj1024ELj64ELj32768ELj137ELj32EiifEEvT5_PKS1_S3_NS_24const_host_device_scalarIT6_EEPKT4_S3_PKS5_S9_S3_SB_S6_S9_S3_SB_S9_S3_PS5_21rocsparse_index_base_SD_SD_SD_bbb,@function
_ZN9rocsparseL41csrgemm_numeric_fill_block_per_row_kernelILj1024ELj64ELj32768ELj137ELj32EiifEEvT5_PKS1_S3_NS_24const_host_device_scalarIT6_EEPKT4_S3_PKS5_S9_S3_SB_S6_S9_S3_SB_S9_S3_PS5_21rocsparse_index_base_SD_SD_SD_bbb: ; @_ZN9rocsparseL41csrgemm_numeric_fill_block_per_row_kernelILj1024ELj64ELj32768ELj137ELj32EiifEEvT5_PKS1_S3_NS_24const_host_device_scalarIT6_EEPKT4_S3_PKS5_S9_S3_SB_S6_S9_S3_SB_S9_S3_PS5_21rocsparse_index_base_SD_SD_SD_bbb
; %bb.0:
	s_clause 0x3
	s_load_b32 s12, s[0:1], 0x98
	s_load_b128 s[44:47], s[0:1], 0x88
	s_load_b64 s[4:5], s[0:1], 0x18
	s_load_b64 s[2:3], s[0:1], 0x50
	s_waitcnt lgkmcnt(0)
	s_bitcmp1_b32 s12, 0
	s_cselect_b32 s13, -1, 0
	s_bitcmp1_b32 s12, 16
	s_cselect_b32 s14, -1, 0
	s_xor_b32 s6, s13, -1
	s_delay_alu instid0(SALU_CYCLE_1) | instskip(NEXT) | instid1(SALU_CYCLE_1)
	s_or_b32 s6, s6, s14
	s_and_b32 vcc_lo, exec_lo, s6
	s_cbranch_vccnz .LBB16_2
; %bb.1:
	s_load_b32 s4, s[4:5], 0x0
	s_waitcnt lgkmcnt(0)
	v_mov_b32_e32 v8, s4
	s_branch .LBB16_3
.LBB16_2:
	v_cndmask_b32_e64 v8, 0, s4, s13
.LBB16_3:
	s_clause 0x4
	s_load_b64 s[34:35], s[0:1], 0x80
	s_load_b256 s[36:43], s[0:1], 0x58
	s_load_b128 s[16:19], s[0:1], 0x40
	s_load_b128 s[20:23], s[0:1], 0x8
	s_load_b256 s[4:11], s[0:1], 0x20
	s_bitcmp1_b32 s12, 8
	s_cselect_b32 s12, -1, 0
	s_delay_alu instid0(SALU_CYCLE_1) | instskip(NEXT) | instid1(SALU_CYCLE_1)
	s_xor_b32 s24, s12, -1
	s_or_b32 s14, s24, s14
	s_delay_alu instid0(SALU_CYCLE_1)
	s_and_b32 vcc_lo, exec_lo, s14
	s_cbranch_vccnz .LBB16_5
; %bb.4:
	s_load_b32 s2, s[2:3], 0x0
	s_waitcnt lgkmcnt(0)
	v_mov_b32_e32 v7, s2
	s_branch .LBB16_6
.LBB16_5:
	v_cndmask_b32_e64 v7, 0, s2, s12
.LBB16_6:
	s_load_b32 s33, s[0:1], 0x0
	v_lshl_add_u32 v5, v0, 2, 0
	v_or_b32_e32 v6, 0xfffffc00, v0
	v_mov_b32_e32 v1, 0
	s_mov_b32 s0, 0
	s_delay_alu instid0(VALU_DEP_3)
	v_mov_b32_e32 v2, v5
	s_waitcnt lgkmcnt(0)
	v_dual_mov_b32 v4, v6 :: v_dual_mov_b32 v3, s33
.LBB16_7:                               ; =>This Inner Loop Header: Depth=1
	s_delay_alu instid0(VALU_DEP_1) | instskip(NEXT) | instid1(VALU_DEP_3)
	v_add_nc_u32_e32 v4, 0x400, v4
	v_add_nc_u32_e32 v9, 0x20000, v2
	ds_store_b32 v2, v3
	v_add_nc_u32_e32 v2, 0x1000, v2
	v_cmp_lt_u32_e32 vcc_lo, 0x7bff, v4
	ds_store_b32 v9, v1
	s_or_b32 s0, vcc_lo, s0
	s_delay_alu instid0(SALU_CYCLE_1)
	s_and_not1_b32 exec_lo, exec_lo, s0
	s_cbranch_execnz .LBB16_7
; %bb.8:
	s_or_b32 exec_lo, exec_lo, s0
	s_waitcnt lgkmcnt(0)
	s_barrier
	buffer_gl0_inv
	s_load_b32 s0, s[20:21], 0x0
	s_mov_b32 s1, 0
	s_waitcnt lgkmcnt(0)
	s_add_i32 s0, s0, s15
	s_delay_alu instid0(SALU_CYCLE_1) | instskip(NEXT) | instid1(SALU_CYCLE_1)
	s_lshl_b64 s[0:1], s[0:1], 2
	s_add_u32 s0, s22, s0
	s_addc_u32 s1, s23, s1
	s_and_b32 vcc_lo, exec_lo, s13
	s_load_b32 s48, s[0:1], 0x0
	s_cbranch_vccz .LBB16_28
; %bb.9:
	s_waitcnt lgkmcnt(0)
	s_ashr_i32 s49, s48, 31
	v_lshrrev_b32_e32 v1, 6, v0
	s_lshl_b64 s[0:1], s[48:49], 2
	s_delay_alu instid0(SALU_CYCLE_1) | instskip(SKIP_1) | instid1(VALU_DEP_1)
	s_add_u32 s0, s4, s0
	s_addc_u32 s1, s5, s1
	v_subrev_nc_u32_e32 v1, s44, v1
	s_load_b64 s[0:1], s[0:1], 0x0
	s_waitcnt lgkmcnt(0)
	s_delay_alu instid0(VALU_DEP_1) | instskip(SKIP_2) | instid1(VALU_DEP_1)
	v_add_nc_u32_e32 v1, s0, v1
	s_sub_i32 s0, s1, s44
	s_mov_b32 s1, exec_lo
	v_cmpx_gt_i32_e64 s0, v1
	s_cbranch_execz .LBB16_27
; %bb.10:
	v_and_b32_e32 v2, 63, v0
	s_mov_b32 s2, 0
	s_delay_alu instid0(VALU_DEP_1)
	v_subrev_nc_u32_e32 v9, s45, v2
	s_branch .LBB16_12
.LBB16_11:                              ;   in Loop: Header=BB16_12 Depth=1
	s_or_b32 exec_lo, exec_lo, s3
	v_add_nc_u32_e32 v1, 16, v1
	s_delay_alu instid0(VALU_DEP_1) | instskip(SKIP_1) | instid1(SALU_CYCLE_1)
	v_cmp_le_i32_e32 vcc_lo, s0, v1
	s_or_b32 s2, vcc_lo, s2
	s_and_not1_b32 exec_lo, exec_lo, s2
	s_cbranch_execz .LBB16_27
.LBB16_12:                              ; =>This Loop Header: Depth=1
                                        ;     Child Loop BB16_15 Depth 2
                                        ;       Child Loop BB16_17 Depth 3
	v_ashrrev_i32_e32 v2, 31, v1
	s_mov_b32 s3, exec_lo
	s_delay_alu instid0(VALU_DEP_1) | instskip(NEXT) | instid1(VALU_DEP_1)
	v_lshlrev_b64 v[3:4], 2, v[1:2]
	v_add_co_u32 v10, vcc_lo, s6, v3
	s_delay_alu instid0(VALU_DEP_2) | instskip(SKIP_3) | instid1(VALU_DEP_1)
	v_add_co_ci_u32_e32 v11, vcc_lo, s7, v4, vcc_lo
	global_load_b32 v2, v[10:11], off
	s_waitcnt vmcnt(0)
	v_subrev_nc_u32_e32 v10, s44, v2
	v_ashrrev_i32_e32 v11, 31, v10
	s_delay_alu instid0(VALU_DEP_1) | instskip(NEXT) | instid1(VALU_DEP_1)
	v_lshlrev_b64 v[10:11], 2, v[10:11]
	v_add_co_u32 v10, vcc_lo, s10, v10
	s_delay_alu instid0(VALU_DEP_2) | instskip(SKIP_4) | instid1(VALU_DEP_1)
	v_add_co_ci_u32_e32 v11, vcc_lo, s11, v11, vcc_lo
	global_load_b64 v[11:12], v[10:11], off
	s_waitcnt vmcnt(0)
	v_subrev_nc_u32_e32 v10, s45, v12
	v_add_nc_u32_e32 v2, v11, v9
	v_cmpx_lt_i32_e64 v2, v10
	s_cbranch_execz .LBB16_11
; %bb.13:                               ;   in Loop: Header=BB16_12 Depth=1
	v_add_co_u32 v3, vcc_lo, s8, v3
	v_add_co_ci_u32_e32 v4, vcc_lo, s9, v4, vcc_lo
	s_mov_b32 s4, 0
	global_load_b32 v3, v[3:4], off
	s_waitcnt vmcnt(0)
	v_mul_f32_e32 v4, v8, v3
	s_branch .LBB16_15
.LBB16_14:                              ;   in Loop: Header=BB16_15 Depth=2
	s_or_b32 exec_lo, exec_lo, s5
	v_add_nc_u32_e32 v2, 64, v2
	s_delay_alu instid0(VALU_DEP_1) | instskip(SKIP_1) | instid1(SALU_CYCLE_1)
	v_cmp_ge_i32_e32 vcc_lo, v2, v10
	s_or_b32 s4, vcc_lo, s4
	s_and_not1_b32 exec_lo, exec_lo, s4
	s_cbranch_execz .LBB16_11
.LBB16_15:                              ;   Parent Loop BB16_12 Depth=1
                                        ; =>  This Loop Header: Depth=2
                                        ;       Child Loop BB16_17 Depth 3
	v_ashrrev_i32_e32 v3, 31, v2
	s_mov_b32 s5, 0
	s_delay_alu instid0(VALU_DEP_1) | instskip(NEXT) | instid1(VALU_DEP_1)
	v_lshlrev_b64 v[11:12], 2, v[2:3]
	v_add_co_u32 v13, vcc_lo, s16, v11
	s_delay_alu instid0(VALU_DEP_2)
	v_add_co_ci_u32_e32 v14, vcc_lo, s17, v12, vcc_lo
	v_add_co_u32 v11, vcc_lo, s18, v11
	v_add_co_ci_u32_e32 v12, vcc_lo, s19, v12, vcc_lo
	global_load_b32 v3, v[13:14], off
	global_load_b32 v11, v[11:12], off
	s_waitcnt vmcnt(1)
	v_subrev_nc_u32_e32 v3, s45, v3
	s_delay_alu instid0(VALU_DEP_1) | instskip(SKIP_1) | instid1(VALU_DEP_1)
	v_mul_lo_u32 v12, 0x89, v3
	s_waitcnt vmcnt(0)
	v_dual_mul_f32 v11, v4, v11 :: v_dual_and_b32 v12, 0x7fff, v12
	s_branch .LBB16_17
.LBB16_16:                              ;   in Loop: Header=BB16_17 Depth=3
	s_or_b32 exec_lo, exec_lo, s13
	s_xor_b32 s13, s14, -1
	s_delay_alu instid0(SALU_CYCLE_1) | instskip(NEXT) | instid1(SALU_CYCLE_1)
	s_and_b32 s13, exec_lo, s13
	s_or_b32 s5, s13, s5
	s_delay_alu instid0(SALU_CYCLE_1)
	s_and_not1_b32 exec_lo, exec_lo, s5
	s_cbranch_execz .LBB16_14
.LBB16_17:                              ;   Parent Loop BB16_12 Depth=1
                                        ;     Parent Loop BB16_15 Depth=2
                                        ; =>    This Inner Loop Header: Depth=3
	s_delay_alu instid0(VALU_DEP_1)
	v_lshl_add_u32 v13, v12, 2, 0
	s_mov_b32 s13, exec_lo
                                        ; implicit-def: $sgpr14
	ds_load_b32 v14, v13
	s_waitcnt lgkmcnt(0)
	v_cmpx_ne_u32_e64 v14, v3
	s_xor_b32 s13, exec_lo, s13
	s_cbranch_execz .LBB16_25
; %bb.18:                               ;   in Loop: Header=BB16_17 Depth=3
	s_mov_b32 s15, exec_lo
                                        ; implicit-def: $sgpr14
	v_cmpx_ne_u32_e64 s33, v14
	s_xor_b32 s15, exec_lo, s15
; %bb.19:                               ;   in Loop: Header=BB16_17 Depth=3
	v_add_nc_u32_e32 v12, 1, v12
	s_mov_b32 s14, -1
                                        ; implicit-def: $vgpr13
	s_delay_alu instid0(VALU_DEP_1)
	v_and_b32_e32 v12, 0x7fff, v12
; %bb.20:                               ;   in Loop: Header=BB16_17 Depth=3
	s_and_not1_saveexec_b32 s15, s15
	s_cbranch_execz .LBB16_24
; %bb.21:                               ;   in Loop: Header=BB16_17 Depth=3
	v_mov_b32_e32 v14, s33
	s_mov_b32 s20, -1
	s_mov_b32 s21, exec_lo
	ds_cmpstore_rtn_b32 v13, v13, v3, v14
	s_waitcnt lgkmcnt(0)
	v_cmpx_eq_u32_e64 s33, v13
	s_cbranch_execz .LBB16_23
; %bb.22:                               ;   in Loop: Header=BB16_17 Depth=3
	v_lshlrev_b32_e32 v13, 2, v12
	s_xor_b32 s20, exec_lo, -1
	s_delay_alu instid0(VALU_DEP_1)
	v_add3_u32 v13, 0, v13, 0x20000
	ds_add_f32 v13, v11
.LBB16_23:                              ;   in Loop: Header=BB16_17 Depth=3
	s_or_b32 exec_lo, exec_lo, s21
	s_delay_alu instid0(SALU_CYCLE_1) | instskip(SKIP_1) | instid1(SALU_CYCLE_1)
	s_and_not1_b32 s14, s14, exec_lo
	s_and_b32 s20, s20, exec_lo
	s_or_b32 s14, s14, s20
.LBB16_24:                              ;   in Loop: Header=BB16_17 Depth=3
	s_or_b32 exec_lo, exec_lo, s15
	s_delay_alu instid0(SALU_CYCLE_1)
	s_and_b32 s14, s14, exec_lo
.LBB16_25:                              ;   in Loop: Header=BB16_17 Depth=3
	s_and_not1_saveexec_b32 s13, s13
	s_cbranch_execz .LBB16_16
; %bb.26:                               ;   in Loop: Header=BB16_17 Depth=3
	v_lshlrev_b32_e32 v13, 2, v12
	s_and_not1_b32 s14, s14, exec_lo
	s_delay_alu instid0(VALU_DEP_1)
	v_add3_u32 v13, 0, v13, 0x20000
	ds_add_f32 v13, v11
	s_branch .LBB16_16
.LBB16_27:
	s_or_b32 exec_lo, exec_lo, s1
.LBB16_28:
	s_delay_alu instid0(SALU_CYCLE_1)
	s_and_not1_b32 vcc_lo, exec_lo, s12
	s_cbranch_vccnz .LBB16_45
; %bb.29:
	s_waitcnt lgkmcnt(0)
	s_ashr_i32 s49, s48, 31
	v_subrev_nc_u32_e32 v1, s47, v0
	s_lshl_b64 s[0:1], s[48:49], 2
	s_delay_alu instid0(SALU_CYCLE_1)
	s_add_u32 s0, s36, s0
	s_addc_u32 s1, s37, s1
	s_load_b64 s[0:1], s[0:1], 0x0
	s_waitcnt lgkmcnt(0)
	v_add_nc_u32_e32 v1, s0, v1
	s_sub_i32 s0, s1, s47
	s_mov_b32 s1, exec_lo
	s_delay_alu instid0(VALU_DEP_1)
	v_cmpx_gt_i32_e64 s0, v1
	s_cbranch_execz .LBB16_44
; %bb.30:
	s_mov_b32 s2, 0
	s_branch .LBB16_32
.LBB16_31:                              ;   in Loop: Header=BB16_32 Depth=1
	s_or_b32 exec_lo, exec_lo, s3
	v_add_nc_u32_e32 v1, 0x400, v1
	s_delay_alu instid0(VALU_DEP_1) | instskip(SKIP_1) | instid1(SALU_CYCLE_1)
	v_cmp_le_i32_e32 vcc_lo, s0, v1
	s_or_b32 s2, vcc_lo, s2
	s_and_not1_b32 exec_lo, exec_lo, s2
	s_cbranch_execz .LBB16_44
.LBB16_32:                              ; =>This Loop Header: Depth=1
                                        ;     Child Loop BB16_34 Depth 2
	v_ashrrev_i32_e32 v2, 31, v1
	s_mov_b32 s3, 0
	s_delay_alu instid0(VALU_DEP_1) | instskip(NEXT) | instid1(VALU_DEP_1)
	v_lshlrev_b64 v[2:3], 2, v[1:2]
	v_add_co_u32 v8, vcc_lo, s38, v2
	s_delay_alu instid0(VALU_DEP_2)
	v_add_co_ci_u32_e32 v9, vcc_lo, s39, v3, vcc_lo
	v_add_co_u32 v2, vcc_lo, s40, v2
	v_add_co_ci_u32_e32 v3, vcc_lo, s41, v3, vcc_lo
	global_load_b32 v4, v[8:9], off
	global_load_b32 v3, v[2:3], off
	s_waitcnt vmcnt(1)
	v_subrev_nc_u32_e32 v2, s47, v4
	s_delay_alu instid0(VALU_DEP_1) | instskip(SKIP_1) | instid1(VALU_DEP_1)
	v_mul_lo_u32 v4, 0x89, v2
	s_waitcnt vmcnt(0)
	v_dual_mul_f32 v3, v7, v3 :: v_dual_and_b32 v4, 0x7fff, v4
	s_branch .LBB16_34
.LBB16_33:                              ;   in Loop: Header=BB16_34 Depth=2
	s_or_b32 exec_lo, exec_lo, s4
	s_xor_b32 s4, s5, -1
	s_delay_alu instid0(SALU_CYCLE_1) | instskip(NEXT) | instid1(SALU_CYCLE_1)
	s_and_b32 s4, exec_lo, s4
	s_or_b32 s3, s4, s3
	s_delay_alu instid0(SALU_CYCLE_1)
	s_and_not1_b32 exec_lo, exec_lo, s3
	s_cbranch_execz .LBB16_31
.LBB16_34:                              ;   Parent Loop BB16_32 Depth=1
                                        ; =>  This Inner Loop Header: Depth=2
	s_delay_alu instid0(VALU_DEP_1)
	v_lshl_add_u32 v8, v4, 2, 0
	s_mov_b32 s4, exec_lo
                                        ; implicit-def: $sgpr5
	ds_load_b32 v9, v8
	s_waitcnt lgkmcnt(0)
	v_cmpx_ne_u32_e64 v9, v2
	s_xor_b32 s4, exec_lo, s4
	s_cbranch_execz .LBB16_42
; %bb.35:                               ;   in Loop: Header=BB16_34 Depth=2
	s_mov_b32 s6, exec_lo
                                        ; implicit-def: $sgpr5
	v_cmpx_ne_u32_e64 s33, v9
	s_xor_b32 s6, exec_lo, s6
; %bb.36:                               ;   in Loop: Header=BB16_34 Depth=2
	v_add_nc_u32_e32 v4, 1, v4
	s_mov_b32 s5, -1
                                        ; implicit-def: $vgpr8
	s_delay_alu instid0(VALU_DEP_1)
	v_and_b32_e32 v4, 0x7fff, v4
; %bb.37:                               ;   in Loop: Header=BB16_34 Depth=2
	s_and_not1_saveexec_b32 s6, s6
	s_cbranch_execz .LBB16_41
; %bb.38:                               ;   in Loop: Header=BB16_34 Depth=2
	v_mov_b32_e32 v9, s33
	s_mov_b32 s7, -1
	s_mov_b32 s8, exec_lo
	ds_cmpstore_rtn_b32 v8, v8, v2, v9
	s_waitcnt lgkmcnt(0)
	v_cmpx_eq_u32_e64 s33, v8
	s_cbranch_execz .LBB16_40
; %bb.39:                               ;   in Loop: Header=BB16_34 Depth=2
	v_lshlrev_b32_e32 v8, 2, v4
	s_xor_b32 s7, exec_lo, -1
	s_delay_alu instid0(VALU_DEP_1)
	v_add3_u32 v8, 0, v8, 0x20000
	ds_add_f32 v8, v3
.LBB16_40:                              ;   in Loop: Header=BB16_34 Depth=2
	s_or_b32 exec_lo, exec_lo, s8
	s_delay_alu instid0(SALU_CYCLE_1) | instskip(SKIP_1) | instid1(SALU_CYCLE_1)
	s_and_not1_b32 s5, s5, exec_lo
	s_and_b32 s7, s7, exec_lo
	s_or_b32 s5, s5, s7
.LBB16_41:                              ;   in Loop: Header=BB16_34 Depth=2
	s_or_b32 exec_lo, exec_lo, s6
	s_delay_alu instid0(SALU_CYCLE_1)
	s_and_b32 s5, s5, exec_lo
.LBB16_42:                              ;   in Loop: Header=BB16_34 Depth=2
	s_and_not1_saveexec_b32 s4, s4
	s_cbranch_execz .LBB16_33
; %bb.43:                               ;   in Loop: Header=BB16_34 Depth=2
	v_lshlrev_b32_e32 v8, 2, v4
	s_and_not1_b32 s5, s5, exec_lo
	s_delay_alu instid0(VALU_DEP_1)
	v_add3_u32 v8, 0, v8, 0x20000
	ds_add_f32 v8, v3
	s_branch .LBB16_33
.LBB16_44:
	s_or_b32 exec_lo, exec_lo, s1
.LBB16_45:
	v_mbcnt_lo_u32_b32 v1, -1, 0
	v_lshrrev_b32_e32 v2, 3, v0
	s_add_i32 s68, 0, 0x4007c
	v_cmp_eq_u32_e32 vcc_lo, 0x3ff, v0
	v_cmp_lt_u32_e64 s0, 31, v0
	v_xor_b32_e32 v1, 63, v1
	v_dual_mov_b32 v4, s68 :: v_dual_and_b32 v3, 0x7c, v2
	v_cmp_lt_u32_e64 s1, 63, v0
	v_cmp_lt_u32_e64 s2, 0x5f, v0
	s_delay_alu instid0(VALU_DEP_4) | instskip(NEXT) | instid1(VALU_DEP_4)
	v_lshrrev_b64 v[1:2], v1, -1
	v_add3_u32 v2, 0, 0x40000, v3
	v_cmp_lt_u32_e64 s3, 0x7f, v0
	v_cmp_lt_u32_e64 s4, 0x9f, v0
	;; [unrolled: 1-line block ×28, first 2 shown]
	v_mov_b32_e32 v3, 0
	s_mov_b32 s36, 0
	s_add_i32 s37, 0, 0x40000
	s_add_i32 s38, 0, 0x40004
	;; [unrolled: 1-line block ×31, first 2 shown]
	s_waitcnt lgkmcnt(0)
	s_barrier
	buffer_gl0_inv
	s_branch .LBB16_47
.LBB16_46:                              ;   in Loop: Header=BB16_47 Depth=1
	s_or_b32 exec_lo, exec_lo, s31
	s_waitcnt lgkmcnt(0)
	s_barrier
	buffer_gl0_inv
	ds_load_b32 v7, v4
	v_add_nc_u32_e32 v6, 0x400, v6
	v_add_nc_u32_e32 v5, 0x1000, v5
	s_delay_alu instid0(VALU_DEP_2) | instskip(NEXT) | instid1(VALU_DEP_1)
	v_cmp_lt_u32_e64 s31, 0x7bff, v6
	s_or_b32 s36, s31, s36
	s_waitcnt lgkmcnt(0)
	v_add_nc_u32_e32 v3, v7, v3
	s_and_not1_b32 exec_lo, exec_lo, s36
	s_cbranch_execz .LBB16_113
.LBB16_47:                              ; =>This Inner Loop Header: Depth=1
	ds_load_b32 v7, v5
	v_add_nc_u32_e32 v8, 0x20000, v5
	ds_load_b32 v8, v8
	s_waitcnt lgkmcnt(0)
	s_barrier
	buffer_gl0_inv
	v_cmp_gt_i32_e64 s31, s33, v7
	s_delay_alu instid0(VALU_DEP_1) | instskip(NEXT) | instid1(SALU_CYCLE_1)
	s_bcnt1_i32_b32 s73, s31
	v_dual_mov_b32 v10, s73 :: v_dual_and_b32 v9, s31, v1
	s_delay_alu instid0(VALU_DEP_1)
	v_bcnt_u32_b32 v9, v9, 0
	ds_store_b32 v2, v10
	s_waitcnt lgkmcnt(0)
	s_barrier
	buffer_gl0_inv
	s_and_saveexec_b32 s73, s0
	s_cbranch_execnz .LBB16_80
; %bb.48:                               ;   in Loop: Header=BB16_47 Depth=1
	s_or_b32 exec_lo, exec_lo, s73
	s_and_saveexec_b32 s73, s1
	s_cbranch_execnz .LBB16_81
.LBB16_49:                              ;   in Loop: Header=BB16_47 Depth=1
	s_or_b32 exec_lo, exec_lo, s73
	s_and_saveexec_b32 s73, s2
	s_cbranch_execnz .LBB16_82
.LBB16_50:                              ;   in Loop: Header=BB16_47 Depth=1
	s_or_b32 exec_lo, exec_lo, s73
	s_and_saveexec_b32 s73, s3
	s_cbranch_execnz .LBB16_83
.LBB16_51:                              ;   in Loop: Header=BB16_47 Depth=1
	s_or_b32 exec_lo, exec_lo, s73
	s_and_saveexec_b32 s73, s4
	s_cbranch_execnz .LBB16_84
.LBB16_52:                              ;   in Loop: Header=BB16_47 Depth=1
	s_or_b32 exec_lo, exec_lo, s73
	s_and_saveexec_b32 s73, s5
	s_cbranch_execnz .LBB16_85
.LBB16_53:                              ;   in Loop: Header=BB16_47 Depth=1
	s_or_b32 exec_lo, exec_lo, s73
	s_and_saveexec_b32 s73, s6
	s_cbranch_execnz .LBB16_86
.LBB16_54:                              ;   in Loop: Header=BB16_47 Depth=1
	s_or_b32 exec_lo, exec_lo, s73
	s_and_saveexec_b32 s73, s7
	s_cbranch_execnz .LBB16_87
.LBB16_55:                              ;   in Loop: Header=BB16_47 Depth=1
	s_or_b32 exec_lo, exec_lo, s73
	s_and_saveexec_b32 s73, s8
	s_cbranch_execnz .LBB16_88
.LBB16_56:                              ;   in Loop: Header=BB16_47 Depth=1
	s_or_b32 exec_lo, exec_lo, s73
	s_and_saveexec_b32 s73, s9
	s_cbranch_execnz .LBB16_89
.LBB16_57:                              ;   in Loop: Header=BB16_47 Depth=1
	s_or_b32 exec_lo, exec_lo, s73
	s_and_saveexec_b32 s73, s10
	s_cbranch_execnz .LBB16_90
.LBB16_58:                              ;   in Loop: Header=BB16_47 Depth=1
	s_or_b32 exec_lo, exec_lo, s73
	s_and_saveexec_b32 s73, s11
	s_cbranch_execnz .LBB16_91
.LBB16_59:                              ;   in Loop: Header=BB16_47 Depth=1
	s_or_b32 exec_lo, exec_lo, s73
	s_and_saveexec_b32 s73, s12
	s_cbranch_execnz .LBB16_92
.LBB16_60:                              ;   in Loop: Header=BB16_47 Depth=1
	s_or_b32 exec_lo, exec_lo, s73
	s_and_saveexec_b32 s73, s13
	s_cbranch_execnz .LBB16_93
.LBB16_61:                              ;   in Loop: Header=BB16_47 Depth=1
	s_or_b32 exec_lo, exec_lo, s73
	s_and_saveexec_b32 s73, s14
	s_cbranch_execnz .LBB16_94
.LBB16_62:                              ;   in Loop: Header=BB16_47 Depth=1
	s_or_b32 exec_lo, exec_lo, s73
	s_and_saveexec_b32 s73, s15
	s_cbranch_execnz .LBB16_95
.LBB16_63:                              ;   in Loop: Header=BB16_47 Depth=1
	s_or_b32 exec_lo, exec_lo, s73
	s_and_saveexec_b32 s73, s16
	s_cbranch_execnz .LBB16_96
.LBB16_64:                              ;   in Loop: Header=BB16_47 Depth=1
	s_or_b32 exec_lo, exec_lo, s73
	s_and_saveexec_b32 s73, s17
	s_cbranch_execnz .LBB16_97
.LBB16_65:                              ;   in Loop: Header=BB16_47 Depth=1
	s_or_b32 exec_lo, exec_lo, s73
	s_and_saveexec_b32 s73, s18
	s_cbranch_execnz .LBB16_98
.LBB16_66:                              ;   in Loop: Header=BB16_47 Depth=1
	s_or_b32 exec_lo, exec_lo, s73
	s_and_saveexec_b32 s73, s19
	s_cbranch_execnz .LBB16_99
.LBB16_67:                              ;   in Loop: Header=BB16_47 Depth=1
	s_or_b32 exec_lo, exec_lo, s73
	s_and_saveexec_b32 s73, s20
	s_cbranch_execnz .LBB16_100
.LBB16_68:                              ;   in Loop: Header=BB16_47 Depth=1
	s_or_b32 exec_lo, exec_lo, s73
	s_and_saveexec_b32 s73, s21
	s_cbranch_execnz .LBB16_101
.LBB16_69:                              ;   in Loop: Header=BB16_47 Depth=1
	s_or_b32 exec_lo, exec_lo, s73
	s_and_saveexec_b32 s73, s22
	s_cbranch_execnz .LBB16_102
.LBB16_70:                              ;   in Loop: Header=BB16_47 Depth=1
	s_or_b32 exec_lo, exec_lo, s73
	s_and_saveexec_b32 s73, s23
	s_cbranch_execnz .LBB16_103
.LBB16_71:                              ;   in Loop: Header=BB16_47 Depth=1
	s_or_b32 exec_lo, exec_lo, s73
	s_and_saveexec_b32 s73, s24
	s_cbranch_execnz .LBB16_104
.LBB16_72:                              ;   in Loop: Header=BB16_47 Depth=1
	s_or_b32 exec_lo, exec_lo, s73
	s_and_saveexec_b32 s73, s25
	s_cbranch_execnz .LBB16_105
.LBB16_73:                              ;   in Loop: Header=BB16_47 Depth=1
	s_or_b32 exec_lo, exec_lo, s73
	s_and_saveexec_b32 s73, s26
	s_cbranch_execnz .LBB16_106
.LBB16_74:                              ;   in Loop: Header=BB16_47 Depth=1
	s_or_b32 exec_lo, exec_lo, s73
	s_and_saveexec_b32 s73, s27
	s_cbranch_execnz .LBB16_107
.LBB16_75:                              ;   in Loop: Header=BB16_47 Depth=1
	s_or_b32 exec_lo, exec_lo, s73
	s_and_saveexec_b32 s73, s28
	s_cbranch_execnz .LBB16_108
.LBB16_76:                              ;   in Loop: Header=BB16_47 Depth=1
	s_or_b32 exec_lo, exec_lo, s73
	s_and_saveexec_b32 s73, s29
	s_cbranch_execnz .LBB16_109
.LBB16_77:                              ;   in Loop: Header=BB16_47 Depth=1
	s_or_b32 exec_lo, exec_lo, s73
	s_and_saveexec_b32 s73, s30
	s_cbranch_execnz .LBB16_110
.LBB16_78:                              ;   in Loop: Header=BB16_47 Depth=1
	s_or_b32 exec_lo, exec_lo, s73
	s_and_saveexec_b32 s73, s31
	s_cbranch_execnz .LBB16_111
.LBB16_79:                              ;   in Loop: Header=BB16_47 Depth=1
	s_or_b32 exec_lo, exec_lo, s73
	s_and_saveexec_b32 s31, vcc_lo
	s_cbranch_execz .LBB16_46
	s_branch .LBB16_112
.LBB16_80:                              ;   in Loop: Header=BB16_47 Depth=1
	v_mov_b32_e32 v10, s37
	ds_load_b32 v10, v10
	s_waitcnt lgkmcnt(0)
	v_add_nc_u32_e32 v9, v10, v9
	s_or_b32 exec_lo, exec_lo, s73
	s_and_saveexec_b32 s73, s1
	s_cbranch_execz .LBB16_49
.LBB16_81:                              ;   in Loop: Header=BB16_47 Depth=1
	v_mov_b32_e32 v10, s38
	ds_load_b32 v10, v10
	s_waitcnt lgkmcnt(0)
	v_add_nc_u32_e32 v9, v10, v9
	s_or_b32 exec_lo, exec_lo, s73
	s_and_saveexec_b32 s73, s2
	s_cbranch_execz .LBB16_50
.LBB16_82:                              ;   in Loop: Header=BB16_47 Depth=1
	v_mov_b32_e32 v10, s39
	ds_load_b32 v10, v10
	s_waitcnt lgkmcnt(0)
	v_add_nc_u32_e32 v9, v10, v9
	s_or_b32 exec_lo, exec_lo, s73
	s_and_saveexec_b32 s73, s3
	s_cbranch_execz .LBB16_51
.LBB16_83:                              ;   in Loop: Header=BB16_47 Depth=1
	v_mov_b32_e32 v10, s40
	ds_load_b32 v10, v10
	s_waitcnt lgkmcnt(0)
	v_add_nc_u32_e32 v9, v10, v9
	s_or_b32 exec_lo, exec_lo, s73
	s_and_saveexec_b32 s73, s4
	s_cbranch_execz .LBB16_52
.LBB16_84:                              ;   in Loop: Header=BB16_47 Depth=1
	v_mov_b32_e32 v10, s41
	ds_load_b32 v10, v10
	s_waitcnt lgkmcnt(0)
	v_add_nc_u32_e32 v9, v10, v9
	s_or_b32 exec_lo, exec_lo, s73
	s_and_saveexec_b32 s73, s5
	s_cbranch_execz .LBB16_53
.LBB16_85:                              ;   in Loop: Header=BB16_47 Depth=1
	v_mov_b32_e32 v10, s44
	ds_load_b32 v10, v10
	s_waitcnt lgkmcnt(0)
	v_add_nc_u32_e32 v9, v10, v9
	s_or_b32 exec_lo, exec_lo, s73
	s_and_saveexec_b32 s73, s6
	s_cbranch_execz .LBB16_54
.LBB16_86:                              ;   in Loop: Header=BB16_47 Depth=1
	v_mov_b32_e32 v10, s45
	ds_load_b32 v10, v10
	s_waitcnt lgkmcnt(0)
	v_add_nc_u32_e32 v9, v10, v9
	s_or_b32 exec_lo, exec_lo, s73
	s_and_saveexec_b32 s73, s7
	s_cbranch_execz .LBB16_55
.LBB16_87:                              ;   in Loop: Header=BB16_47 Depth=1
	v_mov_b32_e32 v10, s47
	ds_load_b32 v10, v10
	s_waitcnt lgkmcnt(0)
	v_add_nc_u32_e32 v9, v10, v9
	s_or_b32 exec_lo, exec_lo, s73
	s_and_saveexec_b32 s73, s8
	s_cbranch_execz .LBB16_56
.LBB16_88:                              ;   in Loop: Header=BB16_47 Depth=1
	v_mov_b32_e32 v10, s49
	ds_load_b32 v10, v10
	s_waitcnt lgkmcnt(0)
	v_add_nc_u32_e32 v9, v10, v9
	s_or_b32 exec_lo, exec_lo, s73
	s_and_saveexec_b32 s73, s9
	s_cbranch_execz .LBB16_57
.LBB16_89:                              ;   in Loop: Header=BB16_47 Depth=1
	v_mov_b32_e32 v10, s50
	ds_load_b32 v10, v10
	s_waitcnt lgkmcnt(0)
	v_add_nc_u32_e32 v9, v10, v9
	s_or_b32 exec_lo, exec_lo, s73
	s_and_saveexec_b32 s73, s10
	s_cbranch_execz .LBB16_58
.LBB16_90:                              ;   in Loop: Header=BB16_47 Depth=1
	v_mov_b32_e32 v10, s51
	ds_load_b32 v10, v10
	s_waitcnt lgkmcnt(0)
	v_add_nc_u32_e32 v9, v10, v9
	s_or_b32 exec_lo, exec_lo, s73
	s_and_saveexec_b32 s73, s11
	s_cbranch_execz .LBB16_59
.LBB16_91:                              ;   in Loop: Header=BB16_47 Depth=1
	v_mov_b32_e32 v10, s52
	ds_load_b32 v10, v10
	s_waitcnt lgkmcnt(0)
	v_add_nc_u32_e32 v9, v10, v9
	s_or_b32 exec_lo, exec_lo, s73
	s_and_saveexec_b32 s73, s12
	s_cbranch_execz .LBB16_60
.LBB16_92:                              ;   in Loop: Header=BB16_47 Depth=1
	v_mov_b32_e32 v10, s53
	ds_load_b32 v10, v10
	s_waitcnt lgkmcnt(0)
	v_add_nc_u32_e32 v9, v10, v9
	s_or_b32 exec_lo, exec_lo, s73
	s_and_saveexec_b32 s73, s13
	s_cbranch_execz .LBB16_61
.LBB16_93:                              ;   in Loop: Header=BB16_47 Depth=1
	v_mov_b32_e32 v10, s54
	ds_load_b32 v10, v10
	s_waitcnt lgkmcnt(0)
	v_add_nc_u32_e32 v9, v10, v9
	s_or_b32 exec_lo, exec_lo, s73
	s_and_saveexec_b32 s73, s14
	s_cbranch_execz .LBB16_62
.LBB16_94:                              ;   in Loop: Header=BB16_47 Depth=1
	v_mov_b32_e32 v10, s55
	ds_load_b32 v10, v10
	s_waitcnt lgkmcnt(0)
	v_add_nc_u32_e32 v9, v10, v9
	s_or_b32 exec_lo, exec_lo, s73
	s_and_saveexec_b32 s73, s15
	s_cbranch_execz .LBB16_63
.LBB16_95:                              ;   in Loop: Header=BB16_47 Depth=1
	v_mov_b32_e32 v10, s56
	ds_load_b32 v10, v10
	s_waitcnt lgkmcnt(0)
	v_add_nc_u32_e32 v9, v10, v9
	s_or_b32 exec_lo, exec_lo, s73
	s_and_saveexec_b32 s73, s16
	s_cbranch_execz .LBB16_64
.LBB16_96:                              ;   in Loop: Header=BB16_47 Depth=1
	v_mov_b32_e32 v10, s57
	ds_load_b32 v10, v10
	s_waitcnt lgkmcnt(0)
	v_add_nc_u32_e32 v9, v10, v9
	s_or_b32 exec_lo, exec_lo, s73
	s_and_saveexec_b32 s73, s17
	s_cbranch_execz .LBB16_65
.LBB16_97:                              ;   in Loop: Header=BB16_47 Depth=1
	v_mov_b32_e32 v10, s58
	ds_load_b32 v10, v10
	s_waitcnt lgkmcnt(0)
	v_add_nc_u32_e32 v9, v10, v9
	s_or_b32 exec_lo, exec_lo, s73
	s_and_saveexec_b32 s73, s18
	s_cbranch_execz .LBB16_66
.LBB16_98:                              ;   in Loop: Header=BB16_47 Depth=1
	v_mov_b32_e32 v10, s59
	ds_load_b32 v10, v10
	s_waitcnt lgkmcnt(0)
	v_add_nc_u32_e32 v9, v10, v9
	s_or_b32 exec_lo, exec_lo, s73
	s_and_saveexec_b32 s73, s19
	s_cbranch_execz .LBB16_67
.LBB16_99:                              ;   in Loop: Header=BB16_47 Depth=1
	v_mov_b32_e32 v10, s60
	ds_load_b32 v10, v10
	s_waitcnt lgkmcnt(0)
	v_add_nc_u32_e32 v9, v10, v9
	s_or_b32 exec_lo, exec_lo, s73
	s_and_saveexec_b32 s73, s20
	s_cbranch_execz .LBB16_68
.LBB16_100:                             ;   in Loop: Header=BB16_47 Depth=1
	v_mov_b32_e32 v10, s61
	ds_load_b32 v10, v10
	s_waitcnt lgkmcnt(0)
	v_add_nc_u32_e32 v9, v10, v9
	s_or_b32 exec_lo, exec_lo, s73
	s_and_saveexec_b32 s73, s21
	s_cbranch_execz .LBB16_69
.LBB16_101:                             ;   in Loop: Header=BB16_47 Depth=1
	v_mov_b32_e32 v10, s62
	ds_load_b32 v10, v10
	s_waitcnt lgkmcnt(0)
	v_add_nc_u32_e32 v9, v10, v9
	s_or_b32 exec_lo, exec_lo, s73
	s_and_saveexec_b32 s73, s22
	s_cbranch_execz .LBB16_70
.LBB16_102:                             ;   in Loop: Header=BB16_47 Depth=1
	v_mov_b32_e32 v10, s63
	ds_load_b32 v10, v10
	s_waitcnt lgkmcnt(0)
	v_add_nc_u32_e32 v9, v10, v9
	s_or_b32 exec_lo, exec_lo, s73
	s_and_saveexec_b32 s73, s23
	s_cbranch_execz .LBB16_71
.LBB16_103:                             ;   in Loop: Header=BB16_47 Depth=1
	v_mov_b32_e32 v10, s64
	ds_load_b32 v10, v10
	s_waitcnt lgkmcnt(0)
	v_add_nc_u32_e32 v9, v10, v9
	s_or_b32 exec_lo, exec_lo, s73
	s_and_saveexec_b32 s73, s24
	s_cbranch_execz .LBB16_72
.LBB16_104:                             ;   in Loop: Header=BB16_47 Depth=1
	v_mov_b32_e32 v10, s65
	ds_load_b32 v10, v10
	s_waitcnt lgkmcnt(0)
	v_add_nc_u32_e32 v9, v10, v9
	s_or_b32 exec_lo, exec_lo, s73
	s_and_saveexec_b32 s73, s25
	s_cbranch_execz .LBB16_73
.LBB16_105:                             ;   in Loop: Header=BB16_47 Depth=1
	v_mov_b32_e32 v10, s66
	ds_load_b32 v10, v10
	s_waitcnt lgkmcnt(0)
	v_add_nc_u32_e32 v9, v10, v9
	s_or_b32 exec_lo, exec_lo, s73
	s_and_saveexec_b32 s73, s26
	s_cbranch_execz .LBB16_74
.LBB16_106:                             ;   in Loop: Header=BB16_47 Depth=1
	v_mov_b32_e32 v10, s67
	ds_load_b32 v10, v10
	s_waitcnt lgkmcnt(0)
	v_add_nc_u32_e32 v9, v10, v9
	s_or_b32 exec_lo, exec_lo, s73
	s_and_saveexec_b32 s73, s27
	s_cbranch_execz .LBB16_75
.LBB16_107:                             ;   in Loop: Header=BB16_47 Depth=1
	v_mov_b32_e32 v10, s69
	ds_load_b32 v10, v10
	s_waitcnt lgkmcnt(0)
	v_add_nc_u32_e32 v9, v10, v9
	s_or_b32 exec_lo, exec_lo, s73
	s_and_saveexec_b32 s73, s28
	s_cbranch_execz .LBB16_76
.LBB16_108:                             ;   in Loop: Header=BB16_47 Depth=1
	v_mov_b32_e32 v10, s70
	ds_load_b32 v10, v10
	s_waitcnt lgkmcnt(0)
	v_add_nc_u32_e32 v9, v10, v9
	s_or_b32 exec_lo, exec_lo, s73
	s_and_saveexec_b32 s73, s29
	s_cbranch_execz .LBB16_77
.LBB16_109:                             ;   in Loop: Header=BB16_47 Depth=1
	v_mov_b32_e32 v10, s71
	ds_load_b32 v10, v10
	s_waitcnt lgkmcnt(0)
	v_add_nc_u32_e32 v9, v10, v9
	s_or_b32 exec_lo, exec_lo, s73
	s_and_saveexec_b32 s73, s30
	s_cbranch_execz .LBB16_78
.LBB16_110:                             ;   in Loop: Header=BB16_47 Depth=1
	v_mov_b32_e32 v10, s72
	ds_load_b32 v10, v10
	s_waitcnt lgkmcnt(0)
	v_add_nc_u32_e32 v9, v10, v9
	s_or_b32 exec_lo, exec_lo, s73
	s_and_saveexec_b32 s73, s31
	s_cbranch_execz .LBB16_79
.LBB16_111:                             ;   in Loop: Header=BB16_47 Depth=1
	s_delay_alu instid0(VALU_DEP_1) | instskip(NEXT) | instid1(VALU_DEP_1)
	v_add3_u32 v10, v3, -1, v9
	v_lshl_add_u32 v10, v10, 2, 0
	s_delay_alu instid0(VALU_DEP_1)
	v_add_nc_u32_e32 v11, 0x20000, v10
	ds_store_b32 v10, v7
	ds_store_b32 v11, v8
	s_or_b32 exec_lo, exec_lo, s73
	s_and_saveexec_b32 s31, vcc_lo
	s_cbranch_execz .LBB16_46
.LBB16_112:                             ;   in Loop: Header=BB16_47 Depth=1
	v_mov_b32_e32 v7, s68
	ds_store_b32 v7, v9
	s_branch .LBB16_46
.LBB16_113:
	s_or_b32 exec_lo, exec_lo, s36
	s_ashr_i32 s49, s48, 31
	s_mov_b32 s3, exec_lo
	s_lshl_b64 s[0:1], s[48:49], 2
	s_delay_alu instid0(SALU_CYCLE_1) | instskip(SKIP_4) | instid1(SALU_CYCLE_1)
	s_add_u32 s0, s42, s0
	s_addc_u32 s1, s43, s1
	s_load_b64 s[0:1], s[0:1], 0x0
	s_waitcnt lgkmcnt(0)
	s_sub_i32 s2, s1, s0
	v_cmpx_gt_i32_e64 s2, v0
	s_cbranch_execz .LBB16_123
; %bb.114:
	s_sub_i32 s3, s0, s46
	s_sub_i32 s0, s0, s1
	s_and_b32 s1, s2, 7
	s_cmp_lt_u32 s0, -7
	s_mov_b32 s7, 0
	s_cselect_b32 s4, -1, 0
	s_and_b32 s5, s2, -8
	s_cmp_lg_u32 s1, 0
	s_cselect_b32 s6, -1, 0
	s_branch .LBB16_116
.LBB16_115:                             ;   in Loop: Header=BB16_116 Depth=1
	s_waitcnt lgkmcnt(1)
	s_delay_alu instid0(VALU_DEP_1) | instskip(SKIP_1) | instid1(VALU_DEP_2)
	v_ashrrev_i32_e32 v2, 31, v1
	v_add_nc_u32_e32 v0, 0x400, v0
	v_lshlrev_b64 v[1:2], 2, v[1:2]
	s_delay_alu instid0(VALU_DEP_2) | instskip(SKIP_1) | instid1(VALU_DEP_2)
	v_cmp_le_i32_e32 vcc_lo, s2, v0
	s_or_b32 s7, vcc_lo, s7
	v_add_co_u32 v1, s0, s34, v1
	s_delay_alu instid0(VALU_DEP_1)
	v_add_co_ci_u32_e64 v2, s0, s35, v2, s0
	s_waitcnt lgkmcnt(0)
	global_store_b32 v[1:2], v3, off
	s_and_not1_b32 exec_lo, exec_lo, s7
	s_cbranch_execz .LBB16_123
.LBB16_116:                             ; =>This Loop Header: Depth=1
                                        ;     Child Loop BB16_118 Depth 2
                                        ;     Child Loop BB16_122 Depth 2
	v_lshl_add_u32 v1, v0, 2, 0
	s_and_not1_b32 vcc_lo, exec_lo, s4
	s_mov_b32 s0, 0
	s_delay_alu instid0(VALU_DEP_1)
	v_add_nc_u32_e32 v3, 0x20000, v1
	ds_load_b32 v2, v1
	ds_load_b32 v3, v3
	v_mov_b32_e32 v1, s3
	s_cbranch_vccnz .LBB16_120
; %bb.117:                              ;   in Loop: Header=BB16_116 Depth=1
	v_mov_b32_e32 v1, s3
	s_mov_b32 s8, 0
	s_set_inst_prefetch_distance 0x1
	.p2align	6
.LBB16_118:                             ;   Parent Loop BB16_116 Depth=1
                                        ; =>  This Inner Loop Header: Depth=2
	v_mov_b32_e32 v10, s8
	s_add_i32 s0, s0, 8
	s_add_i32 s8, s8, 32
	s_cmp_eq_u32 s5, s0
	ds_load_2addr_b32 v[4:5], v10 offset1:1
	ds_load_2addr_b32 v[6:7], v10 offset0:2 offset1:3
	ds_load_2addr_b32 v[8:9], v10 offset0:4 offset1:5
	;; [unrolled: 1-line block ×3, first 2 shown]
	s_waitcnt lgkmcnt(3)
	v_cmp_gt_i32_e32 vcc_lo, v2, v4
	v_cndmask_b32_e64 v4, 0, 1, vcc_lo
	s_waitcnt lgkmcnt(2)
	v_cmp_gt_i32_e32 vcc_lo, v2, v6
	v_cndmask_b32_e64 v6, 0, 1, vcc_lo
	v_cmp_gt_i32_e32 vcc_lo, v2, v5
	v_add_co_ci_u32_e32 v1, vcc_lo, v1, v4, vcc_lo
	s_waitcnt lgkmcnt(1)
	v_cmp_gt_i32_e32 vcc_lo, v2, v8
	v_cndmask_b32_e64 v4, 0, 1, vcc_lo
	v_cmp_gt_i32_e32 vcc_lo, v2, v7
	v_add_co_ci_u32_e32 v1, vcc_lo, v1, v6, vcc_lo
	;; [unrolled: 5-line block ×3, first 2 shown]
	v_cmp_gt_i32_e32 vcc_lo, v2, v11
	s_delay_alu instid0(VALU_DEP_2)
	v_add_co_ci_u32_e32 v1, vcc_lo, v1, v5, vcc_lo
	s_cbranch_scc0 .LBB16_118
; %bb.119:                              ;   in Loop: Header=BB16_116 Depth=1
	s_set_inst_prefetch_distance 0x2
	s_mov_b32 s0, s5
.LBB16_120:                             ;   in Loop: Header=BB16_116 Depth=1
	s_and_not1_b32 vcc_lo, exec_lo, s6
	s_cbranch_vccnz .LBB16_115
; %bb.121:                              ;   in Loop: Header=BB16_116 Depth=1
	s_lshl_b32 s0, s0, 2
	s_mov_b32 s8, s1
	s_add_i32 s0, s0, 0
.LBB16_122:                             ;   Parent Loop BB16_116 Depth=1
                                        ; =>  This Inner Loop Header: Depth=2
	s_delay_alu instid0(SALU_CYCLE_1)
	v_mov_b32_e32 v4, s0
	s_add_i32 s8, s8, -1
	s_add_i32 s0, s0, 4
	s_cmp_lg_u32 s8, 0
	ds_load_b32 v4, v4
	s_waitcnt lgkmcnt(0)
	v_cmp_gt_i32_e32 vcc_lo, v2, v4
	v_add_co_ci_u32_e32 v1, vcc_lo, 0, v1, vcc_lo
	s_cbranch_scc1 .LBB16_122
	s_branch .LBB16_115
.LBB16_123:
	s_nop 0
	s_sendmsg sendmsg(MSG_DEALLOC_VGPRS)
	s_endpgm
	.section	.rodata,"a",@progbits
	.p2align	6, 0x0
	.amdhsa_kernel _ZN9rocsparseL41csrgemm_numeric_fill_block_per_row_kernelILj1024ELj64ELj32768ELj137ELj32EiifEEvT5_PKS1_S3_NS_24const_host_device_scalarIT6_EEPKT4_S3_PKS5_S9_S3_SB_S6_S9_S3_SB_S9_S3_PS5_21rocsparse_index_base_SD_SD_SD_bbb
		.amdhsa_group_segment_fixed_size 0
		.amdhsa_private_segment_fixed_size 0
		.amdhsa_kernarg_size 156
		.amdhsa_user_sgpr_count 15
		.amdhsa_user_sgpr_dispatch_ptr 0
		.amdhsa_user_sgpr_queue_ptr 0
		.amdhsa_user_sgpr_kernarg_segment_ptr 1
		.amdhsa_user_sgpr_dispatch_id 0
		.amdhsa_user_sgpr_private_segment_size 0
		.amdhsa_wavefront_size32 1
		.amdhsa_uses_dynamic_stack 0
		.amdhsa_enable_private_segment 0
		.amdhsa_system_sgpr_workgroup_id_x 1
		.amdhsa_system_sgpr_workgroup_id_y 0
		.amdhsa_system_sgpr_workgroup_id_z 0
		.amdhsa_system_sgpr_workgroup_info 0
		.amdhsa_system_vgpr_workitem_id 0
		.amdhsa_next_free_vgpr 15
		.amdhsa_next_free_sgpr 74
		.amdhsa_reserve_vcc 1
		.amdhsa_float_round_mode_32 0
		.amdhsa_float_round_mode_16_64 0
		.amdhsa_float_denorm_mode_32 3
		.amdhsa_float_denorm_mode_16_64 3
		.amdhsa_dx10_clamp 1
		.amdhsa_ieee_mode 1
		.amdhsa_fp16_overflow 0
		.amdhsa_workgroup_processor_mode 1
		.amdhsa_memory_ordered 1
		.amdhsa_forward_progress 0
		.amdhsa_shared_vgpr_count 0
		.amdhsa_exception_fp_ieee_invalid_op 0
		.amdhsa_exception_fp_denorm_src 0
		.amdhsa_exception_fp_ieee_div_zero 0
		.amdhsa_exception_fp_ieee_overflow 0
		.amdhsa_exception_fp_ieee_underflow 0
		.amdhsa_exception_fp_ieee_inexact 0
		.amdhsa_exception_int_div_zero 0
	.end_amdhsa_kernel
	.section	.text._ZN9rocsparseL41csrgemm_numeric_fill_block_per_row_kernelILj1024ELj64ELj32768ELj137ELj32EiifEEvT5_PKS1_S3_NS_24const_host_device_scalarIT6_EEPKT4_S3_PKS5_S9_S3_SB_S6_S9_S3_SB_S9_S3_PS5_21rocsparse_index_base_SD_SD_SD_bbb,"axG",@progbits,_ZN9rocsparseL41csrgemm_numeric_fill_block_per_row_kernelILj1024ELj64ELj32768ELj137ELj32EiifEEvT5_PKS1_S3_NS_24const_host_device_scalarIT6_EEPKT4_S3_PKS5_S9_S3_SB_S6_S9_S3_SB_S9_S3_PS5_21rocsparse_index_base_SD_SD_SD_bbb,comdat
.Lfunc_end16:
	.size	_ZN9rocsparseL41csrgemm_numeric_fill_block_per_row_kernelILj1024ELj64ELj32768ELj137ELj32EiifEEvT5_PKS1_S3_NS_24const_host_device_scalarIT6_EEPKT4_S3_PKS5_S9_S3_SB_S6_S9_S3_SB_S9_S3_PS5_21rocsparse_index_base_SD_SD_SD_bbb, .Lfunc_end16-_ZN9rocsparseL41csrgemm_numeric_fill_block_per_row_kernelILj1024ELj64ELj32768ELj137ELj32EiifEEvT5_PKS1_S3_NS_24const_host_device_scalarIT6_EEPKT4_S3_PKS5_S9_S3_SB_S6_S9_S3_SB_S9_S3_PS5_21rocsparse_index_base_SD_SD_SD_bbb
                                        ; -- End function
	.section	.AMDGPU.csdata,"",@progbits
; Kernel info:
; codeLenInByte = 4404
; NumSgprs: 76
; NumVgprs: 15
; ScratchSize: 0
; MemoryBound: 0
; FloatMode: 240
; IeeeMode: 1
; LDSByteSize: 0 bytes/workgroup (compile time only)
; SGPRBlocks: 9
; VGPRBlocks: 1
; NumSGPRsForWavesPerEU: 76
; NumVGPRsForWavesPerEU: 15
; Occupancy: 16
; WaveLimiterHint : 1
; COMPUTE_PGM_RSRC2:SCRATCH_EN: 0
; COMPUTE_PGM_RSRC2:USER_SGPR: 15
; COMPUTE_PGM_RSRC2:TRAP_HANDLER: 0
; COMPUTE_PGM_RSRC2:TGID_X_EN: 1
; COMPUTE_PGM_RSRC2:TGID_Y_EN: 0
; COMPUTE_PGM_RSRC2:TGID_Z_EN: 0
; COMPUTE_PGM_RSRC2:TIDIG_COMP_CNT: 0
	.section	.text._ZN9rocsparseL41csrgemm_numeric_fill_block_per_row_kernelILj1024ELj64ELj32768ELj137ELj64EiifEEvT5_PKS1_S3_NS_24const_host_device_scalarIT6_EEPKT4_S3_PKS5_S9_S3_SB_S6_S9_S3_SB_S9_S3_PS5_21rocsparse_index_base_SD_SD_SD_bbb,"axG",@progbits,_ZN9rocsparseL41csrgemm_numeric_fill_block_per_row_kernelILj1024ELj64ELj32768ELj137ELj64EiifEEvT5_PKS1_S3_NS_24const_host_device_scalarIT6_EEPKT4_S3_PKS5_S9_S3_SB_S6_S9_S3_SB_S9_S3_PS5_21rocsparse_index_base_SD_SD_SD_bbb,comdat
	.globl	_ZN9rocsparseL41csrgemm_numeric_fill_block_per_row_kernelILj1024ELj64ELj32768ELj137ELj64EiifEEvT5_PKS1_S3_NS_24const_host_device_scalarIT6_EEPKT4_S3_PKS5_S9_S3_SB_S6_S9_S3_SB_S9_S3_PS5_21rocsparse_index_base_SD_SD_SD_bbb ; -- Begin function _ZN9rocsparseL41csrgemm_numeric_fill_block_per_row_kernelILj1024ELj64ELj32768ELj137ELj64EiifEEvT5_PKS1_S3_NS_24const_host_device_scalarIT6_EEPKT4_S3_PKS5_S9_S3_SB_S6_S9_S3_SB_S9_S3_PS5_21rocsparse_index_base_SD_SD_SD_bbb
	.p2align	8
	.type	_ZN9rocsparseL41csrgemm_numeric_fill_block_per_row_kernelILj1024ELj64ELj32768ELj137ELj64EiifEEvT5_PKS1_S3_NS_24const_host_device_scalarIT6_EEPKT4_S3_PKS5_S9_S3_SB_S6_S9_S3_SB_S9_S3_PS5_21rocsparse_index_base_SD_SD_SD_bbb,@function
_ZN9rocsparseL41csrgemm_numeric_fill_block_per_row_kernelILj1024ELj64ELj32768ELj137ELj64EiifEEvT5_PKS1_S3_NS_24const_host_device_scalarIT6_EEPKT4_S3_PKS5_S9_S3_SB_S6_S9_S3_SB_S9_S3_PS5_21rocsparse_index_base_SD_SD_SD_bbb: ; @_ZN9rocsparseL41csrgemm_numeric_fill_block_per_row_kernelILj1024ELj64ELj32768ELj137ELj64EiifEEvT5_PKS1_S3_NS_24const_host_device_scalarIT6_EEPKT4_S3_PKS5_S9_S3_SB_S6_S9_S3_SB_S9_S3_PS5_21rocsparse_index_base_SD_SD_SD_bbb
; %bb.0:
	s_clause 0x3
	s_load_b32 s12, s[0:1], 0x98
	s_load_b128 s[24:27], s[0:1], 0x88
	s_load_b64 s[4:5], s[0:1], 0x18
	s_load_b64 s[2:3], s[0:1], 0x50
	s_waitcnt lgkmcnt(0)
	s_bitcmp1_b32 s12, 0
	s_cselect_b32 s13, -1, 0
	s_bitcmp1_b32 s12, 16
	s_cselect_b32 s14, -1, 0
	s_xor_b32 s6, s13, -1
	s_delay_alu instid0(SALU_CYCLE_1) | instskip(NEXT) | instid1(SALU_CYCLE_1)
	s_or_b32 s6, s6, s14
	s_and_b32 vcc_lo, exec_lo, s6
	s_cbranch_vccnz .LBB17_2
; %bb.1:
	s_load_b32 s4, s[4:5], 0x0
	s_waitcnt lgkmcnt(0)
	v_mov_b32_e32 v9, s4
	s_branch .LBB17_3
.LBB17_2:
	v_cndmask_b32_e64 v9, 0, s4, s13
.LBB17_3:
	s_clause 0x4
	s_load_b64 s[34:35], s[0:1], 0x80
	s_load_b256 s[16:23], s[0:1], 0x58
	s_load_b128 s[28:31], s[0:1], 0x40
	s_load_b128 s[36:39], s[0:1], 0x8
	s_load_b256 s[4:11], s[0:1], 0x20
	s_bitcmp1_b32 s12, 8
	s_cselect_b32 s12, -1, 0
	s_delay_alu instid0(SALU_CYCLE_1) | instskip(NEXT) | instid1(SALU_CYCLE_1)
	s_xor_b32 s33, s12, -1
	s_or_b32 s14, s33, s14
	s_delay_alu instid0(SALU_CYCLE_1)
	s_and_b32 vcc_lo, exec_lo, s14
	s_cbranch_vccnz .LBB17_5
; %bb.4:
	s_load_b32 s2, s[2:3], 0x0
	s_waitcnt lgkmcnt(0)
	v_mov_b32_e32 v7, s2
	s_branch .LBB17_6
.LBB17_5:
	v_cndmask_b32_e64 v7, 0, s2, s12
.LBB17_6:
	s_load_b32 s33, s[0:1], 0x0
	v_lshl_add_u32 v5, v0, 2, 0
	v_or_b32_e32 v6, 0xfffffc00, v0
	v_mov_b32_e32 v1, 0
	s_mov_b32 s0, 0
	s_delay_alu instid0(VALU_DEP_3)
	v_mov_b32_e32 v2, v5
	s_waitcnt lgkmcnt(0)
	v_dual_mov_b32 v4, v6 :: v_dual_mov_b32 v3, s33
.LBB17_7:                               ; =>This Inner Loop Header: Depth=1
	s_delay_alu instid0(VALU_DEP_1) | instskip(NEXT) | instid1(VALU_DEP_3)
	v_add_nc_u32_e32 v4, 0x400, v4
	v_add_nc_u32_e32 v8, 0x20000, v2
	ds_store_b32 v2, v3
	v_add_nc_u32_e32 v2, 0x1000, v2
	v_cmp_lt_u32_e32 vcc_lo, 0x7bff, v4
	ds_store_b32 v8, v1
	s_or_b32 s0, vcc_lo, s0
	s_delay_alu instid0(SALU_CYCLE_1)
	s_and_not1_b32 exec_lo, exec_lo, s0
	s_cbranch_execnz .LBB17_7
; %bb.8:
	s_or_b32 exec_lo, exec_lo, s0
	s_waitcnt lgkmcnt(0)
	s_barrier
	buffer_gl0_inv
	s_load_b32 s0, s[36:37], 0x0
	s_mov_b32 s1, 0
	v_lshrrev_b32_e32 v8, 6, v0
	s_waitcnt lgkmcnt(0)
	s_add_i32 s0, s0, s15
	s_delay_alu instid0(SALU_CYCLE_1) | instskip(NEXT) | instid1(SALU_CYCLE_1)
	s_lshl_b64 s[0:1], s[0:1], 2
	s_add_u32 s0, s38, s0
	s_addc_u32 s1, s39, s1
	s_and_b32 vcc_lo, exec_lo, s13
	s_load_b32 s36, s[0:1], 0x0
	s_cbranch_vccz .LBB17_28
; %bb.9:
	s_waitcnt lgkmcnt(0)
	s_ashr_i32 s37, s36, 31
	v_subrev_nc_u32_e32 v1, s24, v8
	s_lshl_b64 s[0:1], s[36:37], 2
	s_delay_alu instid0(SALU_CYCLE_1)
	s_add_u32 s0, s4, s0
	s_addc_u32 s1, s5, s1
	s_load_b64 s[0:1], s[0:1], 0x0
	s_waitcnt lgkmcnt(0)
	v_add_nc_u32_e32 v1, s0, v1
	s_sub_i32 s0, s1, s24
	s_mov_b32 s1, exec_lo
	s_delay_alu instid0(VALU_DEP_1)
	v_cmpx_gt_i32_e64 s0, v1
	s_cbranch_execz .LBB17_27
; %bb.10:
	v_and_b32_e32 v2, 63, v0
	s_mov_b32 s2, 0
	s_delay_alu instid0(VALU_DEP_1)
	v_subrev_nc_u32_e32 v10, s25, v2
	s_branch .LBB17_12
.LBB17_11:                              ;   in Loop: Header=BB17_12 Depth=1
	s_or_b32 exec_lo, exec_lo, s3
	v_add_nc_u32_e32 v1, 16, v1
	s_delay_alu instid0(VALU_DEP_1) | instskip(SKIP_1) | instid1(SALU_CYCLE_1)
	v_cmp_le_i32_e32 vcc_lo, s0, v1
	s_or_b32 s2, vcc_lo, s2
	s_and_not1_b32 exec_lo, exec_lo, s2
	s_cbranch_execz .LBB17_27
.LBB17_12:                              ; =>This Loop Header: Depth=1
                                        ;     Child Loop BB17_15 Depth 2
                                        ;       Child Loop BB17_17 Depth 3
	v_ashrrev_i32_e32 v2, 31, v1
	s_mov_b32 s3, exec_lo
	s_delay_alu instid0(VALU_DEP_1) | instskip(NEXT) | instid1(VALU_DEP_1)
	v_lshlrev_b64 v[3:4], 2, v[1:2]
	v_add_co_u32 v11, vcc_lo, s6, v3
	s_delay_alu instid0(VALU_DEP_2) | instskip(SKIP_3) | instid1(VALU_DEP_1)
	v_add_co_ci_u32_e32 v12, vcc_lo, s7, v4, vcc_lo
	global_load_b32 v2, v[11:12], off
	s_waitcnt vmcnt(0)
	v_subrev_nc_u32_e32 v11, s24, v2
	v_ashrrev_i32_e32 v12, 31, v11
	s_delay_alu instid0(VALU_DEP_1) | instskip(NEXT) | instid1(VALU_DEP_1)
	v_lshlrev_b64 v[11:12], 2, v[11:12]
	v_add_co_u32 v11, vcc_lo, s10, v11
	s_delay_alu instid0(VALU_DEP_2) | instskip(SKIP_4) | instid1(VALU_DEP_1)
	v_add_co_ci_u32_e32 v12, vcc_lo, s11, v12, vcc_lo
	global_load_b64 v[12:13], v[11:12], off
	s_waitcnt vmcnt(0)
	v_subrev_nc_u32_e32 v11, s25, v13
	v_add_nc_u32_e32 v2, v12, v10
	v_cmpx_lt_i32_e64 v2, v11
	s_cbranch_execz .LBB17_11
; %bb.13:                               ;   in Loop: Header=BB17_12 Depth=1
	v_add_co_u32 v3, vcc_lo, s8, v3
	v_add_co_ci_u32_e32 v4, vcc_lo, s9, v4, vcc_lo
	s_mov_b32 s4, 0
	global_load_b32 v3, v[3:4], off
	s_waitcnt vmcnt(0)
	v_mul_f32_e32 v4, v9, v3
	s_branch .LBB17_15
.LBB17_14:                              ;   in Loop: Header=BB17_15 Depth=2
	s_or_b32 exec_lo, exec_lo, s5
	v_add_nc_u32_e32 v2, 64, v2
	s_delay_alu instid0(VALU_DEP_1) | instskip(SKIP_1) | instid1(SALU_CYCLE_1)
	v_cmp_ge_i32_e32 vcc_lo, v2, v11
	s_or_b32 s4, vcc_lo, s4
	s_and_not1_b32 exec_lo, exec_lo, s4
	s_cbranch_execz .LBB17_11
.LBB17_15:                              ;   Parent Loop BB17_12 Depth=1
                                        ; =>  This Loop Header: Depth=2
                                        ;       Child Loop BB17_17 Depth 3
	v_ashrrev_i32_e32 v3, 31, v2
	s_mov_b32 s5, 0
	s_delay_alu instid0(VALU_DEP_1) | instskip(NEXT) | instid1(VALU_DEP_1)
	v_lshlrev_b64 v[12:13], 2, v[2:3]
	v_add_co_u32 v14, vcc_lo, s28, v12
	s_delay_alu instid0(VALU_DEP_2)
	v_add_co_ci_u32_e32 v15, vcc_lo, s29, v13, vcc_lo
	v_add_co_u32 v12, vcc_lo, s30, v12
	v_add_co_ci_u32_e32 v13, vcc_lo, s31, v13, vcc_lo
	global_load_b32 v3, v[14:15], off
	global_load_b32 v12, v[12:13], off
	s_waitcnt vmcnt(1)
	v_subrev_nc_u32_e32 v3, s25, v3
	s_delay_alu instid0(VALU_DEP_1) | instskip(SKIP_1) | instid1(VALU_DEP_1)
	v_mul_lo_u32 v13, 0x89, v3
	s_waitcnt vmcnt(0)
	v_dual_mul_f32 v12, v4, v12 :: v_dual_and_b32 v13, 0x7fff, v13
	s_branch .LBB17_17
.LBB17_16:                              ;   in Loop: Header=BB17_17 Depth=3
	s_or_b32 exec_lo, exec_lo, s13
	s_xor_b32 s13, s14, -1
	s_delay_alu instid0(SALU_CYCLE_1) | instskip(NEXT) | instid1(SALU_CYCLE_1)
	s_and_b32 s13, exec_lo, s13
	s_or_b32 s5, s13, s5
	s_delay_alu instid0(SALU_CYCLE_1)
	s_and_not1_b32 exec_lo, exec_lo, s5
	s_cbranch_execz .LBB17_14
.LBB17_17:                              ;   Parent Loop BB17_12 Depth=1
                                        ;     Parent Loop BB17_15 Depth=2
                                        ; =>    This Inner Loop Header: Depth=3
	s_delay_alu instid0(VALU_DEP_1)
	v_lshl_add_u32 v14, v13, 2, 0
	s_mov_b32 s13, exec_lo
                                        ; implicit-def: $sgpr14
	ds_load_b32 v15, v14
	s_waitcnt lgkmcnt(0)
	v_cmpx_ne_u32_e64 v15, v3
	s_xor_b32 s13, exec_lo, s13
	s_cbranch_execz .LBB17_25
; %bb.18:                               ;   in Loop: Header=BB17_17 Depth=3
	s_mov_b32 s15, exec_lo
                                        ; implicit-def: $sgpr14
	v_cmpx_ne_u32_e64 s33, v15
	s_xor_b32 s15, exec_lo, s15
; %bb.19:                               ;   in Loop: Header=BB17_17 Depth=3
	v_add_nc_u32_e32 v13, 1, v13
	s_mov_b32 s14, -1
                                        ; implicit-def: $vgpr14
	s_delay_alu instid0(VALU_DEP_1)
	v_and_b32_e32 v13, 0x7fff, v13
; %bb.20:                               ;   in Loop: Header=BB17_17 Depth=3
	s_and_not1_saveexec_b32 s15, s15
	s_cbranch_execz .LBB17_24
; %bb.21:                               ;   in Loop: Header=BB17_17 Depth=3
	v_mov_b32_e32 v15, s33
	s_mov_b32 s37, -1
	s_mov_b32 s38, exec_lo
	ds_cmpstore_rtn_b32 v14, v14, v3, v15
	s_waitcnt lgkmcnt(0)
	v_cmpx_eq_u32_e64 s33, v14
	s_cbranch_execz .LBB17_23
; %bb.22:                               ;   in Loop: Header=BB17_17 Depth=3
	v_lshlrev_b32_e32 v14, 2, v13
	s_xor_b32 s37, exec_lo, -1
	s_delay_alu instid0(VALU_DEP_1)
	v_add3_u32 v14, 0, v14, 0x20000
	ds_add_f32 v14, v12
.LBB17_23:                              ;   in Loop: Header=BB17_17 Depth=3
	s_or_b32 exec_lo, exec_lo, s38
	s_delay_alu instid0(SALU_CYCLE_1) | instskip(SKIP_1) | instid1(SALU_CYCLE_1)
	s_and_not1_b32 s14, s14, exec_lo
	s_and_b32 s37, s37, exec_lo
	s_or_b32 s14, s14, s37
.LBB17_24:                              ;   in Loop: Header=BB17_17 Depth=3
	s_or_b32 exec_lo, exec_lo, s15
	s_delay_alu instid0(SALU_CYCLE_1)
	s_and_b32 s14, s14, exec_lo
.LBB17_25:                              ;   in Loop: Header=BB17_17 Depth=3
	s_and_not1_saveexec_b32 s13, s13
	s_cbranch_execz .LBB17_16
; %bb.26:                               ;   in Loop: Header=BB17_17 Depth=3
	v_lshlrev_b32_e32 v14, 2, v13
	s_and_not1_b32 s14, s14, exec_lo
	s_delay_alu instid0(VALU_DEP_1)
	v_add3_u32 v14, 0, v14, 0x20000
	ds_add_f32 v14, v12
	s_branch .LBB17_16
.LBB17_27:
	s_or_b32 exec_lo, exec_lo, s1
.LBB17_28:
	s_delay_alu instid0(SALU_CYCLE_1)
	s_and_not1_b32 vcc_lo, exec_lo, s12
	s_cbranch_vccnz .LBB17_45
; %bb.29:
	s_waitcnt lgkmcnt(0)
	s_ashr_i32 s37, s36, 31
	v_subrev_nc_u32_e32 v1, s27, v0
	s_lshl_b64 s[0:1], s[36:37], 2
	s_delay_alu instid0(SALU_CYCLE_1)
	s_add_u32 s0, s16, s0
	s_addc_u32 s1, s17, s1
	s_load_b64 s[0:1], s[0:1], 0x0
	s_waitcnt lgkmcnt(0)
	v_add_nc_u32_e32 v1, s0, v1
	s_sub_i32 s0, s1, s27
	s_mov_b32 s1, exec_lo
	s_delay_alu instid0(VALU_DEP_1)
	v_cmpx_gt_i32_e64 s0, v1
	s_cbranch_execz .LBB17_44
; %bb.30:
	s_mov_b32 s2, 0
	s_branch .LBB17_32
.LBB17_31:                              ;   in Loop: Header=BB17_32 Depth=1
	s_or_b32 exec_lo, exec_lo, s3
	v_add_nc_u32_e32 v1, 0x400, v1
	s_delay_alu instid0(VALU_DEP_1) | instskip(SKIP_1) | instid1(SALU_CYCLE_1)
	v_cmp_le_i32_e32 vcc_lo, s0, v1
	s_or_b32 s2, vcc_lo, s2
	s_and_not1_b32 exec_lo, exec_lo, s2
	s_cbranch_execz .LBB17_44
.LBB17_32:                              ; =>This Loop Header: Depth=1
                                        ;     Child Loop BB17_34 Depth 2
	v_ashrrev_i32_e32 v2, 31, v1
	s_mov_b32 s3, 0
	s_delay_alu instid0(VALU_DEP_1) | instskip(NEXT) | instid1(VALU_DEP_1)
	v_lshlrev_b64 v[2:3], 2, v[1:2]
	v_add_co_u32 v9, vcc_lo, s18, v2
	s_delay_alu instid0(VALU_DEP_2)
	v_add_co_ci_u32_e32 v10, vcc_lo, s19, v3, vcc_lo
	v_add_co_u32 v2, vcc_lo, s20, v2
	v_add_co_ci_u32_e32 v3, vcc_lo, s21, v3, vcc_lo
	global_load_b32 v4, v[9:10], off
	global_load_b32 v3, v[2:3], off
	s_waitcnt vmcnt(1)
	v_subrev_nc_u32_e32 v2, s27, v4
	s_delay_alu instid0(VALU_DEP_1) | instskip(SKIP_1) | instid1(VALU_DEP_1)
	v_mul_lo_u32 v4, 0x89, v2
	s_waitcnt vmcnt(0)
	v_dual_mul_f32 v3, v7, v3 :: v_dual_and_b32 v4, 0x7fff, v4
	s_branch .LBB17_34
.LBB17_33:                              ;   in Loop: Header=BB17_34 Depth=2
	s_or_b32 exec_lo, exec_lo, s4
	s_xor_b32 s4, s5, -1
	s_delay_alu instid0(SALU_CYCLE_1) | instskip(NEXT) | instid1(SALU_CYCLE_1)
	s_and_b32 s4, exec_lo, s4
	s_or_b32 s3, s4, s3
	s_delay_alu instid0(SALU_CYCLE_1)
	s_and_not1_b32 exec_lo, exec_lo, s3
	s_cbranch_execz .LBB17_31
.LBB17_34:                              ;   Parent Loop BB17_32 Depth=1
                                        ; =>  This Inner Loop Header: Depth=2
	s_delay_alu instid0(VALU_DEP_1)
	v_lshl_add_u32 v9, v4, 2, 0
	s_mov_b32 s4, exec_lo
                                        ; implicit-def: $sgpr5
	ds_load_b32 v10, v9
	s_waitcnt lgkmcnt(0)
	v_cmpx_ne_u32_e64 v10, v2
	s_xor_b32 s4, exec_lo, s4
	s_cbranch_execz .LBB17_42
; %bb.35:                               ;   in Loop: Header=BB17_34 Depth=2
	s_mov_b32 s6, exec_lo
                                        ; implicit-def: $sgpr5
	v_cmpx_ne_u32_e64 s33, v10
	s_xor_b32 s6, exec_lo, s6
; %bb.36:                               ;   in Loop: Header=BB17_34 Depth=2
	v_add_nc_u32_e32 v4, 1, v4
	s_mov_b32 s5, -1
                                        ; implicit-def: $vgpr9
	s_delay_alu instid0(VALU_DEP_1)
	v_and_b32_e32 v4, 0x7fff, v4
; %bb.37:                               ;   in Loop: Header=BB17_34 Depth=2
	s_and_not1_saveexec_b32 s6, s6
	s_cbranch_execz .LBB17_41
; %bb.38:                               ;   in Loop: Header=BB17_34 Depth=2
	v_mov_b32_e32 v10, s33
	s_mov_b32 s7, -1
	s_mov_b32 s8, exec_lo
	ds_cmpstore_rtn_b32 v9, v9, v2, v10
	s_waitcnt lgkmcnt(0)
	v_cmpx_eq_u32_e64 s33, v9
	s_cbranch_execz .LBB17_40
; %bb.39:                               ;   in Loop: Header=BB17_34 Depth=2
	v_lshlrev_b32_e32 v9, 2, v4
	s_xor_b32 s7, exec_lo, -1
	s_delay_alu instid0(VALU_DEP_1)
	v_add3_u32 v9, 0, v9, 0x20000
	ds_add_f32 v9, v3
.LBB17_40:                              ;   in Loop: Header=BB17_34 Depth=2
	s_or_b32 exec_lo, exec_lo, s8
	s_delay_alu instid0(SALU_CYCLE_1) | instskip(SKIP_1) | instid1(SALU_CYCLE_1)
	s_and_not1_b32 s5, s5, exec_lo
	s_and_b32 s7, s7, exec_lo
	s_or_b32 s5, s5, s7
.LBB17_41:                              ;   in Loop: Header=BB17_34 Depth=2
	s_or_b32 exec_lo, exec_lo, s6
	s_delay_alu instid0(SALU_CYCLE_1)
	s_and_b32 s5, s5, exec_lo
.LBB17_42:                              ;   in Loop: Header=BB17_34 Depth=2
	s_and_not1_saveexec_b32 s4, s4
	s_cbranch_execz .LBB17_33
; %bb.43:                               ;   in Loop: Header=BB17_34 Depth=2
	v_lshlrev_b32_e32 v9, 2, v4
	s_and_not1_b32 s5, s5, exec_lo
	s_delay_alu instid0(VALU_DEP_1)
	v_add3_u32 v9, 0, v9, 0x20000
	ds_add_f32 v9, v3
	s_branch .LBB17_33
.LBB17_44:
	s_or_b32 exec_lo, exec_lo, s1
.LBB17_45:
	v_mbcnt_lo_u32_b32 v1, -1, 0
	v_lshlrev_b32_e32 v2, 2, v8
	s_add_i32 s31, 0, 0x4003c
	v_cmp_eq_u32_e32 vcc_lo, 0x3ff, v0
	v_cmp_lt_u32_e64 s0, 63, v0
	v_xor_b32_e32 v1, 63, v1
	v_add3_u32 v3, 0, 0x40000, v2
	v_cmp_lt_u32_e64 s1, 0x7f, v0
	v_cmp_lt_u32_e64 s2, 0xbf, v0
	;; [unrolled: 1-line block ×3, first 2 shown]
	v_lshrrev_b64 v[1:2], v1, -1
	v_cmp_lt_u32_e64 s4, 0x13f, v0
	v_cmp_lt_u32_e64 s5, 0x17f, v0
	;; [unrolled: 1-line block ×11, first 2 shown]
	v_mov_b32_e32 v2, 0
	v_mov_b32_e32 v4, s31
	s_mov_b32 s16, 0
	s_add_i32 s17, 0, 0x40000
	s_add_i32 s18, 0, 0x40004
	;; [unrolled: 1-line block ×15, first 2 shown]
	s_waitcnt lgkmcnt(0)
	s_barrier
	buffer_gl0_inv
	s_branch .LBB17_47
.LBB17_46:                              ;   in Loop: Header=BB17_47 Depth=1
	s_or_b32 exec_lo, exec_lo, s15
	s_waitcnt lgkmcnt(0)
	s_barrier
	buffer_gl0_inv
	ds_load_b32 v7, v4
	v_add_nc_u32_e32 v6, 0x400, v6
	v_add_nc_u32_e32 v5, 0x1000, v5
	s_delay_alu instid0(VALU_DEP_2) | instskip(NEXT) | instid1(VALU_DEP_1)
	v_cmp_lt_u32_e64 s15, 0x7bff, v6
	s_or_b32 s16, s15, s16
	s_waitcnt lgkmcnt(0)
	v_add_nc_u32_e32 v2, v7, v2
	s_and_not1_b32 exec_lo, exec_lo, s16
	s_cbranch_execz .LBB17_81
.LBB17_47:                              ; =>This Inner Loop Header: Depth=1
	ds_load_b32 v7, v5
	v_add_nc_u32_e32 v8, 0x20000, v5
	ds_load_b32 v8, v8
	s_waitcnt lgkmcnt(0)
	s_barrier
	buffer_gl0_inv
	v_cmp_gt_i32_e64 s15, s33, v7
	s_delay_alu instid0(VALU_DEP_1) | instskip(NEXT) | instid1(SALU_CYCLE_1)
	s_bcnt1_i32_b32 s41, s15
	v_dual_mov_b32 v10, s41 :: v_dual_and_b32 v9, s15, v1
	s_delay_alu instid0(VALU_DEP_1)
	v_bcnt_u32_b32 v9, v9, 0
	ds_store_b32 v3, v10
	s_waitcnt lgkmcnt(0)
	s_barrier
	buffer_gl0_inv
	s_and_saveexec_b32 s41, s0
	s_cbranch_execnz .LBB17_64
; %bb.48:                               ;   in Loop: Header=BB17_47 Depth=1
	s_or_b32 exec_lo, exec_lo, s41
	s_and_saveexec_b32 s41, s1
	s_cbranch_execnz .LBB17_65
.LBB17_49:                              ;   in Loop: Header=BB17_47 Depth=1
	s_or_b32 exec_lo, exec_lo, s41
	s_and_saveexec_b32 s41, s2
	s_cbranch_execnz .LBB17_66
.LBB17_50:                              ;   in Loop: Header=BB17_47 Depth=1
	s_or_b32 exec_lo, exec_lo, s41
	s_and_saveexec_b32 s41, s3
	s_cbranch_execnz .LBB17_67
.LBB17_51:                              ;   in Loop: Header=BB17_47 Depth=1
	s_or_b32 exec_lo, exec_lo, s41
	s_and_saveexec_b32 s41, s4
	s_cbranch_execnz .LBB17_68
.LBB17_52:                              ;   in Loop: Header=BB17_47 Depth=1
	s_or_b32 exec_lo, exec_lo, s41
	s_and_saveexec_b32 s41, s5
	s_cbranch_execnz .LBB17_69
.LBB17_53:                              ;   in Loop: Header=BB17_47 Depth=1
	s_or_b32 exec_lo, exec_lo, s41
	s_and_saveexec_b32 s41, s6
	s_cbranch_execnz .LBB17_70
.LBB17_54:                              ;   in Loop: Header=BB17_47 Depth=1
	s_or_b32 exec_lo, exec_lo, s41
	s_and_saveexec_b32 s41, s7
	s_cbranch_execnz .LBB17_71
.LBB17_55:                              ;   in Loop: Header=BB17_47 Depth=1
	s_or_b32 exec_lo, exec_lo, s41
	s_and_saveexec_b32 s41, s8
	s_cbranch_execnz .LBB17_72
.LBB17_56:                              ;   in Loop: Header=BB17_47 Depth=1
	s_or_b32 exec_lo, exec_lo, s41
	s_and_saveexec_b32 s41, s9
	s_cbranch_execnz .LBB17_73
.LBB17_57:                              ;   in Loop: Header=BB17_47 Depth=1
	s_or_b32 exec_lo, exec_lo, s41
	s_and_saveexec_b32 s41, s10
	s_cbranch_execnz .LBB17_74
.LBB17_58:                              ;   in Loop: Header=BB17_47 Depth=1
	s_or_b32 exec_lo, exec_lo, s41
	s_and_saveexec_b32 s41, s11
	s_cbranch_execnz .LBB17_75
.LBB17_59:                              ;   in Loop: Header=BB17_47 Depth=1
	s_or_b32 exec_lo, exec_lo, s41
	s_and_saveexec_b32 s41, s12
	s_cbranch_execnz .LBB17_76
.LBB17_60:                              ;   in Loop: Header=BB17_47 Depth=1
	s_or_b32 exec_lo, exec_lo, s41
	s_and_saveexec_b32 s41, s13
	s_cbranch_execnz .LBB17_77
.LBB17_61:                              ;   in Loop: Header=BB17_47 Depth=1
	s_or_b32 exec_lo, exec_lo, s41
	s_and_saveexec_b32 s41, s14
	s_cbranch_execnz .LBB17_78
.LBB17_62:                              ;   in Loop: Header=BB17_47 Depth=1
	s_or_b32 exec_lo, exec_lo, s41
	s_and_saveexec_b32 s41, s15
	s_cbranch_execnz .LBB17_79
.LBB17_63:                              ;   in Loop: Header=BB17_47 Depth=1
	s_or_b32 exec_lo, exec_lo, s41
	s_and_saveexec_b32 s15, vcc_lo
	s_cbranch_execz .LBB17_46
	s_branch .LBB17_80
.LBB17_64:                              ;   in Loop: Header=BB17_47 Depth=1
	v_mov_b32_e32 v10, s17
	ds_load_b32 v10, v10
	s_waitcnt lgkmcnt(0)
	v_add_nc_u32_e32 v9, v10, v9
	s_or_b32 exec_lo, exec_lo, s41
	s_and_saveexec_b32 s41, s1
	s_cbranch_execz .LBB17_49
.LBB17_65:                              ;   in Loop: Header=BB17_47 Depth=1
	v_mov_b32_e32 v10, s18
	ds_load_b32 v10, v10
	s_waitcnt lgkmcnt(0)
	v_add_nc_u32_e32 v9, v10, v9
	s_or_b32 exec_lo, exec_lo, s41
	s_and_saveexec_b32 s41, s2
	s_cbranch_execz .LBB17_50
.LBB17_66:                              ;   in Loop: Header=BB17_47 Depth=1
	v_mov_b32_e32 v10, s19
	ds_load_b32 v10, v10
	s_waitcnt lgkmcnt(0)
	v_add_nc_u32_e32 v9, v10, v9
	s_or_b32 exec_lo, exec_lo, s41
	s_and_saveexec_b32 s41, s3
	s_cbranch_execz .LBB17_51
.LBB17_67:                              ;   in Loop: Header=BB17_47 Depth=1
	v_mov_b32_e32 v10, s20
	ds_load_b32 v10, v10
	s_waitcnt lgkmcnt(0)
	v_add_nc_u32_e32 v9, v10, v9
	s_or_b32 exec_lo, exec_lo, s41
	s_and_saveexec_b32 s41, s4
	s_cbranch_execz .LBB17_52
.LBB17_68:                              ;   in Loop: Header=BB17_47 Depth=1
	v_mov_b32_e32 v10, s21
	ds_load_b32 v10, v10
	s_waitcnt lgkmcnt(0)
	v_add_nc_u32_e32 v9, v10, v9
	s_or_b32 exec_lo, exec_lo, s41
	s_and_saveexec_b32 s41, s5
	s_cbranch_execz .LBB17_53
.LBB17_69:                              ;   in Loop: Header=BB17_47 Depth=1
	v_mov_b32_e32 v10, s24
	ds_load_b32 v10, v10
	s_waitcnt lgkmcnt(0)
	v_add_nc_u32_e32 v9, v10, v9
	s_or_b32 exec_lo, exec_lo, s41
	s_and_saveexec_b32 s41, s6
	s_cbranch_execz .LBB17_54
.LBB17_70:                              ;   in Loop: Header=BB17_47 Depth=1
	v_mov_b32_e32 v10, s25
	ds_load_b32 v10, v10
	s_waitcnt lgkmcnt(0)
	v_add_nc_u32_e32 v9, v10, v9
	s_or_b32 exec_lo, exec_lo, s41
	s_and_saveexec_b32 s41, s7
	s_cbranch_execz .LBB17_55
.LBB17_71:                              ;   in Loop: Header=BB17_47 Depth=1
	v_mov_b32_e32 v10, s27
	ds_load_b32 v10, v10
	s_waitcnt lgkmcnt(0)
	v_add_nc_u32_e32 v9, v10, v9
	s_or_b32 exec_lo, exec_lo, s41
	s_and_saveexec_b32 s41, s8
	s_cbranch_execz .LBB17_56
.LBB17_72:                              ;   in Loop: Header=BB17_47 Depth=1
	v_mov_b32_e32 v10, s28
	ds_load_b32 v10, v10
	s_waitcnt lgkmcnt(0)
	v_add_nc_u32_e32 v9, v10, v9
	s_or_b32 exec_lo, exec_lo, s41
	s_and_saveexec_b32 s41, s9
	s_cbranch_execz .LBB17_57
.LBB17_73:                              ;   in Loop: Header=BB17_47 Depth=1
	v_mov_b32_e32 v10, s29
	ds_load_b32 v10, v10
	s_waitcnt lgkmcnt(0)
	v_add_nc_u32_e32 v9, v10, v9
	s_or_b32 exec_lo, exec_lo, s41
	s_and_saveexec_b32 s41, s10
	s_cbranch_execz .LBB17_58
.LBB17_74:                              ;   in Loop: Header=BB17_47 Depth=1
	v_mov_b32_e32 v10, s30
	ds_load_b32 v10, v10
	s_waitcnt lgkmcnt(0)
	v_add_nc_u32_e32 v9, v10, v9
	s_or_b32 exec_lo, exec_lo, s41
	s_and_saveexec_b32 s41, s11
	s_cbranch_execz .LBB17_59
.LBB17_75:                              ;   in Loop: Header=BB17_47 Depth=1
	v_mov_b32_e32 v10, s37
	ds_load_b32 v10, v10
	s_waitcnt lgkmcnt(0)
	v_add_nc_u32_e32 v9, v10, v9
	s_or_b32 exec_lo, exec_lo, s41
	s_and_saveexec_b32 s41, s12
	s_cbranch_execz .LBB17_60
.LBB17_76:                              ;   in Loop: Header=BB17_47 Depth=1
	v_mov_b32_e32 v10, s38
	ds_load_b32 v10, v10
	s_waitcnt lgkmcnt(0)
	v_add_nc_u32_e32 v9, v10, v9
	s_or_b32 exec_lo, exec_lo, s41
	s_and_saveexec_b32 s41, s13
	s_cbranch_execz .LBB17_61
.LBB17_77:                              ;   in Loop: Header=BB17_47 Depth=1
	v_mov_b32_e32 v10, s39
	ds_load_b32 v10, v10
	s_waitcnt lgkmcnt(0)
	v_add_nc_u32_e32 v9, v10, v9
	s_or_b32 exec_lo, exec_lo, s41
	s_and_saveexec_b32 s41, s14
	s_cbranch_execz .LBB17_62
.LBB17_78:                              ;   in Loop: Header=BB17_47 Depth=1
	v_mov_b32_e32 v10, s40
	ds_load_b32 v10, v10
	s_waitcnt lgkmcnt(0)
	v_add_nc_u32_e32 v9, v10, v9
	s_or_b32 exec_lo, exec_lo, s41
	s_and_saveexec_b32 s41, s15
	s_cbranch_execz .LBB17_63
.LBB17_79:                              ;   in Loop: Header=BB17_47 Depth=1
	s_delay_alu instid0(VALU_DEP_1) | instskip(NEXT) | instid1(VALU_DEP_1)
	v_add3_u32 v10, v2, -1, v9
	v_lshl_add_u32 v10, v10, 2, 0
	s_delay_alu instid0(VALU_DEP_1)
	v_add_nc_u32_e32 v11, 0x20000, v10
	ds_store_b32 v10, v7
	ds_store_b32 v11, v8
	s_or_b32 exec_lo, exec_lo, s41
	s_and_saveexec_b32 s15, vcc_lo
	s_cbranch_execz .LBB17_46
.LBB17_80:                              ;   in Loop: Header=BB17_47 Depth=1
	v_mov_b32_e32 v7, s31
	ds_store_b32 v7, v9
	s_branch .LBB17_46
.LBB17_81:
	s_or_b32 exec_lo, exec_lo, s16
	s_ashr_i32 s37, s36, 31
	s_mov_b32 s3, exec_lo
	s_lshl_b64 s[0:1], s[36:37], 2
	s_delay_alu instid0(SALU_CYCLE_1) | instskip(SKIP_4) | instid1(SALU_CYCLE_1)
	s_add_u32 s0, s22, s0
	s_addc_u32 s1, s23, s1
	s_load_b64 s[0:1], s[0:1], 0x0
	s_waitcnt lgkmcnt(0)
	s_sub_i32 s2, s1, s0
	v_cmpx_gt_i32_e64 s2, v0
	s_cbranch_execz .LBB17_91
; %bb.82:
	s_sub_i32 s3, s0, s26
	s_sub_i32 s0, s0, s1
	s_and_b32 s1, s2, 7
	s_cmp_lt_u32 s0, -7
	s_mov_b32 s7, 0
	s_cselect_b32 s4, -1, 0
	s_and_b32 s5, s2, -8
	s_cmp_lg_u32 s1, 0
	s_cselect_b32 s6, -1, 0
	s_branch .LBB17_84
.LBB17_83:                              ;   in Loop: Header=BB17_84 Depth=1
	s_waitcnt lgkmcnt(1)
	s_delay_alu instid0(VALU_DEP_1) | instskip(SKIP_1) | instid1(VALU_DEP_2)
	v_ashrrev_i32_e32 v2, 31, v1
	v_add_nc_u32_e32 v0, 0x400, v0
	v_lshlrev_b64 v[1:2], 2, v[1:2]
	s_delay_alu instid0(VALU_DEP_2) | instskip(SKIP_1) | instid1(VALU_DEP_2)
	v_cmp_le_i32_e32 vcc_lo, s2, v0
	s_or_b32 s7, vcc_lo, s7
	v_add_co_u32 v1, s0, s34, v1
	s_delay_alu instid0(VALU_DEP_1)
	v_add_co_ci_u32_e64 v2, s0, s35, v2, s0
	s_waitcnt lgkmcnt(0)
	global_store_b32 v[1:2], v3, off
	s_and_not1_b32 exec_lo, exec_lo, s7
	s_cbranch_execz .LBB17_91
.LBB17_84:                              ; =>This Loop Header: Depth=1
                                        ;     Child Loop BB17_86 Depth 2
                                        ;     Child Loop BB17_90 Depth 2
	v_lshl_add_u32 v1, v0, 2, 0
	s_and_not1_b32 vcc_lo, exec_lo, s4
	s_mov_b32 s0, 0
	s_delay_alu instid0(VALU_DEP_1)
	v_add_nc_u32_e32 v3, 0x20000, v1
	ds_load_b32 v2, v1
	ds_load_b32 v3, v3
	v_mov_b32_e32 v1, s3
	s_cbranch_vccnz .LBB17_88
; %bb.85:                               ;   in Loop: Header=BB17_84 Depth=1
	v_mov_b32_e32 v1, s3
	s_mov_b32 s8, 0
	s_set_inst_prefetch_distance 0x1
	.p2align	6
.LBB17_86:                              ;   Parent Loop BB17_84 Depth=1
                                        ; =>  This Inner Loop Header: Depth=2
	v_mov_b32_e32 v10, s8
	s_add_i32 s0, s0, 8
	s_add_i32 s8, s8, 32
	s_cmp_eq_u32 s5, s0
	ds_load_2addr_b32 v[4:5], v10 offset1:1
	ds_load_2addr_b32 v[6:7], v10 offset0:2 offset1:3
	ds_load_2addr_b32 v[8:9], v10 offset0:4 offset1:5
	;; [unrolled: 1-line block ×3, first 2 shown]
	s_waitcnt lgkmcnt(3)
	v_cmp_gt_i32_e32 vcc_lo, v2, v4
	v_cndmask_b32_e64 v4, 0, 1, vcc_lo
	s_waitcnt lgkmcnt(2)
	v_cmp_gt_i32_e32 vcc_lo, v2, v6
	v_cndmask_b32_e64 v6, 0, 1, vcc_lo
	v_cmp_gt_i32_e32 vcc_lo, v2, v5
	v_add_co_ci_u32_e32 v1, vcc_lo, v1, v4, vcc_lo
	s_waitcnt lgkmcnt(1)
	v_cmp_gt_i32_e32 vcc_lo, v2, v8
	v_cndmask_b32_e64 v4, 0, 1, vcc_lo
	v_cmp_gt_i32_e32 vcc_lo, v2, v7
	v_add_co_ci_u32_e32 v1, vcc_lo, v1, v6, vcc_lo
	;; [unrolled: 5-line block ×3, first 2 shown]
	v_cmp_gt_i32_e32 vcc_lo, v2, v11
	s_delay_alu instid0(VALU_DEP_2)
	v_add_co_ci_u32_e32 v1, vcc_lo, v1, v5, vcc_lo
	s_cbranch_scc0 .LBB17_86
; %bb.87:                               ;   in Loop: Header=BB17_84 Depth=1
	s_set_inst_prefetch_distance 0x2
	s_mov_b32 s0, s5
.LBB17_88:                              ;   in Loop: Header=BB17_84 Depth=1
	s_and_not1_b32 vcc_lo, exec_lo, s6
	s_cbranch_vccnz .LBB17_83
; %bb.89:                               ;   in Loop: Header=BB17_84 Depth=1
	s_lshl_b32 s0, s0, 2
	s_mov_b32 s8, s1
	s_add_i32 s0, s0, 0
.LBB17_90:                              ;   Parent Loop BB17_84 Depth=1
                                        ; =>  This Inner Loop Header: Depth=2
	s_delay_alu instid0(SALU_CYCLE_1)
	v_mov_b32_e32 v4, s0
	s_add_i32 s8, s8, -1
	s_add_i32 s0, s0, 4
	s_cmp_lg_u32 s8, 0
	ds_load_b32 v4, v4
	s_waitcnt lgkmcnt(0)
	v_cmp_gt_i32_e32 vcc_lo, v2, v4
	v_add_co_ci_u32_e32 v1, vcc_lo, 0, v1, vcc_lo
	s_cbranch_scc1 .LBB17_90
	s_branch .LBB17_83
.LBB17_91:
	s_nop 0
	s_sendmsg sendmsg(MSG_DEALLOC_VGPRS)
	s_endpgm
	.section	.rodata,"a",@progbits
	.p2align	6, 0x0
	.amdhsa_kernel _ZN9rocsparseL41csrgemm_numeric_fill_block_per_row_kernelILj1024ELj64ELj32768ELj137ELj64EiifEEvT5_PKS1_S3_NS_24const_host_device_scalarIT6_EEPKT4_S3_PKS5_S9_S3_SB_S6_S9_S3_SB_S9_S3_PS5_21rocsparse_index_base_SD_SD_SD_bbb
		.amdhsa_group_segment_fixed_size 0
		.amdhsa_private_segment_fixed_size 0
		.amdhsa_kernarg_size 156
		.amdhsa_user_sgpr_count 15
		.amdhsa_user_sgpr_dispatch_ptr 0
		.amdhsa_user_sgpr_queue_ptr 0
		.amdhsa_user_sgpr_kernarg_segment_ptr 1
		.amdhsa_user_sgpr_dispatch_id 0
		.amdhsa_user_sgpr_private_segment_size 0
		.amdhsa_wavefront_size32 1
		.amdhsa_uses_dynamic_stack 0
		.amdhsa_enable_private_segment 0
		.amdhsa_system_sgpr_workgroup_id_x 1
		.amdhsa_system_sgpr_workgroup_id_y 0
		.amdhsa_system_sgpr_workgroup_id_z 0
		.amdhsa_system_sgpr_workgroup_info 0
		.amdhsa_system_vgpr_workitem_id 0
		.amdhsa_next_free_vgpr 16
		.amdhsa_next_free_sgpr 42
		.amdhsa_reserve_vcc 1
		.amdhsa_float_round_mode_32 0
		.amdhsa_float_round_mode_16_64 0
		.amdhsa_float_denorm_mode_32 3
		.amdhsa_float_denorm_mode_16_64 3
		.amdhsa_dx10_clamp 1
		.amdhsa_ieee_mode 1
		.amdhsa_fp16_overflow 0
		.amdhsa_workgroup_processor_mode 1
		.amdhsa_memory_ordered 1
		.amdhsa_forward_progress 0
		.amdhsa_shared_vgpr_count 0
		.amdhsa_exception_fp_ieee_invalid_op 0
		.amdhsa_exception_fp_denorm_src 0
		.amdhsa_exception_fp_ieee_div_zero 0
		.amdhsa_exception_fp_ieee_overflow 0
		.amdhsa_exception_fp_ieee_underflow 0
		.amdhsa_exception_fp_ieee_inexact 0
		.amdhsa_exception_int_div_zero 0
	.end_amdhsa_kernel
	.section	.text._ZN9rocsparseL41csrgemm_numeric_fill_block_per_row_kernelILj1024ELj64ELj32768ELj137ELj64EiifEEvT5_PKS1_S3_NS_24const_host_device_scalarIT6_EEPKT4_S3_PKS5_S9_S3_SB_S6_S9_S3_SB_S9_S3_PS5_21rocsparse_index_base_SD_SD_SD_bbb,"axG",@progbits,_ZN9rocsparseL41csrgemm_numeric_fill_block_per_row_kernelILj1024ELj64ELj32768ELj137ELj64EiifEEvT5_PKS1_S3_NS_24const_host_device_scalarIT6_EEPKT4_S3_PKS5_S9_S3_SB_S6_S9_S3_SB_S9_S3_PS5_21rocsparse_index_base_SD_SD_SD_bbb,comdat
.Lfunc_end17:
	.size	_ZN9rocsparseL41csrgemm_numeric_fill_block_per_row_kernelILj1024ELj64ELj32768ELj137ELj64EiifEEvT5_PKS1_S3_NS_24const_host_device_scalarIT6_EEPKT4_S3_PKS5_S9_S3_SB_S6_S9_S3_SB_S9_S3_PS5_21rocsparse_index_base_SD_SD_SD_bbb, .Lfunc_end17-_ZN9rocsparseL41csrgemm_numeric_fill_block_per_row_kernelILj1024ELj64ELj32768ELj137ELj64EiifEEvT5_PKS1_S3_NS_24const_host_device_scalarIT6_EEPKT4_S3_PKS5_S9_S3_SB_S6_S9_S3_SB_S9_S3_PS5_21rocsparse_index_base_SD_SD_SD_bbb
                                        ; -- End function
	.section	.AMDGPU.csdata,"",@progbits
; Kernel info:
; codeLenInByte = 3372
; NumSgprs: 44
; NumVgprs: 16
; ScratchSize: 0
; MemoryBound: 0
; FloatMode: 240
; IeeeMode: 1
; LDSByteSize: 0 bytes/workgroup (compile time only)
; SGPRBlocks: 5
; VGPRBlocks: 1
; NumSGPRsForWavesPerEU: 44
; NumVGPRsForWavesPerEU: 16
; Occupancy: 16
; WaveLimiterHint : 1
; COMPUTE_PGM_RSRC2:SCRATCH_EN: 0
; COMPUTE_PGM_RSRC2:USER_SGPR: 15
; COMPUTE_PGM_RSRC2:TRAP_HANDLER: 0
; COMPUTE_PGM_RSRC2:TGID_X_EN: 1
; COMPUTE_PGM_RSRC2:TGID_Y_EN: 0
; COMPUTE_PGM_RSRC2:TGID_Z_EN: 0
; COMPUTE_PGM_RSRC2:TIDIG_COMP_CNT: 0
	.section	.text._ZN9rocsparseL51csrgemm_numeric_fill_block_per_row_multipass_kernelILj512ELj16ELj2048ELj32EiifEEvT4_PKS1_S3_NS_24const_host_device_scalarIT5_EEPKT3_S3_PKS5_S9_S3_SB_S6_S9_S3_SB_S9_S3_PS5_PS7_21rocsparse_index_base_SE_SE_SE_bbb,"axG",@progbits,_ZN9rocsparseL51csrgemm_numeric_fill_block_per_row_multipass_kernelILj512ELj16ELj2048ELj32EiifEEvT4_PKS1_S3_NS_24const_host_device_scalarIT5_EEPKT3_S3_PKS5_S9_S3_SB_S6_S9_S3_SB_S9_S3_PS5_PS7_21rocsparse_index_base_SE_SE_SE_bbb,comdat
	.globl	_ZN9rocsparseL51csrgemm_numeric_fill_block_per_row_multipass_kernelILj512ELj16ELj2048ELj32EiifEEvT4_PKS1_S3_NS_24const_host_device_scalarIT5_EEPKT3_S3_PKS5_S9_S3_SB_S6_S9_S3_SB_S9_S3_PS5_PS7_21rocsparse_index_base_SE_SE_SE_bbb ; -- Begin function _ZN9rocsparseL51csrgemm_numeric_fill_block_per_row_multipass_kernelILj512ELj16ELj2048ELj32EiifEEvT4_PKS1_S3_NS_24const_host_device_scalarIT5_EEPKT3_S3_PKS5_S9_S3_SB_S6_S9_S3_SB_S9_S3_PS5_PS7_21rocsparse_index_base_SE_SE_SE_bbb
	.p2align	8
	.type	_ZN9rocsparseL51csrgemm_numeric_fill_block_per_row_multipass_kernelILj512ELj16ELj2048ELj32EiifEEvT4_PKS1_S3_NS_24const_host_device_scalarIT5_EEPKT3_S3_PKS5_S9_S3_SB_S6_S9_S3_SB_S9_S3_PS5_PS7_21rocsparse_index_base_SE_SE_SE_bbb,@function
_ZN9rocsparseL51csrgemm_numeric_fill_block_per_row_multipass_kernelILj512ELj16ELj2048ELj32EiifEEvT4_PKS1_S3_NS_24const_host_device_scalarIT5_EEPKT3_S3_PKS5_S9_S3_SB_S6_S9_S3_SB_S9_S3_PS5_PS7_21rocsparse_index_base_SE_SE_SE_bbb: ; @_ZN9rocsparseL51csrgemm_numeric_fill_block_per_row_multipass_kernelILj512ELj16ELj2048ELj32EiifEEvT4_PKS1_S3_NS_24const_host_device_scalarIT5_EEPKT3_S3_PKS5_S9_S3_SB_S6_S9_S3_SB_S9_S3_PS5_PS7_21rocsparse_index_base_SE_SE_SE_bbb
; %bb.0:
	s_clause 0x4
	s_load_b32 s11, s[0:1], 0xa0
	s_load_b128 s[4:7], s[0:1], 0x8
	s_load_b64 s[2:3], s[0:1], 0x18
	s_load_b128 s[28:31], s[0:1], 0x90
	s_load_b64 s[8:9], s[0:1], 0x50
	s_waitcnt lgkmcnt(0)
	s_bitcmp1_b32 s11, 0
	s_cselect_b32 s10, -1, 0
	s_bitcmp1_b32 s11, 16
	s_cselect_b32 s12, -1, 0
	s_xor_b32 s13, s10, -1
	s_delay_alu instid0(SALU_CYCLE_1) | instskip(NEXT) | instid1(SALU_CYCLE_1)
	s_or_b32 s13, s13, s12
	s_and_b32 vcc_lo, exec_lo, s13
	s_cbranch_vccnz .LBB18_2
; %bb.1:
	s_load_b32 s2, s[2:3], 0x0
	s_waitcnt lgkmcnt(0)
	v_mov_b32_e32 v8, s2
	s_branch .LBB18_3
.LBB18_2:
	v_cndmask_b32_e64 v8, 0, s2, s10
.LBB18_3:
	s_load_b64 s[2:3], s[0:1], 0x20
	s_bitcmp1_b32 s11, 8
	s_cselect_b32 s33, -1, 0
	s_delay_alu instid0(SALU_CYCLE_1) | instskip(NEXT) | instid1(SALU_CYCLE_1)
	s_xor_b32 s11, s33, -1
	s_or_b32 s11, s11, s12
	s_delay_alu instid0(SALU_CYCLE_1)
	s_and_b32 vcc_lo, exec_lo, s11
	s_cbranch_vccnz .LBB18_5
; %bb.4:
	s_load_b32 s8, s[8:9], 0x0
	s_waitcnt lgkmcnt(0)
	v_mov_b32_e32 v9, s8
	s_branch .LBB18_6
.LBB18_5:
	v_cndmask_b32_e64 v9, 0, s8, s33
.LBB18_6:
	s_load_b32 s4, s[4:5], 0x0
	s_mov_b32 s35, 0
	s_mov_b32 s8, 0
	s_waitcnt lgkmcnt(0)
	s_add_i32 s34, s4, s15
	s_delay_alu instid0(SALU_CYCLE_1) | instskip(NEXT) | instid1(SALU_CYCLE_1)
	s_lshl_b64 s[4:5], s[34:35], 2
	s_add_u32 s4, s6, s4
	s_addc_u32 s5, s7, s5
	s_and_not1_b32 vcc_lo, exec_lo, s10
	s_load_b32 s6, s[4:5], 0x0
	s_cbranch_vccz .LBB18_9
; %bb.7:
	s_and_not1_b32 vcc_lo, exec_lo, s10
	s_cbranch_vccz .LBB18_10
.LBB18_8:
	s_load_b32 s34, s[0:1], 0x0
	s_waitcnt lgkmcnt(0)
	s_cmp_lt_i32 s34, 1
	s_cbranch_scc0 .LBB18_11
	s_branch .LBB18_64
.LBB18_9:
	s_waitcnt lgkmcnt(0)
	s_ashr_i32 s7, s6, 31
	s_delay_alu instid0(SALU_CYCLE_1) | instskip(NEXT) | instid1(SALU_CYCLE_1)
	s_lshl_b64 s[4:5], s[6:7], 2
	s_add_u32 s4, s2, s4
	s_addc_u32 s5, s3, s5
	s_load_b32 s4, s[4:5], 0x0
	s_waitcnt lgkmcnt(0)
	s_sub_i32 s8, s4, s28
	s_and_not1_b32 vcc_lo, exec_lo, s10
	s_cbranch_vccnz .LBB18_8
.LBB18_10:
	s_waitcnt lgkmcnt(0)
	s_ashr_i32 s7, s6, 31
	s_delay_alu instid0(SALU_CYCLE_1) | instskip(NEXT) | instid1(SALU_CYCLE_1)
	s_lshl_b64 s[4:5], s[6:7], 2
	s_add_u32 s2, s2, s4
	s_addc_u32 s3, s3, s5
	s_load_b32 s2, s[2:3], 0x4
	s_waitcnt lgkmcnt(0)
	s_sub_i32 s35, s2, s28
	s_load_b32 s34, s[0:1], 0x0
	s_waitcnt lgkmcnt(0)
	s_cmp_lt_i32 s34, 1
	s_cbranch_scc1 .LBB18_64
.LBB18_11:
	s_clause 0x3
	s_load_b256 s[20:27], s[0:1], 0x58
	s_load_b128 s[44:47], s[0:1], 0x80
	s_load_b64 s[48:49], s[0:1], 0x48
	s_load_b256 s[36:43], s[0:1], 0x28
	v_lshrrev_b32_e32 v1, 4, v0
	v_mbcnt_lo_u32_b32 v2, -1, 0
	s_ashr_i32 s7, s6, 31
	v_lshrrev_b32_e32 v3, 3, v0
	s_lshl_b64 s[12:13], s[6:7], 2
	v_dual_mov_b32 v21, 0 :: v_dual_add_nc_u32 v12, s8, v1
	v_xor_b32_e32 v1, 8, v2
	v_xor_b32_e32 v4, 4, v2
	;; [unrolled: 1-line block ×3, first 2 shown]
	v_dual_mov_b32 v24, 0x800 :: v_dual_and_b32 v13, 60, v3
	s_delay_alu instid0(VALU_DEP_4)
	v_cmp_gt_i32_e64 s7, 32, v1
	v_xor_b32_e32 v6, 1, v2
	v_xor_b32_e32 v7, 63, v2
	v_cmp_gt_i32_e32 vcc_lo, s35, v12
	s_waitcnt lgkmcnt(0)
	s_add_u32 s8, s26, s12
	s_addc_u32 s9, s27, s13
	v_cndmask_b32_e64 v3, v2, v1, s7
	s_load_b32 s8, s[8:9], 0x0
	v_cmp_gt_i32_e64 s7, 32, v4
	v_dual_mov_b32 v19, 0 :: v_dual_and_b32 v10, 15, v0
	v_cmp_eq_u32_e64 s0, 0, v0
	v_subrev_nc_u32_e32 v11, s31, v0
	s_delay_alu instid0(VALU_DEP_4)
	v_cndmask_b32_e64 v4, v2, v4, s7
	v_cmp_gt_i32_e64 s7, 32, v5
	v_cmp_eq_u32_e64 s1, 0x1ff, v0
	v_cmp_gt_u32_e64 s2, 32, v0
	v_cmp_gt_u32_e64 s3, 64, v0
	;; [unrolled: 1-line block ×3, first 2 shown]
	v_cndmask_b32_e64 v5, v2, v5, s7
	v_cmp_gt_i32_e64 s7, 32, v6
	v_cmp_gt_u32_e64 s5, 0x80, v0
	v_cmp_eq_u32_e64 s6, 15, v10
	v_dual_mov_b32 v23, 0 :: v_dual_lshlrev_b32 v14, 2, v3
	s_delay_alu instid0(VALU_DEP_4)
	v_cndmask_b32_e64 v6, v2, v6, s7
	v_lshrrev_b64 v[1:2], v7, -1
	s_waitcnt lgkmcnt(0)
	s_sub_i32 s18, s8, s30
	s_add_u32 s26, s20, s12
	s_addc_u32 s27, s21, s13
	s_and_b32 s21, s10, vcc_lo
	v_dual_mov_b32 v20, s18 :: v_dual_lshlrev_b32 v15, 2, v4
	v_lshlrev_b32_e32 v16, 2, v5
	v_dual_mov_b32 v22, 1 :: v_dual_lshlrev_b32 v17, 2, v6
	v_cmp_gt_u32_e64 s7, 0xa0, v0
	v_cmp_gt_u32_e64 s8, 0xc0, v0
	v_cmp_gt_u32_e64 s9, 0xe0, v0
	v_cmp_gt_u32_e64 s10, 0x100, v0
	v_cmp_gt_u32_e64 s11, 0x120, v0
	v_cmp_gt_u32_e64 s12, 0x140, v0
	v_cmp_gt_u32_e64 s13, 0x160, v0
	v_cmp_gt_u32_e64 s14, 0x180, v0
	v_cmp_gt_u32_e64 s15, 0x1a0, v0
	v_cmp_gt_u32_e64 s16, 0x1c0, v0
	v_cmp_gt_u32_e64 s17, 0x1e0, v0
	s_add_u32 s30, s40, 4
	v_or_b32_e32 v18, 0xfffffe00, v0
	v_lshlrev_b32_e32 v0, 2, v0
	s_addc_u32 s50, s41, 0
	s_add_u32 s44, s44, -4
	s_addc_u32 s45, s45, -1
	s_branch .LBB18_13
.LBB18_12:                              ;   in Loop: Header=BB18_13 Depth=1
	s_or_b32 exec_lo, exec_lo, s18
	ds_load_b32 v23, v21 offset:10240
	s_waitcnt lgkmcnt(0)
	s_barrier
	buffer_gl0_inv
	v_cmp_le_i32_e32 vcc_lo, s34, v23
	v_add_nc_u32_e32 v24, 0x800, v23
	s_cbranch_vccnz .LBB18_64
.LBB18_13:                              ; =>This Loop Header: Depth=1
                                        ;     Child Loop BB18_14 Depth 2
                                        ;     Child Loop BB18_20 Depth 2
                                        ;       Child Loop BB18_26 Depth 3
                                        ;     Child Loop BB18_43 Depth 2
                                        ;     Child Loop BB18_55 Depth 2
	;; [unrolled: 1-line block ×3, first 2 shown]
	v_dual_mov_b32 v2, v0 :: v_dual_mov_b32 v3, v18
	s_mov_b32 s18, 0
.LBB18_14:                              ;   Parent Loop BB18_13 Depth=1
                                        ; =>  This Inner Loop Header: Depth=2
	ds_store_b8 v3, v19 offset:8704
	v_add_nc_u32_e32 v3, 0x200, v3
	ds_store_b32 v2, v21
	v_add_nc_u32_e32 v2, 0x800, v2
	v_cmp_lt_u32_e32 vcc_lo, 0x5ff, v3
	s_or_b32 s18, vcc_lo, s18
	s_delay_alu instid0(SALU_CYCLE_1)
	s_and_not1_b32 exec_lo, exec_lo, s18
	s_cbranch_execnz .LBB18_14
; %bb.15:                               ;   in Loop: Header=BB18_13 Depth=1
	s_or_b32 exec_lo, exec_lo, s18
	s_and_saveexec_b32 s18, s0
	s_cbranch_execz .LBB18_17
; %bb.16:                               ;   in Loop: Header=BB18_13 Depth=1
	v_mov_b32_e32 v2, s34
	ds_store_b32 v21, v2 offset:10240
.LBB18_17:                              ;   in Loop: Header=BB18_13 Depth=1
	s_or_b32 exec_lo, exec_lo, s18
	v_mov_b32_e32 v25, s34
	s_waitcnt lgkmcnt(0)
	s_barrier
	buffer_gl0_inv
	s_and_saveexec_b32 s51, s21
	s_cbranch_execz .LBB18_39
; %bb.18:                               ;   in Loop: Header=BB18_13 Depth=1
	v_cmp_ne_u32_e64 s18, 0, v23
	v_dual_mov_b32 v25, s34 :: v_dual_mov_b32 v2, v12
	s_mov_b32 s52, 0
	s_branch .LBB18_20
.LBB18_19:                              ;   in Loop: Header=BB18_20 Depth=2
	s_or_b32 exec_lo, exec_lo, s19
	v_add_nc_u32_e32 v2, 32, v2
	s_delay_alu instid0(VALU_DEP_1) | instskip(SKIP_1) | instid1(SALU_CYCLE_1)
	v_cmp_le_i32_e32 vcc_lo, s35, v2
	s_or_b32 s52, vcc_lo, s52
	s_and_not1_b32 exec_lo, exec_lo, s52
	s_cbranch_execz .LBB18_38
.LBB18_20:                              ;   Parent Loop BB18_13 Depth=1
                                        ; =>  This Loop Header: Depth=2
                                        ;       Child Loop BB18_26 Depth 3
	s_delay_alu instid0(VALU_DEP_1) | instskip(NEXT) | instid1(VALU_DEP_1)
	v_ashrrev_i32_e32 v3, 31, v2
	v_lshlrev_b64 v[3:4], 2, v[2:3]
	s_delay_alu instid0(VALU_DEP_1) | instskip(SKIP_1) | instid1(VALU_DEP_2)
	v_add_co_u32 v5, vcc_lo, s36, v3
	s_waitcnt lgkmcnt(0)
	v_add_co_ci_u32_e32 v6, vcc_lo, s37, v4, vcc_lo
	global_load_b32 v26, v[5:6], off
	v_add_co_u32 v5, vcc_lo, s38, v3
	v_add_co_ci_u32_e32 v6, vcc_lo, s39, v4, vcc_lo
	s_and_b32 vcc_lo, exec_lo, s18
	global_load_b32 v7, v[5:6], off
	s_waitcnt vmcnt(1)
	v_subrev_nc_u32_e32 v5, s28, v26
	s_delay_alu instid0(VALU_DEP_1)
	v_ashrrev_i32_e32 v6, 31, v5
	s_cbranch_vccz .LBB18_37
; %bb.21:                               ;   in Loop: Header=BB18_20 Depth=2
	v_add_co_u32 v26, vcc_lo, s46, v3
	v_add_co_ci_u32_e32 v27, vcc_lo, s47, v4, vcc_lo
	global_load_b32 v26, v[26:27], off
	s_cbranch_execnz .LBB18_23
.LBB18_22:                              ;   in Loop: Header=BB18_20 Depth=2
	s_waitcnt vmcnt(0)
	s_delay_alu instid0(VALU_DEP_1) | instskip(NEXT) | instid1(VALU_DEP_1)
	v_lshlrev_b64 v[26:27], 2, v[5:6]
	v_add_co_u32 v26, vcc_lo, s40, v26
	s_delay_alu instid0(VALU_DEP_2)
	v_add_co_ci_u32_e32 v27, vcc_lo, s41, v27, vcc_lo
	global_load_b32 v26, v[26:27], off
	s_waitcnt vmcnt(0)
	v_subrev_nc_u32_e32 v26, s29, v26
.LBB18_23:                              ;   in Loop: Header=BB18_20 Depth=2
	v_lshlrev_b64 v[5:6], 2, v[5:6]
	s_waitcnt vmcnt(0)
	s_delay_alu instid0(VALU_DEP_2) | instskip(SKIP_1) | instid1(VALU_DEP_2)
	v_add_nc_u32_e32 v26, v26, v10
	s_mov_b32 s53, exec_lo
	v_add_co_u32 v5, vcc_lo, s30, v5
	s_delay_alu instid0(VALU_DEP_3) | instskip(SKIP_3) | instid1(VALU_DEP_1)
	v_add_co_ci_u32_e32 v6, vcc_lo, s50, v6, vcc_lo
	global_load_b32 v5, v[5:6], off
	s_waitcnt vmcnt(0)
	v_subrev_nc_u32_e32 v27, s29, v5
	v_cmpx_lt_i32_e64 v26, v27
	s_cbranch_execz .LBB18_35
; %bb.24:                               ;   in Loop: Header=BB18_20 Depth=2
	v_dual_mul_f32 v28, v8, v7 :: v_dual_mov_b32 v5, v26
	s_mov_b32 s55, 0
                                        ; implicit-def: $sgpr54
                                        ; implicit-def: $sgpr56
	s_branch .LBB18_26
.LBB18_25:                              ;   in Loop: Header=BB18_26 Depth=3
	s_or_b32 exec_lo, exec_lo, s20
	s_delay_alu instid0(SALU_CYCLE_1) | instskip(SKIP_4) | instid1(SALU_CYCLE_1)
	s_and_b32 s19, exec_lo, s57
	v_mov_b32_e32 v5, v7
	s_or_b32 s55, s19, s55
	s_and_not1_b32 s19, s54, exec_lo
	s_and_b32 s20, s56, exec_lo
	s_or_b32 s54, s19, s20
	s_and_not1_b32 exec_lo, exec_lo, s55
	s_cbranch_execz .LBB18_32
.LBB18_26:                              ;   Parent Loop BB18_13 Depth=1
                                        ;     Parent Loop BB18_20 Depth=2
                                        ; =>    This Inner Loop Header: Depth=3
	s_delay_alu instid0(VALU_DEP_1) | instskip(NEXT) | instid1(VALU_DEP_1)
	v_ashrrev_i32_e32 v6, 31, v5
	v_lshlrev_b64 v[6:7], 2, v[5:6]
	s_delay_alu instid0(VALU_DEP_1) | instskip(NEXT) | instid1(VALU_DEP_2)
	v_add_co_u32 v29, vcc_lo, s42, v6
	v_add_co_ci_u32_e32 v30, vcc_lo, s43, v7, vcc_lo
	global_load_b32 v29, v[29:30], off
	s_waitcnt vmcnt(0)
	v_subrev_nc_u32_e32 v29, s29, v29
	s_delay_alu instid0(VALU_DEP_1) | instskip(SKIP_2) | instid1(VALU_DEP_2)
	v_cmp_lt_i32_e64 s19, v29, v23
	v_cmp_ge_i32_e64 s20, v29, v24
	v_cmp_lt_i32_e32 vcc_lo, v29, v24
	s_or_b32 s57, s19, s20
	s_mov_b32 s19, 0
                                        ; implicit-def: $sgpr20
	s_and_saveexec_b32 s58, s57
	s_delay_alu instid0(SALU_CYCLE_1)
	s_xor_b32 s57, exec_lo, s58
; %bb.27:                               ;   in Loop: Header=BB18_26 Depth=3
	s_mov_b32 s20, -1
	s_and_b32 s19, vcc_lo, exec_lo
                                        ; implicit-def: $vgpr6_vgpr7
; %bb.28:                               ;   in Loop: Header=BB18_26 Depth=3
	s_and_not1_saveexec_b32 s57, s57
	s_cbranch_execz .LBB18_30
; %bb.29:                               ;   in Loop: Header=BB18_26 Depth=3
	v_add_co_u32 v6, vcc_lo, s48, v6
	v_add_co_ci_u32_e32 v7, vcc_lo, s49, v7, vcc_lo
	s_or_b32 s19, s19, exec_lo
	global_load_b32 v6, v[6:7], off
	v_sub_nc_u32_e32 v7, v29, v23
	s_delay_alu instid0(VALU_DEP_1)
	v_lshlrev_b32_e32 v30, 2, v7
	ds_store_b8 v7, v22 offset:8192
	s_waitcnt vmcnt(0)
	v_mul_f32_e32 v6, v28, v6
	ds_add_f32 v30, v6
.LBB18_30:                              ;   in Loop: Header=BB18_26 Depth=3
	s_or_b32 exec_lo, exec_lo, s57
	v_mov_b32_e32 v6, v5
	s_and_not1_b32 s56, s56, exec_lo
	s_and_b32 s20, s20, exec_lo
	s_mov_b32 s57, -1
	s_or_b32 s56, s56, s20
                                        ; implicit-def: $vgpr7
	s_and_saveexec_b32 s20, s19
	s_cbranch_execz .LBB18_25
; %bb.31:                               ;   in Loop: Header=BB18_26 Depth=3
	v_dual_mov_b32 v6, v5 :: v_dual_add_nc_u32 v7, 16, v5
	s_and_not1_b32 s56, s56, exec_lo
	s_delay_alu instid0(VALU_DEP_1)
	v_cmp_ge_i32_e32 vcc_lo, v7, v27
	s_or_not1_b32 s57, vcc_lo, exec_lo
	s_branch .LBB18_25
.LBB18_32:                              ;   in Loop: Header=BB18_20 Depth=2
	s_or_b32 exec_lo, exec_lo, s55
	s_and_saveexec_b32 s19, s54
	s_delay_alu instid0(SALU_CYCLE_1)
	s_xor_b32 s19, exec_lo, s19
; %bb.33:                               ;   in Loop: Header=BB18_20 Depth=2
	v_min_i32_e32 v25, v29, v25
	v_mov_b32_e32 v26, v6
; %bb.34:                               ;   in Loop: Header=BB18_20 Depth=2
	s_or_b32 exec_lo, exec_lo, s19
.LBB18_35:                              ;   in Loop: Header=BB18_20 Depth=2
	s_delay_alu instid0(SALU_CYCLE_1)
	s_or_b32 exec_lo, exec_lo, s53
	ds_bpermute_b32 v5, v14, v26
	s_waitcnt lgkmcnt(0)
	v_min_i32_e32 v5, v5, v26
	ds_bpermute_b32 v6, v15, v5
	s_waitcnt lgkmcnt(0)
	v_min_i32_e32 v5, v6, v5
	ds_bpermute_b32 v6, v16, v5
	s_waitcnt lgkmcnt(0)
	v_min_i32_e32 v5, v6, v5
	ds_bpermute_b32 v6, v17, v5
	s_and_saveexec_b32 s19, s6
	s_cbranch_execz .LBB18_19
; %bb.36:                               ;   in Loop: Header=BB18_20 Depth=2
	v_add_co_u32 v3, vcc_lo, s46, v3
	s_waitcnt lgkmcnt(0)
	v_min_i32_e32 v5, v6, v5
	v_add_co_ci_u32_e32 v4, vcc_lo, s47, v4, vcc_lo
	global_store_b32 v[3:4], v5, off
	s_branch .LBB18_19
.LBB18_37:                              ;   in Loop: Header=BB18_20 Depth=2
                                        ; implicit-def: $vgpr26
	s_branch .LBB18_22
.LBB18_38:                              ;   in Loop: Header=BB18_13 Depth=1
	s_or_b32 exec_lo, exec_lo, s52
.LBB18_39:                              ;   in Loop: Header=BB18_13 Depth=1
	s_delay_alu instid0(SALU_CYCLE_1) | instskip(NEXT) | instid1(SALU_CYCLE_1)
	s_or_b32 exec_lo, exec_lo, s51
	s_and_not1_b32 vcc_lo, exec_lo, s33
	s_cbranch_vccnz .LBB18_53
; %bb.40:                               ;   in Loop: Header=BB18_13 Depth=1
	s_load_b64 s[18:19], s[26:27], 0x0
	s_mov_b32 s20, exec_lo
	s_waitcnt lgkmcnt(0)
	v_add_nc_u32_e32 v2, s18, v11
	s_sub_i32 s51, s19, s31
	s_delay_alu instid0(VALU_DEP_1) | instid1(SALU_CYCLE_1)
	v_cmpx_gt_i32_e64 s51, v2
	s_cbranch_execz .LBB18_52
; %bb.41:                               ;   in Loop: Header=BB18_13 Depth=1
	s_mov_b32 s52, 0
                                        ; implicit-def: $sgpr53
                                        ; implicit-def: $sgpr54
	s_branch .LBB18_43
.LBB18_42:                              ;   in Loop: Header=BB18_43 Depth=2
	s_or_b32 exec_lo, exec_lo, s55
	s_delay_alu instid0(SALU_CYCLE_1) | instskip(NEXT) | instid1(SALU_CYCLE_1)
	s_and_b32 s18, exec_lo, s19
	s_or_b32 s52, s18, s52
	s_and_not1_b32 s18, s53, exec_lo
	s_and_b32 s19, s54, exec_lo
	s_delay_alu instid0(SALU_CYCLE_1)
	s_or_b32 s53, s18, s19
	s_and_not1_b32 exec_lo, exec_lo, s52
	s_cbranch_execz .LBB18_49
.LBB18_43:                              ;   Parent Loop BB18_13 Depth=1
                                        ; =>  This Inner Loop Header: Depth=2
	v_ashrrev_i32_e32 v3, 31, v2
	s_delay_alu instid0(VALU_DEP_1) | instskip(NEXT) | instid1(VALU_DEP_1)
	v_lshlrev_b64 v[3:4], 2, v[2:3]
	v_add_co_u32 v5, vcc_lo, s22, v3
	s_delay_alu instid0(VALU_DEP_2) | instskip(SKIP_3) | instid1(VALU_DEP_1)
	v_add_co_ci_u32_e32 v6, vcc_lo, s23, v4, vcc_lo
	global_load_b32 v5, v[5:6], off
	s_waitcnt vmcnt(0)
	v_subrev_nc_u32_e32 v5, s31, v5
	v_cmp_lt_i32_e64 s18, v5, v23
	v_cmp_ge_i32_e64 s19, v5, v24
	v_cmp_lt_i32_e32 vcc_lo, v5, v24
	s_delay_alu instid0(VALU_DEP_2) | instskip(SKIP_2) | instid1(SALU_CYCLE_1)
	s_or_b32 s55, s18, s19
	s_mov_b32 s18, 0
                                        ; implicit-def: $sgpr19
	s_and_saveexec_b32 s56, s55
	s_xor_b32 s55, exec_lo, s56
; %bb.44:                               ;   in Loop: Header=BB18_43 Depth=2
	s_mov_b32 s19, -1
	s_and_b32 s18, vcc_lo, exec_lo
                                        ; implicit-def: $vgpr3_vgpr4
; %bb.45:                               ;   in Loop: Header=BB18_43 Depth=2
	s_and_not1_saveexec_b32 s55, s55
	s_cbranch_execz .LBB18_47
; %bb.46:                               ;   in Loop: Header=BB18_43 Depth=2
	v_add_co_u32 v3, vcc_lo, s24, v3
	v_add_co_ci_u32_e32 v4, vcc_lo, s25, v4, vcc_lo
	s_or_b32 s18, s18, exec_lo
	global_load_b32 v3, v[3:4], off
	v_sub_nc_u32_e32 v4, v5, v23
	s_delay_alu instid0(VALU_DEP_1)
	v_lshlrev_b32_e32 v6, 2, v4
	ds_store_b8 v4, v22 offset:8192
	s_waitcnt vmcnt(0)
	v_mul_f32_e32 v3, v9, v3
	ds_add_f32 v6, v3
.LBB18_47:                              ;   in Loop: Header=BB18_43 Depth=2
	s_or_b32 exec_lo, exec_lo, s55
	s_delay_alu instid0(SALU_CYCLE_1)
	s_and_not1_b32 s54, s54, exec_lo
	s_and_b32 s55, s19, exec_lo
	s_mov_b32 s19, -1
	s_or_b32 s54, s54, s55
	s_and_saveexec_b32 s55, s18
	s_cbranch_execz .LBB18_42
; %bb.48:                               ;   in Loop: Header=BB18_43 Depth=2
	v_add_nc_u32_e32 v2, 0x200, v2
	s_and_not1_b32 s54, s54, exec_lo
	s_delay_alu instid0(VALU_DEP_1)
	v_cmp_le_i32_e32 vcc_lo, s51, v2
	s_or_not1_b32 s19, vcc_lo, exec_lo
	s_branch .LBB18_42
.LBB18_49:                              ;   in Loop: Header=BB18_13 Depth=1
	s_or_b32 exec_lo, exec_lo, s52
	s_and_saveexec_b32 s18, s53
	s_delay_alu instid0(SALU_CYCLE_1)
	s_xor_b32 s18, exec_lo, s18
; %bb.50:                               ;   in Loop: Header=BB18_13 Depth=1
	v_min_i32_e32 v25, v5, v25
; %bb.51:                               ;   in Loop: Header=BB18_13 Depth=1
	s_or_b32 exec_lo, exec_lo, s18
.LBB18_52:                              ;   in Loop: Header=BB18_13 Depth=1
	s_delay_alu instid0(SALU_CYCLE_1)
	s_or_b32 exec_lo, exec_lo, s20
.LBB18_53:                              ;   in Loop: Header=BB18_13 Depth=1
	ds_bpermute_b32 v2, v14, v25
	s_waitcnt lgkmcnt(0)
	v_min_i32_e32 v2, v2, v25
	ds_bpermute_b32 v3, v15, v2
	s_waitcnt lgkmcnt(0)
	v_min_i32_e32 v2, v3, v2
	;; [unrolled: 3-line block ×3, first 2 shown]
	ds_bpermute_b32 v3, v17, v2
	s_and_saveexec_b32 s18, s6
	s_cbranch_execz .LBB18_58
; %bb.54:                               ;   in Loop: Header=BB18_13 Depth=1
	s_waitcnt lgkmcnt(0)
	v_min_i32_e32 v2, v3, v2
	s_mov_b32 s20, exec_lo
	s_brev_b32 s19, -2
.LBB18_55:                              ;   Parent Loop BB18_13 Depth=1
                                        ; =>  This Inner Loop Header: Depth=2
	s_ctz_i32_b32 s51, s20
	s_delay_alu instid0(VALU_DEP_1) | instid1(SALU_CYCLE_1)
	v_readlane_b32 s52, v2, s51
	s_lshl_b32 s51, 1, s51
	s_delay_alu instid0(SALU_CYCLE_1) | instskip(NEXT) | instid1(VALU_DEP_1)
	s_and_not1_b32 s20, s20, s51
	s_min_i32 s19, s19, s52
	s_cmp_lg_u32 s20, 0
	s_cbranch_scc1 .LBB18_55
; %bb.56:                               ;   in Loop: Header=BB18_13 Depth=1
	v_mbcnt_lo_u32_b32 v2, exec_lo, 0
	s_mov_b32 s20, exec_lo
	s_delay_alu instid0(VALU_DEP_1)
	v_cmpx_eq_u32_e32 0, v2
	s_xor_b32 s20, exec_lo, s20
	s_cbranch_execz .LBB18_58
; %bb.57:                               ;   in Loop: Header=BB18_13 Depth=1
	v_mov_b32_e32 v2, s19
	ds_min_i32 v21, v2 offset:10240
.LBB18_58:                              ;   in Loop: Header=BB18_13 Depth=1
	s_or_b32 exec_lo, exec_lo, s18
	s_waitcnt lgkmcnt(0)
	v_dual_mov_b32 v2, v0 :: v_dual_mov_b32 v3, v18
	s_mov_b32 s18, 0
	s_waitcnt_vscnt null, 0x0
	s_barrier
	buffer_gl0_inv
	s_branch .LBB18_60
.LBB18_59:                              ;   in Loop: Header=BB18_60 Depth=2
	s_or_b32 exec_lo, exec_lo, s19
	s_waitcnt lgkmcnt(0)
	s_waitcnt_vscnt null, 0x0
	s_barrier
	buffer_gl0_inv
	ds_load_b32 v4, v21 offset:60
	v_add_nc_u32_e32 v3, 0x200, v3
	v_add_nc_u32_e32 v2, 0x800, v2
	s_delay_alu instid0(VALU_DEP_2)
	v_cmp_lt_u32_e32 vcc_lo, 0x5ff, v3
	s_or_b32 s18, vcc_lo, s18
	s_waitcnt lgkmcnt(0)
	v_add_nc_u32_e32 v20, v4, v20
	s_and_not1_b32 exec_lo, exec_lo, s18
	s_cbranch_execz .LBB18_12
.LBB18_60:                              ;   Parent Loop BB18_13 Depth=1
                                        ; =>  This Inner Loop Header: Depth=2
	ds_load_u8 v35, v3 offset:8704
	ds_load_b32 v4, v2
	s_waitcnt lgkmcnt(0)
	s_barrier
	buffer_gl0_inv
	v_cmp_ne_u16_e32 vcc_lo, 0, v35
	s_bcnt1_i32_b32 s19, vcc_lo
	s_delay_alu instid0(SALU_CYCLE_1)
	v_mov_b32_e32 v5, s19
	s_mov_b32 s19, exec_lo
	ds_store_b32 v13, v5
	s_waitcnt lgkmcnt(0)
	s_barrier
	buffer_gl0_inv
	ds_load_b128 v[23:26], v21
	ds_load_b128 v[27:30], v21 offset:16
	v_and_b32_e32 v5, vcc_lo, v1
	ds_load_b128 v[31:34], v21 offset:32
	s_waitcnt lgkmcnt(2)
	v_cndmask_b32_e64 v6, v23, 0, s2
	v_cndmask_b32_e64 v23, v24, 0, s3
	;; [unrolled: 1-line block ×4, first 2 shown]
	s_waitcnt lgkmcnt(1)
	v_cndmask_b32_e64 v27, v27, 0, s7
	v_bcnt_u32_b32 v25, v5, v6
	ds_load_b96 v[5:7], v21 offset:48
	v_add3_u32 v23, v25, v23, v24
	v_cndmask_b32_e64 v24, v28, 0, s8
	v_cndmask_b32_e64 v25, v29, 0, s9
	s_delay_alu instid0(VALU_DEP_3) | instskip(SKIP_3) | instid1(VALU_DEP_3)
	v_add3_u32 v23, v23, v26, v27
	v_cndmask_b32_e64 v26, v30, 0, s10
	s_waitcnt lgkmcnt(1)
	v_cndmask_b32_e64 v27, v31, 0, s11
	v_add3_u32 v23, v23, v24, v25
	v_cndmask_b32_e64 v24, v32, 0, s12
	v_cndmask_b32_e64 v25, v33, 0, s13
	s_delay_alu instid0(VALU_DEP_3)
	v_add3_u32 v23, v23, v26, v27
	v_cndmask_b32_e64 v26, v34, 0, s14
	s_waitcnt lgkmcnt(0)
	v_cndmask_b32_e64 v5, v5, 0, s15
	v_cndmask_b32_e64 v6, v6, 0, s16
	;; [unrolled: 1-line block ×3, first 2 shown]
	v_add3_u32 v23, v23, v24, v25
	s_delay_alu instid0(VALU_DEP_1) | instskip(SKIP_1) | instid1(VALU_DEP_2)
	v_add3_u32 v5, v23, v26, v5
	v_and_b32_e32 v23, 1, v35
	v_add3_u32 v5, v5, v6, v7
	s_delay_alu instid0(VALU_DEP_2)
	v_cmpx_eq_u32_e32 1, v23
	s_cbranch_execz .LBB18_62
; %bb.61:                               ;   in Loop: Header=BB18_60 Depth=2
	s_delay_alu instid0(VALU_DEP_2) | instskip(NEXT) | instid1(VALU_DEP_1)
	v_add_nc_u32_e32 v6, v5, v20
	v_ashrrev_i32_e32 v7, 31, v6
	s_delay_alu instid0(VALU_DEP_1) | instskip(NEXT) | instid1(VALU_DEP_1)
	v_lshlrev_b64 v[6:7], 2, v[6:7]
	v_add_co_u32 v6, vcc_lo, s44, v6
	s_delay_alu instid0(VALU_DEP_2)
	v_add_co_ci_u32_e32 v7, vcc_lo, s45, v7, vcc_lo
	global_store_b32 v[6:7], v4, off
.LBB18_62:                              ;   in Loop: Header=BB18_60 Depth=2
	s_or_b32 exec_lo, exec_lo, s19
	s_and_saveexec_b32 s19, s1
	s_cbranch_execz .LBB18_59
; %bb.63:                               ;   in Loop: Header=BB18_60 Depth=2
	ds_store_b32 v21, v5 offset:60
	s_branch .LBB18_59
.LBB18_64:
	s_endpgm
	.section	.rodata,"a",@progbits
	.p2align	6, 0x0
	.amdhsa_kernel _ZN9rocsparseL51csrgemm_numeric_fill_block_per_row_multipass_kernelILj512ELj16ELj2048ELj32EiifEEvT4_PKS1_S3_NS_24const_host_device_scalarIT5_EEPKT3_S3_PKS5_S9_S3_SB_S6_S9_S3_SB_S9_S3_PS5_PS7_21rocsparse_index_base_SE_SE_SE_bbb
		.amdhsa_group_segment_fixed_size 10244
		.amdhsa_private_segment_fixed_size 0
		.amdhsa_kernarg_size 164
		.amdhsa_user_sgpr_count 15
		.amdhsa_user_sgpr_dispatch_ptr 0
		.amdhsa_user_sgpr_queue_ptr 0
		.amdhsa_user_sgpr_kernarg_segment_ptr 1
		.amdhsa_user_sgpr_dispatch_id 0
		.amdhsa_user_sgpr_private_segment_size 0
		.amdhsa_wavefront_size32 1
		.amdhsa_uses_dynamic_stack 0
		.amdhsa_enable_private_segment 0
		.amdhsa_system_sgpr_workgroup_id_x 1
		.amdhsa_system_sgpr_workgroup_id_y 0
		.amdhsa_system_sgpr_workgroup_id_z 0
		.amdhsa_system_sgpr_workgroup_info 0
		.amdhsa_system_vgpr_workitem_id 0
		.amdhsa_next_free_vgpr 36
		.amdhsa_next_free_sgpr 59
		.amdhsa_reserve_vcc 1
		.amdhsa_float_round_mode_32 0
		.amdhsa_float_round_mode_16_64 0
		.amdhsa_float_denorm_mode_32 3
		.amdhsa_float_denorm_mode_16_64 3
		.amdhsa_dx10_clamp 1
		.amdhsa_ieee_mode 1
		.amdhsa_fp16_overflow 0
		.amdhsa_workgroup_processor_mode 1
		.amdhsa_memory_ordered 1
		.amdhsa_forward_progress 0
		.amdhsa_shared_vgpr_count 0
		.amdhsa_exception_fp_ieee_invalid_op 0
		.amdhsa_exception_fp_denorm_src 0
		.amdhsa_exception_fp_ieee_div_zero 0
		.amdhsa_exception_fp_ieee_overflow 0
		.amdhsa_exception_fp_ieee_underflow 0
		.amdhsa_exception_fp_ieee_inexact 0
		.amdhsa_exception_int_div_zero 0
	.end_amdhsa_kernel
	.section	.text._ZN9rocsparseL51csrgemm_numeric_fill_block_per_row_multipass_kernelILj512ELj16ELj2048ELj32EiifEEvT4_PKS1_S3_NS_24const_host_device_scalarIT5_EEPKT3_S3_PKS5_S9_S3_SB_S6_S9_S3_SB_S9_S3_PS5_PS7_21rocsparse_index_base_SE_SE_SE_bbb,"axG",@progbits,_ZN9rocsparseL51csrgemm_numeric_fill_block_per_row_multipass_kernelILj512ELj16ELj2048ELj32EiifEEvT4_PKS1_S3_NS_24const_host_device_scalarIT5_EEPKT3_S3_PKS5_S9_S3_SB_S6_S9_S3_SB_S9_S3_PS5_PS7_21rocsparse_index_base_SE_SE_SE_bbb,comdat
.Lfunc_end18:
	.size	_ZN9rocsparseL51csrgemm_numeric_fill_block_per_row_multipass_kernelILj512ELj16ELj2048ELj32EiifEEvT4_PKS1_S3_NS_24const_host_device_scalarIT5_EEPKT3_S3_PKS5_S9_S3_SB_S6_S9_S3_SB_S9_S3_PS5_PS7_21rocsparse_index_base_SE_SE_SE_bbb, .Lfunc_end18-_ZN9rocsparseL51csrgemm_numeric_fill_block_per_row_multipass_kernelILj512ELj16ELj2048ELj32EiifEEvT4_PKS1_S3_NS_24const_host_device_scalarIT5_EEPKT3_S3_PKS5_S9_S3_SB_S6_S9_S3_SB_S9_S3_PS5_PS7_21rocsparse_index_base_SE_SE_SE_bbb
                                        ; -- End function
	.section	.AMDGPU.csdata,"",@progbits
; Kernel info:
; codeLenInByte = 2804
; NumSgprs: 61
; NumVgprs: 36
; ScratchSize: 0
; MemoryBound: 0
; FloatMode: 240
; IeeeMode: 1
; LDSByteSize: 10244 bytes/workgroup (compile time only)
; SGPRBlocks: 7
; VGPRBlocks: 4
; NumSGPRsForWavesPerEU: 61
; NumVGPRsForWavesPerEU: 36
; Occupancy: 16
; WaveLimiterHint : 1
; COMPUTE_PGM_RSRC2:SCRATCH_EN: 0
; COMPUTE_PGM_RSRC2:USER_SGPR: 15
; COMPUTE_PGM_RSRC2:TRAP_HANDLER: 0
; COMPUTE_PGM_RSRC2:TGID_X_EN: 1
; COMPUTE_PGM_RSRC2:TGID_Y_EN: 0
; COMPUTE_PGM_RSRC2:TGID_Z_EN: 0
; COMPUTE_PGM_RSRC2:TIDIG_COMP_CNT: 0
	.section	.text._ZN9rocsparseL51csrgemm_numeric_fill_block_per_row_multipass_kernelILj512ELj16ELj2048ELj64EiifEEvT4_PKS1_S3_NS_24const_host_device_scalarIT5_EEPKT3_S3_PKS5_S9_S3_SB_S6_S9_S3_SB_S9_S3_PS5_PS7_21rocsparse_index_base_SE_SE_SE_bbb,"axG",@progbits,_ZN9rocsparseL51csrgemm_numeric_fill_block_per_row_multipass_kernelILj512ELj16ELj2048ELj64EiifEEvT4_PKS1_S3_NS_24const_host_device_scalarIT5_EEPKT3_S3_PKS5_S9_S3_SB_S6_S9_S3_SB_S9_S3_PS5_PS7_21rocsparse_index_base_SE_SE_SE_bbb,comdat
	.globl	_ZN9rocsparseL51csrgemm_numeric_fill_block_per_row_multipass_kernelILj512ELj16ELj2048ELj64EiifEEvT4_PKS1_S3_NS_24const_host_device_scalarIT5_EEPKT3_S3_PKS5_S9_S3_SB_S6_S9_S3_SB_S9_S3_PS5_PS7_21rocsparse_index_base_SE_SE_SE_bbb ; -- Begin function _ZN9rocsparseL51csrgemm_numeric_fill_block_per_row_multipass_kernelILj512ELj16ELj2048ELj64EiifEEvT4_PKS1_S3_NS_24const_host_device_scalarIT5_EEPKT3_S3_PKS5_S9_S3_SB_S6_S9_S3_SB_S9_S3_PS5_PS7_21rocsparse_index_base_SE_SE_SE_bbb
	.p2align	8
	.type	_ZN9rocsparseL51csrgemm_numeric_fill_block_per_row_multipass_kernelILj512ELj16ELj2048ELj64EiifEEvT4_PKS1_S3_NS_24const_host_device_scalarIT5_EEPKT3_S3_PKS5_S9_S3_SB_S6_S9_S3_SB_S9_S3_PS5_PS7_21rocsparse_index_base_SE_SE_SE_bbb,@function
_ZN9rocsparseL51csrgemm_numeric_fill_block_per_row_multipass_kernelILj512ELj16ELj2048ELj64EiifEEvT4_PKS1_S3_NS_24const_host_device_scalarIT5_EEPKT3_S3_PKS5_S9_S3_SB_S6_S9_S3_SB_S9_S3_PS5_PS7_21rocsparse_index_base_SE_SE_SE_bbb: ; @_ZN9rocsparseL51csrgemm_numeric_fill_block_per_row_multipass_kernelILj512ELj16ELj2048ELj64EiifEEvT4_PKS1_S3_NS_24const_host_device_scalarIT5_EEPKT3_S3_PKS5_S9_S3_SB_S6_S9_S3_SB_S9_S3_PS5_PS7_21rocsparse_index_base_SE_SE_SE_bbb
; %bb.0:
	s_clause 0x4
	s_load_b32 s11, s[0:1], 0xa0
	s_load_b128 s[4:7], s[0:1], 0x8
	s_load_b64 s[2:3], s[0:1], 0x18
	s_load_b128 s[28:31], s[0:1], 0x90
	s_load_b64 s[8:9], s[0:1], 0x50
	s_waitcnt lgkmcnt(0)
	s_bitcmp1_b32 s11, 0
	s_cselect_b32 s10, -1, 0
	s_bitcmp1_b32 s11, 16
	s_cselect_b32 s12, -1, 0
	s_xor_b32 s13, s10, -1
	s_delay_alu instid0(SALU_CYCLE_1) | instskip(NEXT) | instid1(SALU_CYCLE_1)
	s_or_b32 s13, s13, s12
	s_and_b32 vcc_lo, exec_lo, s13
	s_cbranch_vccnz .LBB19_2
; %bb.1:
	s_load_b32 s2, s[2:3], 0x0
	s_waitcnt lgkmcnt(0)
	v_mov_b32_e32 v8, s2
	s_branch .LBB19_3
.LBB19_2:
	v_cndmask_b32_e64 v8, 0, s2, s10
.LBB19_3:
	s_load_b64 s[2:3], s[0:1], 0x20
	s_bitcmp1_b32 s11, 8
	s_cselect_b32 s33, -1, 0
	s_delay_alu instid0(SALU_CYCLE_1) | instskip(NEXT) | instid1(SALU_CYCLE_1)
	s_xor_b32 s11, s33, -1
	s_or_b32 s11, s11, s12
	s_delay_alu instid0(SALU_CYCLE_1)
	s_and_b32 vcc_lo, exec_lo, s11
	s_cbranch_vccnz .LBB19_5
; %bb.4:
	s_load_b32 s8, s[8:9], 0x0
	s_waitcnt lgkmcnt(0)
	v_mov_b32_e32 v9, s8
	s_branch .LBB19_6
.LBB19_5:
	v_cndmask_b32_e64 v9, 0, s8, s33
.LBB19_6:
	s_load_b32 s4, s[4:5], 0x0
	s_mov_b32 s35, 0
	s_waitcnt lgkmcnt(0)
	s_add_i32 s34, s4, s15
	s_delay_alu instid0(SALU_CYCLE_1) | instskip(NEXT) | instid1(SALU_CYCLE_1)
	s_lshl_b64 s[4:5], s[34:35], 2
	s_add_u32 s4, s6, s4
	s_addc_u32 s5, s7, s5
	s_and_not1_b32 vcc_lo, exec_lo, s10
	s_load_b32 s8, s[4:5], 0x0
	s_mov_b32 s7, 0
	s_cbranch_vccz .LBB19_9
; %bb.7:
	s_and_not1_b32 vcc_lo, exec_lo, s10
	s_cbranch_vccz .LBB19_10
.LBB19_8:
	s_load_b32 s34, s[0:1], 0x0
	s_waitcnt lgkmcnt(0)
	s_cmp_lt_i32 s34, 1
	s_cbranch_scc0 .LBB19_11
	s_branch .LBB19_64
.LBB19_9:
	s_waitcnt lgkmcnt(0)
	s_ashr_i32 s9, s8, 31
	s_delay_alu instid0(SALU_CYCLE_1) | instskip(NEXT) | instid1(SALU_CYCLE_1)
	s_lshl_b64 s[4:5], s[8:9], 2
	s_add_u32 s4, s2, s4
	s_addc_u32 s5, s3, s5
	s_load_b32 s4, s[4:5], 0x0
	s_waitcnt lgkmcnt(0)
	s_sub_i32 s7, s4, s28
	s_and_not1_b32 vcc_lo, exec_lo, s10
	s_cbranch_vccnz .LBB19_8
.LBB19_10:
	s_waitcnt lgkmcnt(0)
	s_ashr_i32 s9, s8, 31
	s_delay_alu instid0(SALU_CYCLE_1) | instskip(NEXT) | instid1(SALU_CYCLE_1)
	s_lshl_b64 s[4:5], s[8:9], 2
	s_add_u32 s2, s2, s4
	s_addc_u32 s3, s3, s5
	s_load_b32 s2, s[2:3], 0x4
	s_waitcnt lgkmcnt(0)
	s_sub_i32 s35, s2, s28
	s_load_b32 s34, s[0:1], 0x0
	s_waitcnt lgkmcnt(0)
	s_cmp_lt_i32 s34, 1
	s_cbranch_scc1 .LBB19_64
.LBB19_11:
	s_clause 0x3
	s_load_b256 s[12:19], s[0:1], 0x58
	s_load_b128 s[36:39], s[0:1], 0x80
	s_load_b64 s[40:41], s[0:1], 0x48
	s_load_b256 s[20:27], s[0:1], 0x28
	v_mbcnt_lo_u32_b32 v2, -1, 0
	s_ashr_i32 s9, s8, 31
	v_lshrrev_b32_e32 v1, 4, v0
	s_lshl_b64 s[42:43], s[8:9], 2
	v_mov_b32_e32 v21, 0
	v_xor_b32_e32 v3, 8, v2
	v_xor_b32_e32 v4, 4, v2
	;; [unrolled: 1-line block ×4, first 2 shown]
	v_add_nc_u32_e32 v12, s7, v1
	v_xor_b32_e32 v7, 63, v2
	v_dual_mov_b32 v19, 0 :: v_dual_and_b32 v10, 15, v0
	v_dual_mov_b32 v24, 0x800 :: v_dual_and_b32 v13, 28, v1
	s_delay_alu instid0(VALU_DEP_4)
	v_cmp_gt_i32_e32 vcc_lo, s35, v12
	s_waitcnt lgkmcnt(0)
	s_add_u32 s8, s18, s42
	s_addc_u32 s9, s19, s43
	v_cmp_eq_u32_e64 s0, 0, v0
	s_load_b32 s9, s[8:9], 0x0
	v_cmp_gt_i32_e64 s8, 32, v3
	v_subrev_nc_u32_e32 v11, s31, v0
	v_cmp_eq_u32_e64 s1, 0x1ff, v0
	v_cmp_gt_u32_e64 s2, 64, v0
	v_cmp_gt_u32_e64 s3, 0x80, v0
	v_cndmask_b32_e64 v3, v2, v3, s8
	v_cmp_gt_i32_e64 s8, 32, v4
	v_cmp_gt_u32_e64 s4, 0xc0, v0
	v_cmp_gt_u32_e64 s5, 0x100, v0
	v_cmp_gt_u32_e64 s6, 0x140, v0
	v_cmp_eq_u32_e64 s7, 15, v10
	v_cndmask_b32_e64 v4, v2, v4, s8
	v_cmp_gt_i32_e64 s8, 32, v5
	v_dual_mov_b32 v23, 0 :: v_dual_lshlrev_b32 v14, 2, v3
	v_or_b32_e32 v18, 0xfffffe00, v0
	v_mov_b32_e32 v22, 1
	s_delay_alu instid0(VALU_DEP_4)
	v_cndmask_b32_e64 v5, v2, v5, s8
	v_cmp_gt_i32_e64 s8, 32, v6
	s_waitcnt lgkmcnt(0)
	s_sub_i32 s11, s9, s30
	s_add_u32 s18, s12, s42
	s_addc_u32 s19, s13, s43
	s_and_b32 s13, s10, vcc_lo
	v_cndmask_b32_e64 v6, v2, v6, s8
	v_lshrrev_b64 v[1:2], v7, -1
	v_dual_mov_b32 v20, s11 :: v_dual_lshlrev_b32 v15, 2, v4
	v_lshlrev_b32_e32 v16, 2, v5
	s_delay_alu instid0(VALU_DEP_4)
	v_lshlrev_b32_e32 v17, 2, v6
	v_cmp_gt_u32_e64 s8, 0x180, v0
	v_cmp_gt_u32_e64 s9, 0x1c0, v0
	s_add_u32 s30, s24, 4
	v_lshlrev_b32_e32 v0, 2, v0
	s_addc_u32 s42, s25, 0
	s_add_u32 s36, s36, -4
	s_addc_u32 s37, s37, -1
	s_branch .LBB19_13
.LBB19_12:                              ;   in Loop: Header=BB19_13 Depth=1
	s_or_b32 exec_lo, exec_lo, s10
	ds_load_b32 v23, v21 offset:10240
	s_waitcnt lgkmcnt(0)
	s_barrier
	buffer_gl0_inv
	v_cmp_le_i32_e32 vcc_lo, s34, v23
	v_add_nc_u32_e32 v24, 0x800, v23
	s_cbranch_vccnz .LBB19_64
.LBB19_13:                              ; =>This Loop Header: Depth=1
                                        ;     Child Loop BB19_14 Depth 2
                                        ;     Child Loop BB19_20 Depth 2
                                        ;       Child Loop BB19_26 Depth 3
                                        ;     Child Loop BB19_43 Depth 2
                                        ;     Child Loop BB19_55 Depth 2
	;; [unrolled: 1-line block ×3, first 2 shown]
	v_dual_mov_b32 v2, v0 :: v_dual_mov_b32 v3, v18
	s_mov_b32 s10, 0
.LBB19_14:                              ;   Parent Loop BB19_13 Depth=1
                                        ; =>  This Inner Loop Header: Depth=2
	ds_store_b8 v3, v19 offset:8704
	v_add_nc_u32_e32 v3, 0x200, v3
	ds_store_b32 v2, v21
	v_add_nc_u32_e32 v2, 0x800, v2
	v_cmp_lt_u32_e32 vcc_lo, 0x5ff, v3
	s_or_b32 s10, vcc_lo, s10
	s_delay_alu instid0(SALU_CYCLE_1)
	s_and_not1_b32 exec_lo, exec_lo, s10
	s_cbranch_execnz .LBB19_14
; %bb.15:                               ;   in Loop: Header=BB19_13 Depth=1
	s_or_b32 exec_lo, exec_lo, s10
	s_and_saveexec_b32 s10, s0
	s_cbranch_execz .LBB19_17
; %bb.16:                               ;   in Loop: Header=BB19_13 Depth=1
	v_mov_b32_e32 v2, s34
	ds_store_b32 v21, v2 offset:10240
.LBB19_17:                              ;   in Loop: Header=BB19_13 Depth=1
	s_or_b32 exec_lo, exec_lo, s10
	v_mov_b32_e32 v25, s34
	s_waitcnt lgkmcnt(0)
	s_barrier
	buffer_gl0_inv
	s_and_saveexec_b32 s43, s13
	s_cbranch_execz .LBB19_39
; %bb.18:                               ;   in Loop: Header=BB19_13 Depth=1
	v_cmp_ne_u32_e64 s10, 0, v23
	v_dual_mov_b32 v25, s34 :: v_dual_mov_b32 v2, v12
	s_mov_b32 s44, 0
	s_branch .LBB19_20
.LBB19_19:                              ;   in Loop: Header=BB19_20 Depth=2
	s_or_b32 exec_lo, exec_lo, s11
	v_add_nc_u32_e32 v2, 32, v2
	s_delay_alu instid0(VALU_DEP_1) | instskip(SKIP_1) | instid1(SALU_CYCLE_1)
	v_cmp_le_i32_e32 vcc_lo, s35, v2
	s_or_b32 s44, vcc_lo, s44
	s_and_not1_b32 exec_lo, exec_lo, s44
	s_cbranch_execz .LBB19_38
.LBB19_20:                              ;   Parent Loop BB19_13 Depth=1
                                        ; =>  This Loop Header: Depth=2
                                        ;       Child Loop BB19_26 Depth 3
	s_delay_alu instid0(VALU_DEP_1) | instskip(NEXT) | instid1(VALU_DEP_1)
	v_ashrrev_i32_e32 v3, 31, v2
	v_lshlrev_b64 v[3:4], 2, v[2:3]
	s_delay_alu instid0(VALU_DEP_1) | instskip(SKIP_1) | instid1(VALU_DEP_2)
	v_add_co_u32 v5, vcc_lo, s20, v3
	s_waitcnt lgkmcnt(0)
	v_add_co_ci_u32_e32 v6, vcc_lo, s21, v4, vcc_lo
	global_load_b32 v26, v[5:6], off
	v_add_co_u32 v5, vcc_lo, s22, v3
	v_add_co_ci_u32_e32 v6, vcc_lo, s23, v4, vcc_lo
	s_and_b32 vcc_lo, exec_lo, s10
	global_load_b32 v7, v[5:6], off
	s_waitcnt vmcnt(1)
	v_subrev_nc_u32_e32 v5, s28, v26
	s_delay_alu instid0(VALU_DEP_1)
	v_ashrrev_i32_e32 v6, 31, v5
	s_cbranch_vccz .LBB19_37
; %bb.21:                               ;   in Loop: Header=BB19_20 Depth=2
	v_add_co_u32 v26, vcc_lo, s38, v3
	v_add_co_ci_u32_e32 v27, vcc_lo, s39, v4, vcc_lo
	global_load_b32 v26, v[26:27], off
	s_cbranch_execnz .LBB19_23
.LBB19_22:                              ;   in Loop: Header=BB19_20 Depth=2
	s_waitcnt vmcnt(0)
	s_delay_alu instid0(VALU_DEP_1) | instskip(NEXT) | instid1(VALU_DEP_1)
	v_lshlrev_b64 v[26:27], 2, v[5:6]
	v_add_co_u32 v26, vcc_lo, s24, v26
	s_delay_alu instid0(VALU_DEP_2)
	v_add_co_ci_u32_e32 v27, vcc_lo, s25, v27, vcc_lo
	global_load_b32 v26, v[26:27], off
	s_waitcnt vmcnt(0)
	v_subrev_nc_u32_e32 v26, s29, v26
.LBB19_23:                              ;   in Loop: Header=BB19_20 Depth=2
	v_lshlrev_b64 v[5:6], 2, v[5:6]
	s_waitcnt vmcnt(0)
	s_delay_alu instid0(VALU_DEP_2) | instskip(SKIP_1) | instid1(VALU_DEP_2)
	v_add_nc_u32_e32 v26, v26, v10
	s_mov_b32 s45, exec_lo
	v_add_co_u32 v5, vcc_lo, s30, v5
	s_delay_alu instid0(VALU_DEP_3) | instskip(SKIP_3) | instid1(VALU_DEP_1)
	v_add_co_ci_u32_e32 v6, vcc_lo, s42, v6, vcc_lo
	global_load_b32 v5, v[5:6], off
	s_waitcnt vmcnt(0)
	v_subrev_nc_u32_e32 v27, s29, v5
	v_cmpx_lt_i32_e64 v26, v27
	s_cbranch_execz .LBB19_35
; %bb.24:                               ;   in Loop: Header=BB19_20 Depth=2
	v_dual_mul_f32 v28, v8, v7 :: v_dual_mov_b32 v5, v26
	s_mov_b32 s47, 0
                                        ; implicit-def: $sgpr46
                                        ; implicit-def: $sgpr48
	s_branch .LBB19_26
.LBB19_25:                              ;   in Loop: Header=BB19_26 Depth=3
	s_or_b32 exec_lo, exec_lo, s12
	s_delay_alu instid0(SALU_CYCLE_1) | instskip(SKIP_4) | instid1(SALU_CYCLE_1)
	s_and_b32 s11, exec_lo, s49
	v_mov_b32_e32 v5, v7
	s_or_b32 s47, s11, s47
	s_and_not1_b32 s11, s46, exec_lo
	s_and_b32 s12, s48, exec_lo
	s_or_b32 s46, s11, s12
	s_and_not1_b32 exec_lo, exec_lo, s47
	s_cbranch_execz .LBB19_32
.LBB19_26:                              ;   Parent Loop BB19_13 Depth=1
                                        ;     Parent Loop BB19_20 Depth=2
                                        ; =>    This Inner Loop Header: Depth=3
	s_delay_alu instid0(VALU_DEP_1) | instskip(NEXT) | instid1(VALU_DEP_1)
	v_ashrrev_i32_e32 v6, 31, v5
	v_lshlrev_b64 v[6:7], 2, v[5:6]
	s_delay_alu instid0(VALU_DEP_1) | instskip(NEXT) | instid1(VALU_DEP_2)
	v_add_co_u32 v29, vcc_lo, s26, v6
	v_add_co_ci_u32_e32 v30, vcc_lo, s27, v7, vcc_lo
	global_load_b32 v29, v[29:30], off
	s_waitcnt vmcnt(0)
	v_subrev_nc_u32_e32 v29, s29, v29
	s_delay_alu instid0(VALU_DEP_1) | instskip(SKIP_2) | instid1(VALU_DEP_2)
	v_cmp_lt_i32_e64 s11, v29, v23
	v_cmp_ge_i32_e64 s12, v29, v24
	v_cmp_lt_i32_e32 vcc_lo, v29, v24
	s_or_b32 s49, s11, s12
	s_mov_b32 s11, 0
                                        ; implicit-def: $sgpr12
	s_and_saveexec_b32 s50, s49
	s_delay_alu instid0(SALU_CYCLE_1)
	s_xor_b32 s49, exec_lo, s50
; %bb.27:                               ;   in Loop: Header=BB19_26 Depth=3
	s_mov_b32 s12, -1
	s_and_b32 s11, vcc_lo, exec_lo
                                        ; implicit-def: $vgpr6_vgpr7
; %bb.28:                               ;   in Loop: Header=BB19_26 Depth=3
	s_and_not1_saveexec_b32 s49, s49
	s_cbranch_execz .LBB19_30
; %bb.29:                               ;   in Loop: Header=BB19_26 Depth=3
	v_add_co_u32 v6, vcc_lo, s40, v6
	v_add_co_ci_u32_e32 v7, vcc_lo, s41, v7, vcc_lo
	s_or_b32 s11, s11, exec_lo
	global_load_b32 v6, v[6:7], off
	v_sub_nc_u32_e32 v7, v29, v23
	s_delay_alu instid0(VALU_DEP_1)
	v_lshlrev_b32_e32 v30, 2, v7
	ds_store_b8 v7, v22 offset:8192
	s_waitcnt vmcnt(0)
	v_mul_f32_e32 v6, v28, v6
	ds_add_f32 v30, v6
.LBB19_30:                              ;   in Loop: Header=BB19_26 Depth=3
	s_or_b32 exec_lo, exec_lo, s49
	v_mov_b32_e32 v6, v5
	s_and_not1_b32 s48, s48, exec_lo
	s_and_b32 s12, s12, exec_lo
	s_mov_b32 s49, -1
	s_or_b32 s48, s48, s12
                                        ; implicit-def: $vgpr7
	s_and_saveexec_b32 s12, s11
	s_cbranch_execz .LBB19_25
; %bb.31:                               ;   in Loop: Header=BB19_26 Depth=3
	v_dual_mov_b32 v6, v5 :: v_dual_add_nc_u32 v7, 16, v5
	s_and_not1_b32 s48, s48, exec_lo
	s_delay_alu instid0(VALU_DEP_1)
	v_cmp_ge_i32_e32 vcc_lo, v7, v27
	s_or_not1_b32 s49, vcc_lo, exec_lo
	s_branch .LBB19_25
.LBB19_32:                              ;   in Loop: Header=BB19_20 Depth=2
	s_or_b32 exec_lo, exec_lo, s47
	s_and_saveexec_b32 s11, s46
	s_delay_alu instid0(SALU_CYCLE_1)
	s_xor_b32 s11, exec_lo, s11
; %bb.33:                               ;   in Loop: Header=BB19_20 Depth=2
	v_min_i32_e32 v25, v29, v25
	v_mov_b32_e32 v26, v6
; %bb.34:                               ;   in Loop: Header=BB19_20 Depth=2
	s_or_b32 exec_lo, exec_lo, s11
.LBB19_35:                              ;   in Loop: Header=BB19_20 Depth=2
	s_delay_alu instid0(SALU_CYCLE_1)
	s_or_b32 exec_lo, exec_lo, s45
	ds_bpermute_b32 v5, v14, v26
	s_waitcnt lgkmcnt(0)
	v_min_i32_e32 v5, v5, v26
	ds_bpermute_b32 v6, v15, v5
	s_waitcnt lgkmcnt(0)
	v_min_i32_e32 v5, v6, v5
	;; [unrolled: 3-line block ×3, first 2 shown]
	ds_bpermute_b32 v6, v17, v5
	s_and_saveexec_b32 s11, s7
	s_cbranch_execz .LBB19_19
; %bb.36:                               ;   in Loop: Header=BB19_20 Depth=2
	v_add_co_u32 v3, vcc_lo, s38, v3
	s_waitcnt lgkmcnt(0)
	v_min_i32_e32 v5, v6, v5
	v_add_co_ci_u32_e32 v4, vcc_lo, s39, v4, vcc_lo
	global_store_b32 v[3:4], v5, off
	s_branch .LBB19_19
.LBB19_37:                              ;   in Loop: Header=BB19_20 Depth=2
                                        ; implicit-def: $vgpr26
	s_branch .LBB19_22
.LBB19_38:                              ;   in Loop: Header=BB19_13 Depth=1
	s_or_b32 exec_lo, exec_lo, s44
.LBB19_39:                              ;   in Loop: Header=BB19_13 Depth=1
	s_delay_alu instid0(SALU_CYCLE_1) | instskip(NEXT) | instid1(SALU_CYCLE_1)
	s_or_b32 exec_lo, exec_lo, s43
	s_and_not1_b32 vcc_lo, exec_lo, s33
	s_cbranch_vccnz .LBB19_53
; %bb.40:                               ;   in Loop: Header=BB19_13 Depth=1
	s_load_b64 s[10:11], s[18:19], 0x0
	s_mov_b32 s12, exec_lo
	s_waitcnt lgkmcnt(0)
	v_add_nc_u32_e32 v2, s10, v11
	s_sub_i32 s43, s11, s31
	s_delay_alu instid0(VALU_DEP_1) | instid1(SALU_CYCLE_1)
	v_cmpx_gt_i32_e64 s43, v2
	s_cbranch_execz .LBB19_52
; %bb.41:                               ;   in Loop: Header=BB19_13 Depth=1
	s_mov_b32 s44, 0
                                        ; implicit-def: $sgpr45
                                        ; implicit-def: $sgpr46
	s_branch .LBB19_43
.LBB19_42:                              ;   in Loop: Header=BB19_43 Depth=2
	s_or_b32 exec_lo, exec_lo, s47
	s_delay_alu instid0(SALU_CYCLE_1) | instskip(NEXT) | instid1(SALU_CYCLE_1)
	s_and_b32 s10, exec_lo, s11
	s_or_b32 s44, s10, s44
	s_and_not1_b32 s10, s45, exec_lo
	s_and_b32 s11, s46, exec_lo
	s_delay_alu instid0(SALU_CYCLE_1)
	s_or_b32 s45, s10, s11
	s_and_not1_b32 exec_lo, exec_lo, s44
	s_cbranch_execz .LBB19_49
.LBB19_43:                              ;   Parent Loop BB19_13 Depth=1
                                        ; =>  This Inner Loop Header: Depth=2
	v_ashrrev_i32_e32 v3, 31, v2
	s_delay_alu instid0(VALU_DEP_1) | instskip(NEXT) | instid1(VALU_DEP_1)
	v_lshlrev_b64 v[3:4], 2, v[2:3]
	v_add_co_u32 v5, vcc_lo, s14, v3
	s_delay_alu instid0(VALU_DEP_2) | instskip(SKIP_3) | instid1(VALU_DEP_1)
	v_add_co_ci_u32_e32 v6, vcc_lo, s15, v4, vcc_lo
	global_load_b32 v5, v[5:6], off
	s_waitcnt vmcnt(0)
	v_subrev_nc_u32_e32 v5, s31, v5
	v_cmp_lt_i32_e64 s10, v5, v23
	v_cmp_ge_i32_e64 s11, v5, v24
	v_cmp_lt_i32_e32 vcc_lo, v5, v24
	s_delay_alu instid0(VALU_DEP_2) | instskip(SKIP_2) | instid1(SALU_CYCLE_1)
	s_or_b32 s47, s10, s11
	s_mov_b32 s10, 0
                                        ; implicit-def: $sgpr11
	s_and_saveexec_b32 s48, s47
	s_xor_b32 s47, exec_lo, s48
; %bb.44:                               ;   in Loop: Header=BB19_43 Depth=2
	s_mov_b32 s11, -1
	s_and_b32 s10, vcc_lo, exec_lo
                                        ; implicit-def: $vgpr3_vgpr4
; %bb.45:                               ;   in Loop: Header=BB19_43 Depth=2
	s_and_not1_saveexec_b32 s47, s47
	s_cbranch_execz .LBB19_47
; %bb.46:                               ;   in Loop: Header=BB19_43 Depth=2
	v_add_co_u32 v3, vcc_lo, s16, v3
	v_add_co_ci_u32_e32 v4, vcc_lo, s17, v4, vcc_lo
	s_or_b32 s10, s10, exec_lo
	global_load_b32 v3, v[3:4], off
	v_sub_nc_u32_e32 v4, v5, v23
	s_delay_alu instid0(VALU_DEP_1)
	v_lshlrev_b32_e32 v6, 2, v4
	ds_store_b8 v4, v22 offset:8192
	s_waitcnt vmcnt(0)
	v_mul_f32_e32 v3, v9, v3
	ds_add_f32 v6, v3
.LBB19_47:                              ;   in Loop: Header=BB19_43 Depth=2
	s_or_b32 exec_lo, exec_lo, s47
	s_delay_alu instid0(SALU_CYCLE_1)
	s_and_not1_b32 s46, s46, exec_lo
	s_and_b32 s47, s11, exec_lo
	s_mov_b32 s11, -1
	s_or_b32 s46, s46, s47
	s_and_saveexec_b32 s47, s10
	s_cbranch_execz .LBB19_42
; %bb.48:                               ;   in Loop: Header=BB19_43 Depth=2
	v_add_nc_u32_e32 v2, 0x200, v2
	s_and_not1_b32 s46, s46, exec_lo
	s_delay_alu instid0(VALU_DEP_1)
	v_cmp_le_i32_e32 vcc_lo, s43, v2
	s_or_not1_b32 s11, vcc_lo, exec_lo
	s_branch .LBB19_42
.LBB19_49:                              ;   in Loop: Header=BB19_13 Depth=1
	s_or_b32 exec_lo, exec_lo, s44
	s_and_saveexec_b32 s10, s45
	s_delay_alu instid0(SALU_CYCLE_1)
	s_xor_b32 s10, exec_lo, s10
; %bb.50:                               ;   in Loop: Header=BB19_13 Depth=1
	v_min_i32_e32 v25, v5, v25
; %bb.51:                               ;   in Loop: Header=BB19_13 Depth=1
	s_or_b32 exec_lo, exec_lo, s10
.LBB19_52:                              ;   in Loop: Header=BB19_13 Depth=1
	s_delay_alu instid0(SALU_CYCLE_1)
	s_or_b32 exec_lo, exec_lo, s12
.LBB19_53:                              ;   in Loop: Header=BB19_13 Depth=1
	ds_bpermute_b32 v2, v14, v25
	s_waitcnt lgkmcnt(0)
	v_min_i32_e32 v2, v2, v25
	ds_bpermute_b32 v3, v15, v2
	s_waitcnt lgkmcnt(0)
	v_min_i32_e32 v2, v3, v2
	;; [unrolled: 3-line block ×3, first 2 shown]
	ds_bpermute_b32 v3, v17, v2
	s_and_saveexec_b32 s10, s7
	s_cbranch_execz .LBB19_58
; %bb.54:                               ;   in Loop: Header=BB19_13 Depth=1
	s_waitcnt lgkmcnt(0)
	v_min_i32_e32 v2, v3, v2
	s_mov_b32 s12, exec_lo
	s_brev_b32 s11, -2
.LBB19_55:                              ;   Parent Loop BB19_13 Depth=1
                                        ; =>  This Inner Loop Header: Depth=2
	s_ctz_i32_b32 s43, s12
	s_delay_alu instid0(VALU_DEP_1) | instid1(SALU_CYCLE_1)
	v_readlane_b32 s44, v2, s43
	s_lshl_b32 s43, 1, s43
	s_delay_alu instid0(SALU_CYCLE_1) | instskip(NEXT) | instid1(VALU_DEP_1)
	s_and_not1_b32 s12, s12, s43
	s_min_i32 s11, s11, s44
	s_cmp_lg_u32 s12, 0
	s_cbranch_scc1 .LBB19_55
; %bb.56:                               ;   in Loop: Header=BB19_13 Depth=1
	v_mbcnt_lo_u32_b32 v2, exec_lo, 0
	s_mov_b32 s12, exec_lo
	s_delay_alu instid0(VALU_DEP_1)
	v_cmpx_eq_u32_e32 0, v2
	s_xor_b32 s12, exec_lo, s12
	s_cbranch_execz .LBB19_58
; %bb.57:                               ;   in Loop: Header=BB19_13 Depth=1
	v_mov_b32_e32 v2, s11
	ds_min_i32 v21, v2 offset:10240
.LBB19_58:                              ;   in Loop: Header=BB19_13 Depth=1
	s_or_b32 exec_lo, exec_lo, s10
	s_waitcnt lgkmcnt(0)
	v_dual_mov_b32 v2, v0 :: v_dual_mov_b32 v3, v18
	s_mov_b32 s10, 0
	s_waitcnt_vscnt null, 0x0
	s_barrier
	buffer_gl0_inv
	s_branch .LBB19_60
.LBB19_59:                              ;   in Loop: Header=BB19_60 Depth=2
	s_or_b32 exec_lo, exec_lo, s11
	s_waitcnt lgkmcnt(0)
	s_waitcnt_vscnt null, 0x0
	s_barrier
	buffer_gl0_inv
	ds_load_b32 v4, v21 offset:28
	v_add_nc_u32_e32 v3, 0x200, v3
	v_add_nc_u32_e32 v2, 0x800, v2
	s_delay_alu instid0(VALU_DEP_2)
	v_cmp_lt_u32_e32 vcc_lo, 0x5ff, v3
	s_or_b32 s10, vcc_lo, s10
	s_waitcnt lgkmcnt(0)
	v_add_nc_u32_e32 v20, v4, v20
	s_and_not1_b32 exec_lo, exec_lo, s10
	s_cbranch_execz .LBB19_12
.LBB19_60:                              ;   Parent Loop BB19_13 Depth=1
                                        ; =>  This Inner Loop Header: Depth=2
	ds_load_u8 v27, v3 offset:8704
	ds_load_b32 v4, v2
	s_waitcnt lgkmcnt(0)
	s_barrier
	buffer_gl0_inv
	v_cmp_ne_u16_e32 vcc_lo, 0, v27
	s_bcnt1_i32_b32 s11, vcc_lo
	s_delay_alu instid0(SALU_CYCLE_1)
	v_dual_mov_b32 v5, s11 :: v_dual_and_b32 v28, vcc_lo, v1
	s_mov_b32 s11, exec_lo
	ds_store_b32 v13, v5
	s_waitcnt lgkmcnt(0)
	s_barrier
	buffer_gl0_inv
	ds_load_b128 v[23:26], v21
	ds_load_b96 v[5:7], v21 offset:16
	s_waitcnt lgkmcnt(1)
	v_cndmask_b32_e64 v23, v23, 0, s2
	v_cndmask_b32_e64 v24, v24, 0, s3
	;; [unrolled: 1-line block ×4, first 2 shown]
	s_waitcnt lgkmcnt(0)
	v_cndmask_b32_e64 v5, v5, 0, s6
	v_bcnt_u32_b32 v23, v28, v23
	v_cndmask_b32_e64 v6, v6, 0, s8
	v_cndmask_b32_e64 v7, v7, 0, s9
	s_delay_alu instid0(VALU_DEP_3) | instskip(NEXT) | instid1(VALU_DEP_1)
	v_add3_u32 v23, v23, v24, v25
	v_add3_u32 v5, v23, v26, v5
	v_and_b32_e32 v23, 1, v27
	s_delay_alu instid0(VALU_DEP_2) | instskip(NEXT) | instid1(VALU_DEP_2)
	v_add3_u32 v5, v5, v6, v7
	v_cmpx_eq_u32_e32 1, v23
	s_cbranch_execz .LBB19_62
; %bb.61:                               ;   in Loop: Header=BB19_60 Depth=2
	s_delay_alu instid0(VALU_DEP_2) | instskip(NEXT) | instid1(VALU_DEP_1)
	v_add_nc_u32_e32 v6, v5, v20
	v_ashrrev_i32_e32 v7, 31, v6
	s_delay_alu instid0(VALU_DEP_1) | instskip(NEXT) | instid1(VALU_DEP_1)
	v_lshlrev_b64 v[6:7], 2, v[6:7]
	v_add_co_u32 v6, vcc_lo, s36, v6
	s_delay_alu instid0(VALU_DEP_2)
	v_add_co_ci_u32_e32 v7, vcc_lo, s37, v7, vcc_lo
	global_store_b32 v[6:7], v4, off
.LBB19_62:                              ;   in Loop: Header=BB19_60 Depth=2
	s_or_b32 exec_lo, exec_lo, s11
	s_and_saveexec_b32 s11, s1
	s_cbranch_execz .LBB19_59
; %bb.63:                               ;   in Loop: Header=BB19_60 Depth=2
	ds_store_b32 v21, v5 offset:28
	s_branch .LBB19_59
.LBB19_64:
	s_endpgm
	.section	.rodata,"a",@progbits
	.p2align	6, 0x0
	.amdhsa_kernel _ZN9rocsparseL51csrgemm_numeric_fill_block_per_row_multipass_kernelILj512ELj16ELj2048ELj64EiifEEvT4_PKS1_S3_NS_24const_host_device_scalarIT5_EEPKT3_S3_PKS5_S9_S3_SB_S6_S9_S3_SB_S9_S3_PS5_PS7_21rocsparse_index_base_SE_SE_SE_bbb
		.amdhsa_group_segment_fixed_size 10244
		.amdhsa_private_segment_fixed_size 0
		.amdhsa_kernarg_size 164
		.amdhsa_user_sgpr_count 15
		.amdhsa_user_sgpr_dispatch_ptr 0
		.amdhsa_user_sgpr_queue_ptr 0
		.amdhsa_user_sgpr_kernarg_segment_ptr 1
		.amdhsa_user_sgpr_dispatch_id 0
		.amdhsa_user_sgpr_private_segment_size 0
		.amdhsa_wavefront_size32 1
		.amdhsa_uses_dynamic_stack 0
		.amdhsa_enable_private_segment 0
		.amdhsa_system_sgpr_workgroup_id_x 1
		.amdhsa_system_sgpr_workgroup_id_y 0
		.amdhsa_system_sgpr_workgroup_id_z 0
		.amdhsa_system_sgpr_workgroup_info 0
		.amdhsa_system_vgpr_workitem_id 0
		.amdhsa_next_free_vgpr 31
		.amdhsa_next_free_sgpr 51
		.amdhsa_reserve_vcc 1
		.amdhsa_float_round_mode_32 0
		.amdhsa_float_round_mode_16_64 0
		.amdhsa_float_denorm_mode_32 3
		.amdhsa_float_denorm_mode_16_64 3
		.amdhsa_dx10_clamp 1
		.amdhsa_ieee_mode 1
		.amdhsa_fp16_overflow 0
		.amdhsa_workgroup_processor_mode 1
		.amdhsa_memory_ordered 1
		.amdhsa_forward_progress 0
		.amdhsa_shared_vgpr_count 0
		.amdhsa_exception_fp_ieee_invalid_op 0
		.amdhsa_exception_fp_denorm_src 0
		.amdhsa_exception_fp_ieee_div_zero 0
		.amdhsa_exception_fp_ieee_overflow 0
		.amdhsa_exception_fp_ieee_underflow 0
		.amdhsa_exception_fp_ieee_inexact 0
		.amdhsa_exception_int_div_zero 0
	.end_amdhsa_kernel
	.section	.text._ZN9rocsparseL51csrgemm_numeric_fill_block_per_row_multipass_kernelILj512ELj16ELj2048ELj64EiifEEvT4_PKS1_S3_NS_24const_host_device_scalarIT5_EEPKT3_S3_PKS5_S9_S3_SB_S6_S9_S3_SB_S9_S3_PS5_PS7_21rocsparse_index_base_SE_SE_SE_bbb,"axG",@progbits,_ZN9rocsparseL51csrgemm_numeric_fill_block_per_row_multipass_kernelILj512ELj16ELj2048ELj64EiifEEvT4_PKS1_S3_NS_24const_host_device_scalarIT5_EEPKT3_S3_PKS5_S9_S3_SB_S6_S9_S3_SB_S9_S3_PS5_PS7_21rocsparse_index_base_SE_SE_SE_bbb,comdat
.Lfunc_end19:
	.size	_ZN9rocsparseL51csrgemm_numeric_fill_block_per_row_multipass_kernelILj512ELj16ELj2048ELj64EiifEEvT4_PKS1_S3_NS_24const_host_device_scalarIT5_EEPKT3_S3_PKS5_S9_S3_SB_S6_S9_S3_SB_S9_S3_PS5_PS7_21rocsparse_index_base_SE_SE_SE_bbb, .Lfunc_end19-_ZN9rocsparseL51csrgemm_numeric_fill_block_per_row_multipass_kernelILj512ELj16ELj2048ELj64EiifEEvT4_PKS1_S3_NS_24const_host_device_scalarIT5_EEPKT3_S3_PKS5_S9_S3_SB_S6_S9_S3_SB_S9_S3_PS5_PS7_21rocsparse_index_base_SE_SE_SE_bbb
                                        ; -- End function
	.section	.AMDGPU.csdata,"",@progbits
; Kernel info:
; codeLenInByte = 2580
; NumSgprs: 53
; NumVgprs: 31
; ScratchSize: 0
; MemoryBound: 0
; FloatMode: 240
; IeeeMode: 1
; LDSByteSize: 10244 bytes/workgroup (compile time only)
; SGPRBlocks: 6
; VGPRBlocks: 3
; NumSGPRsForWavesPerEU: 53
; NumVGPRsForWavesPerEU: 31
; Occupancy: 16
; WaveLimiterHint : 1
; COMPUTE_PGM_RSRC2:SCRATCH_EN: 0
; COMPUTE_PGM_RSRC2:USER_SGPR: 15
; COMPUTE_PGM_RSRC2:TRAP_HANDLER: 0
; COMPUTE_PGM_RSRC2:TGID_X_EN: 1
; COMPUTE_PGM_RSRC2:TGID_Y_EN: 0
; COMPUTE_PGM_RSRC2:TGID_Z_EN: 0
; COMPUTE_PGM_RSRC2:TIDIG_COMP_CNT: 0
	.section	.text._ZN9rocsparseL38csrgemm_numeric_fill_wf_per_row_kernelILj256ELj8ELj16ELj137EiidEEvT4_S1_PKS1_S3_NS_24const_host_device_scalarIT5_EEPKT3_S3_PKS5_S9_S3_SB_S6_S9_S3_SB_S9_S3_PS5_21rocsparse_index_base_SD_SD_SD_bbb,"axG",@progbits,_ZN9rocsparseL38csrgemm_numeric_fill_wf_per_row_kernelILj256ELj8ELj16ELj137EiidEEvT4_S1_PKS1_S3_NS_24const_host_device_scalarIT5_EEPKT3_S3_PKS5_S9_S3_SB_S6_S9_S3_SB_S9_S3_PS5_21rocsparse_index_base_SD_SD_SD_bbb,comdat
	.globl	_ZN9rocsparseL38csrgemm_numeric_fill_wf_per_row_kernelILj256ELj8ELj16ELj137EiidEEvT4_S1_PKS1_S3_NS_24const_host_device_scalarIT5_EEPKT3_S3_PKS5_S9_S3_SB_S6_S9_S3_SB_S9_S3_PS5_21rocsparse_index_base_SD_SD_SD_bbb ; -- Begin function _ZN9rocsparseL38csrgemm_numeric_fill_wf_per_row_kernelILj256ELj8ELj16ELj137EiidEEvT4_S1_PKS1_S3_NS_24const_host_device_scalarIT5_EEPKT3_S3_PKS5_S9_S3_SB_S6_S9_S3_SB_S9_S3_PS5_21rocsparse_index_base_SD_SD_SD_bbb
	.p2align	8
	.type	_ZN9rocsparseL38csrgemm_numeric_fill_wf_per_row_kernelILj256ELj8ELj16ELj137EiidEEvT4_S1_PKS1_S3_NS_24const_host_device_scalarIT5_EEPKT3_S3_PKS5_S9_S3_SB_S6_S9_S3_SB_S9_S3_PS5_21rocsparse_index_base_SD_SD_SD_bbb,@function
_ZN9rocsparseL38csrgemm_numeric_fill_wf_per_row_kernelILj256ELj8ELj16ELj137EiidEEvT4_S1_PKS1_S3_NS_24const_host_device_scalarIT5_EEPKT3_S3_PKS5_S9_S3_SB_S6_S9_S3_SB_S9_S3_PS5_21rocsparse_index_base_SD_SD_SD_bbb: ; @_ZN9rocsparseL38csrgemm_numeric_fill_wf_per_row_kernelILj256ELj8ELj16ELj137EiidEEvT4_S1_PKS1_S3_NS_24const_host_device_scalarIT5_EEPKT3_S3_PKS5_S9_S3_SB_S6_S9_S3_SB_S9_S3_PS5_21rocsparse_index_base_SD_SD_SD_bbb
; %bb.0:
	s_clause 0x3
	s_load_b32 s14, s[0:1], 0x98
	s_load_b64 s[2:3], s[0:1], 0x18
	s_load_b128 s[24:27], s[0:1], 0x88
	s_load_b64 s[12:13], s[0:1], 0x50
	s_waitcnt lgkmcnt(0)
	s_and_b32 s4, 1, s14
	s_bitcmp1_b32 s14, 16
	s_cselect_b32 s34, -1, 0
	s_cmp_eq_u32 s4, 1
	s_cselect_b32 s33, -1, 0
	s_delay_alu instid0(SALU_CYCLE_1)
	s_and_b32 s4, s33, exec_lo
	s_cselect_b32 s5, s3, 0
	s_cselect_b32 s4, s2, 0
	s_xor_b32 s6, s33, -1
	v_dual_mov_b32 v6, s5 :: v_dual_mov_b32 v5, s4
	s_or_b32 s6, s6, s34
	s_delay_alu instid0(SALU_CYCLE_1)
	s_and_b32 vcc_lo, exec_lo, s6
	s_cbranch_vccnz .LBB20_2
; %bb.1:
	v_dual_mov_b32 v1, s2 :: v_dual_mov_b32 v2, s3
	flat_load_b64 v[5:6], v[1:2]
.LBB20_2:
	s_clause 0x4
	s_load_b64 s[2:3], s[0:1], 0x80
	s_load_b256 s[4:11], s[0:1], 0x58
	s_load_b128 s[28:31], s[0:1], 0x40
	s_load_b128 s[36:39], s[0:1], 0x8
	s_load_b256 s[16:23], s[0:1], 0x20
	s_bitcmp1_b32 s14, 8
	s_cselect_b32 s14, -1, 0
	s_delay_alu instid0(SALU_CYCLE_1)
	s_and_b32 s35, s14, exec_lo
	s_cselect_b32 s41, s13, 0
	s_cselect_b32 s40, s12, 0
	s_xor_b32 s35, s14, -1
	v_dual_mov_b32 v1, s40 :: v_dual_mov_b32 v2, s41
	s_or_b32 s34, s35, s34
	s_delay_alu instid0(SALU_CYCLE_1)
	s_and_b32 vcc_lo, exec_lo, s34
	s_cbranch_vccnz .LBB20_4
; %bb.3:
	v_dual_mov_b32 v1, s12 :: v_dual_mov_b32 v2, s13
	flat_load_b64 v[1:2], v[1:2]
.LBB20_4:
	s_load_b64 s[0:1], s[0:1], 0x0
	v_lshrrev_b32_e32 v7, 3, v0
	v_mov_b32_e32 v3, 0
	v_and_b32_e32 v19, 7, v0
	s_mov_b32 s12, 0
	s_delay_alu instid0(VALU_DEP_3) | instskip(NEXT) | instid1(VALU_DEP_2)
	v_lshlrev_b32_e32 v0, 6, v7
	v_lshlrev_b32_e32 v4, 2, v19
	s_delay_alu instid0(VALU_DEP_1) | instskip(SKIP_3) | instid1(VALU_DEP_2)
	v_or3_b32 v0, v0, v4, 0x1000
	v_mov_b32_e32 v4, v3
	v_lshlrev_b32_e32 v8, 3, v19
	v_or_b32_e32 v16, -8, v19
	v_lshl_or_b32 v15, v7, 7, v8
	s_delay_alu instid0(VALU_DEP_2) | instskip(SKIP_2) | instid1(VALU_DEP_3)
	v_mov_b32_e32 v11, v16
	v_mov_b32_e32 v8, v0
	s_waitcnt lgkmcnt(0)
	v_dual_mov_b32 v10, s1 :: v_dual_mov_b32 v9, v15
.LBB20_5:                               ; =>This Inner Loop Header: Depth=1
	s_delay_alu instid0(VALU_DEP_3) | instskip(NEXT) | instid1(VALU_DEP_1)
	v_add_co_u32 v11, s13, v11, 8
	s_xor_b32 s13, s13, -1
	ds_store_b32 v8, v10
	ds_store_b64 v9, v[3:4]
	v_add_nc_u32_e32 v9, 64, v9
	v_add_nc_u32_e32 v8, 32, v8
	s_and_b32 s13, exec_lo, s13
	s_delay_alu instid0(SALU_CYCLE_1) | instskip(NEXT) | instid1(SALU_CYCLE_1)
	s_or_b32 s12, s13, s12
	s_and_not1_b32 exec_lo, exec_lo, s12
	s_cbranch_execnz .LBB20_5
; %bb.6:
	s_or_b32 exec_lo, exec_lo, s12
	s_lshl_b32 s12, s15, 5
	s_waitcnt vmcnt(0) lgkmcnt(0)
	buffer_gl0_inv
	v_and_or_b32 v3, 0x1fffffe0, s12, v7
	s_delay_alu instid0(VALU_DEP_1)
	v_cmp_gt_i32_e32 vcc_lo, s0, v3
	s_and_saveexec_b32 s0, vcc_lo
	s_cbranch_execz .LBB20_58
; %bb.7:
	s_cmp_eq_u64 s[38:39], 0
	s_cbranch_scc1 .LBB20_9
; %bb.8:
	s_load_b32 s0, s[36:37], 0x0
	s_waitcnt lgkmcnt(0)
	v_add_nc_u32_e32 v3, s0, v3
	s_delay_alu instid0(VALU_DEP_1) | instskip(NEXT) | instid1(VALU_DEP_1)
	v_ashrrev_i32_e32 v4, 31, v3
	v_lshlrev_b64 v[3:4], 2, v[3:4]
	s_delay_alu instid0(VALU_DEP_1) | instskip(NEXT) | instid1(VALU_DEP_2)
	v_add_co_u32 v3, vcc_lo, s38, v3
	v_add_co_ci_u32_e32 v4, vcc_lo, s39, v4, vcc_lo
	global_load_b32 v3, v[3:4], off
.LBB20_9:
	s_waitcnt vmcnt(0)
	v_ashrrev_i32_e32 v4, 31, v3
	v_lshl_or_b32 v17, v7, 6, 0x1000
	v_lshlrev_b32_e32 v18, 7, v7
	s_and_not1_b32 vcc_lo, exec_lo, s33
	s_delay_alu instid0(VALU_DEP_3)
	v_lshlrev_b64 v[3:4], 2, v[3:4]
	s_cbranch_vccnz .LBB20_33
; %bb.10:
	s_delay_alu instid0(VALU_DEP_1) | instskip(NEXT) | instid1(VALU_DEP_2)
	v_add_co_u32 v7, vcc_lo, s16, v3
	v_add_co_ci_u32_e32 v8, vcc_lo, s17, v4, vcc_lo
	v_subrev_nc_u32_e32 v9, s24, v19
	s_mov_b32 s0, exec_lo
	global_load_b64 v[7:8], v[7:8], off
	s_waitcnt vmcnt(0)
	v_subrev_nc_u32_e32 v20, s24, v8
	v_add_nc_u32_e32 v7, v7, v9
	s_delay_alu instid0(VALU_DEP_1)
	v_cmpx_lt_i32_e64 v7, v20
	s_cbranch_execz .LBB20_32
; %bb.11:
	s_mov_b32 s12, 0
	s_branch .LBB20_13
.LBB20_12:                              ;   in Loop: Header=BB20_13 Depth=1
	s_or_b32 exec_lo, exec_lo, s13
	v_add_nc_u32_e32 v7, 8, v7
	s_delay_alu instid0(VALU_DEP_1) | instskip(SKIP_1) | instid1(SALU_CYCLE_1)
	v_cmp_ge_i32_e32 vcc_lo, v7, v20
	s_or_b32 s12, vcc_lo, s12
	s_and_not1_b32 exec_lo, exec_lo, s12
	s_cbranch_execz .LBB20_32
.LBB20_13:                              ; =>This Loop Header: Depth=1
                                        ;     Child Loop BB20_16 Depth 2
                                        ;       Child Loop BB20_18 Depth 3
                                        ;         Child Loop BB20_24 Depth 4
                                        ;         Child Loop BB20_30 Depth 4
	v_ashrrev_i32_e32 v8, 31, v7
	s_mov_b32 s13, exec_lo
	s_delay_alu instid0(VALU_DEP_1) | instskip(NEXT) | instid1(VALU_DEP_1)
	v_lshlrev_b64 v[9:10], 2, v[7:8]
	v_add_co_u32 v9, vcc_lo, s18, v9
	s_delay_alu instid0(VALU_DEP_2) | instskip(SKIP_3) | instid1(VALU_DEP_1)
	v_add_co_ci_u32_e32 v10, vcc_lo, s19, v10, vcc_lo
	global_load_b32 v9, v[9:10], off
	s_waitcnt vmcnt(0)
	v_subrev_nc_u32_e32 v9, s24, v9
	v_ashrrev_i32_e32 v10, 31, v9
	s_delay_alu instid0(VALU_DEP_1) | instskip(NEXT) | instid1(VALU_DEP_1)
	v_lshlrev_b64 v[9:10], 2, v[9:10]
	v_add_co_u32 v9, vcc_lo, s22, v9
	s_delay_alu instid0(VALU_DEP_2)
	v_add_co_ci_u32_e32 v10, vcc_lo, s23, v10, vcc_lo
	global_load_b64 v[10:11], v[9:10], off
	s_waitcnt vmcnt(0)
	v_cmpx_lt_i32_e64 v10, v11
	s_cbranch_execz .LBB20_12
; %bb.14:                               ;   in Loop: Header=BB20_13 Depth=1
	v_lshlrev_b64 v[8:9], 3, v[7:8]
	v_subrev_nc_u32_e32 v21, s25, v11
	v_subrev_nc_u32_e32 v10, s25, v10
	s_mov_b32 s15, 0
	s_delay_alu instid0(VALU_DEP_3) | instskip(NEXT) | instid1(VALU_DEP_4)
	v_add_co_u32 v8, vcc_lo, s20, v8
	v_add_co_ci_u32_e32 v9, vcc_lo, s21, v9, vcc_lo
	global_load_b64 v[8:9], v[8:9], off
	s_waitcnt vmcnt(0)
	v_mul_f64 v[8:9], v[5:6], v[8:9]
	s_branch .LBB20_16
.LBB20_15:                              ;   in Loop: Header=BB20_16 Depth=2
	s_or_b32 exec_lo, exec_lo, s16
	v_add_nc_u32_e32 v10, 1, v10
	s_delay_alu instid0(VALU_DEP_1) | instskip(SKIP_1) | instid1(SALU_CYCLE_1)
	v_cmp_ge_i32_e32 vcc_lo, v10, v21
	s_or_b32 s15, vcc_lo, s15
	s_and_not1_b32 exec_lo, exec_lo, s15
	s_cbranch_execz .LBB20_12
.LBB20_16:                              ;   Parent Loop BB20_13 Depth=1
                                        ; =>  This Loop Header: Depth=2
                                        ;       Child Loop BB20_18 Depth 3
                                        ;         Child Loop BB20_24 Depth 4
                                        ;         Child Loop BB20_30 Depth 4
	v_ashrrev_i32_e32 v11, 31, v10
	s_mov_b32 s16, 0
	s_delay_alu instid0(VALU_DEP_1) | instskip(SKIP_1) | instid1(VALU_DEP_2)
	v_lshlrev_b64 v[12:13], 3, v[10:11]
	v_lshlrev_b64 v[22:23], 2, v[10:11]
	v_add_co_u32 v12, vcc_lo, s30, v12
	s_delay_alu instid0(VALU_DEP_3) | instskip(NEXT) | instid1(VALU_DEP_3)
	v_add_co_ci_u32_e32 v13, vcc_lo, s31, v13, vcc_lo
	v_add_co_u32 v22, vcc_lo, s28, v22
	s_delay_alu instid0(VALU_DEP_4)
	v_add_co_ci_u32_e32 v23, vcc_lo, s29, v23, vcc_lo
	global_load_b64 v[12:13], v[12:13], off
	global_load_b32 v14, v[22:23], off
	s_waitcnt vmcnt(1)
	v_mul_f64 v[11:12], v[8:9], v[12:13]
	s_waitcnt vmcnt(0)
	v_subrev_nc_u32_e32 v22, s25, v14
	s_delay_alu instid0(VALU_DEP_1) | instskip(NEXT) | instid1(VALU_DEP_1)
	v_lshl_add_u32 v13, v22, 3, v22
	v_and_b32_e32 v23, 15, v13
	s_branch .LBB20_18
.LBB20_17:                              ;   in Loop: Header=BB20_18 Depth=3
	s_or_b32 exec_lo, exec_lo, s17
	s_xor_b32 s17, s33, -1
	s_delay_alu instid0(SALU_CYCLE_1) | instskip(NEXT) | instid1(SALU_CYCLE_1)
	s_and_b32 s17, exec_lo, s17
	s_or_b32 s16, s17, s16
	s_delay_alu instid0(SALU_CYCLE_1)
	s_and_not1_b32 exec_lo, exec_lo, s16
	s_cbranch_execz .LBB20_15
.LBB20_18:                              ;   Parent Loop BB20_13 Depth=1
                                        ;     Parent Loop BB20_16 Depth=2
                                        ; =>    This Loop Header: Depth=3
                                        ;         Child Loop BB20_24 Depth 4
                                        ;         Child Loop BB20_30 Depth 4
	s_delay_alu instid0(VALU_DEP_1)
	v_lshl_add_u32 v13, v23, 2, v17
	s_mov_b32 s17, exec_lo
                                        ; implicit-def: $sgpr33
	ds_load_b32 v14, v13
	s_waitcnt lgkmcnt(0)
	v_cmpx_ne_u32_e64 v14, v22
	s_xor_b32 s17, exec_lo, s17
	s_cbranch_execz .LBB20_28
; %bb.19:                               ;   in Loop: Header=BB20_18 Depth=3
	s_mov_b32 s34, exec_lo
                                        ; implicit-def: $sgpr33
	v_cmpx_ne_u32_e64 s1, v14
	s_xor_b32 s34, exec_lo, s34
; %bb.20:                               ;   in Loop: Header=BB20_18 Depth=3
	v_add_nc_u32_e32 v13, 1, v23
	s_mov_b32 s33, -1
	s_delay_alu instid0(VALU_DEP_1)
	v_and_b32_e32 v23, 15, v13
                                        ; implicit-def: $vgpr13
; %bb.21:                               ;   in Loop: Header=BB20_18 Depth=3
	s_and_not1_saveexec_b32 s34, s34
	s_cbranch_execz .LBB20_27
; %bb.22:                               ;   in Loop: Header=BB20_18 Depth=3
	v_mov_b32_e32 v14, s1
	s_mov_b32 s36, -1
	s_mov_b32 s35, exec_lo
	ds_cmpstore_rtn_b32 v13, v13, v22, v14
	s_waitcnt lgkmcnt(0)
	v_cmpx_eq_u32_e64 s1, v13
	s_cbranch_execz .LBB20_26
; %bb.23:                               ;   in Loop: Header=BB20_18 Depth=3
	v_lshl_add_u32 v24, v23, 3, v18
	s_mov_b32 s36, 0
	ds_load_b64 v[13:14], v24
.LBB20_24:                              ;   Parent Loop BB20_13 Depth=1
                                        ;     Parent Loop BB20_16 Depth=2
                                        ;       Parent Loop BB20_18 Depth=3
                                        ; =>      This Inner Loop Header: Depth=4
	s_waitcnt lgkmcnt(0)
	v_add_f64 v[25:26], v[13:14], v[11:12]
	ds_cmpstore_rtn_b64 v[25:26], v24, v[25:26], v[13:14]
	s_waitcnt lgkmcnt(0)
	v_cmp_eq_u64_e32 vcc_lo, v[25:26], v[13:14]
	v_dual_mov_b32 v13, v25 :: v_dual_mov_b32 v14, v26
	s_or_b32 s36, vcc_lo, s36
	s_delay_alu instid0(SALU_CYCLE_1)
	s_and_not1_b32 exec_lo, exec_lo, s36
	s_cbranch_execnz .LBB20_24
; %bb.25:                               ;   in Loop: Header=BB20_18 Depth=3
	s_or_b32 exec_lo, exec_lo, s36
	s_delay_alu instid0(SALU_CYCLE_1)
	s_xor_b32 s36, exec_lo, -1
.LBB20_26:                              ;   in Loop: Header=BB20_18 Depth=3
	s_or_b32 exec_lo, exec_lo, s35
	s_delay_alu instid0(SALU_CYCLE_1) | instskip(SKIP_1) | instid1(SALU_CYCLE_1)
	s_and_not1_b32 s33, s33, exec_lo
	s_and_b32 s35, s36, exec_lo
	s_or_b32 s33, s33, s35
.LBB20_27:                              ;   in Loop: Header=BB20_18 Depth=3
	s_or_b32 exec_lo, exec_lo, s34
	s_delay_alu instid0(SALU_CYCLE_1)
	s_and_b32 s33, s33, exec_lo
.LBB20_28:                              ;   in Loop: Header=BB20_18 Depth=3
	s_and_not1_saveexec_b32 s17, s17
	s_cbranch_execz .LBB20_17
; %bb.29:                               ;   in Loop: Header=BB20_18 Depth=3
	v_lshl_add_u32 v24, v23, 3, v18
	s_mov_b32 s34, 0
	ds_load_b64 v[13:14], v24
.LBB20_30:                              ;   Parent Loop BB20_13 Depth=1
                                        ;     Parent Loop BB20_16 Depth=2
                                        ;       Parent Loop BB20_18 Depth=3
                                        ; =>      This Inner Loop Header: Depth=4
	s_waitcnt lgkmcnt(0)
	v_add_f64 v[25:26], v[13:14], v[11:12]
	ds_cmpstore_rtn_b64 v[25:26], v24, v[25:26], v[13:14]
	s_waitcnt lgkmcnt(0)
	v_cmp_eq_u64_e32 vcc_lo, v[25:26], v[13:14]
	v_dual_mov_b32 v13, v25 :: v_dual_mov_b32 v14, v26
	s_or_b32 s34, vcc_lo, s34
	s_delay_alu instid0(SALU_CYCLE_1)
	s_and_not1_b32 exec_lo, exec_lo, s34
	s_cbranch_execnz .LBB20_30
; %bb.31:                               ;   in Loop: Header=BB20_18 Depth=3
	s_or_b32 exec_lo, exec_lo, s34
	s_delay_alu instid0(SALU_CYCLE_1)
	s_and_not1_b32 s33, s33, exec_lo
	s_branch .LBB20_17
.LBB20_32:
	s_or_b32 exec_lo, exec_lo, s0
.LBB20_33:
	s_delay_alu instid0(SALU_CYCLE_1)
	s_and_not1_b32 vcc_lo, exec_lo, s14
	s_cbranch_vccnz .LBB20_54
; %bb.34:
	s_delay_alu instid0(VALU_DEP_1) | instskip(NEXT) | instid1(VALU_DEP_2)
	v_add_co_u32 v5, vcc_lo, s4, v3
	v_add_co_ci_u32_e32 v6, vcc_lo, s5, v4, vcc_lo
	v_subrev_nc_u32_e32 v7, s27, v19
	s_mov_b32 s0, exec_lo
	global_load_b64 v[5:6], v[5:6], off
	s_waitcnt vmcnt(0)
	v_subrev_nc_u32_e32 v10, s27, v6
	v_add_nc_u32_e32 v5, v5, v7
	s_delay_alu instid0(VALU_DEP_1)
	v_cmpx_lt_i32_e64 v5, v10
	s_cbranch_execz .LBB20_53
; %bb.35:
	s_mov_b32 s4, 0
	s_branch .LBB20_37
.LBB20_36:                              ;   in Loop: Header=BB20_37 Depth=1
	s_or_b32 exec_lo, exec_lo, s5
	v_add_nc_u32_e32 v5, 8, v5
	s_delay_alu instid0(VALU_DEP_1) | instskip(SKIP_1) | instid1(SALU_CYCLE_1)
	v_cmp_ge_i32_e32 vcc_lo, v5, v10
	s_or_b32 s4, vcc_lo, s4
	s_and_not1_b32 exec_lo, exec_lo, s4
	s_cbranch_execz .LBB20_53
.LBB20_37:                              ; =>This Loop Header: Depth=1
                                        ;     Child Loop BB20_39 Depth 2
                                        ;       Child Loop BB20_45 Depth 3
                                        ;       Child Loop BB20_51 Depth 3
	v_ashrrev_i32_e32 v6, 31, v5
	s_mov_b32 s5, 0
	s_delay_alu instid0(VALU_DEP_1) | instskip(SKIP_1) | instid1(VALU_DEP_2)
	v_lshlrev_b64 v[7:8], 3, v[5:6]
	v_lshlrev_b64 v[11:12], 2, v[5:6]
	v_add_co_u32 v7, vcc_lo, s8, v7
	s_delay_alu instid0(VALU_DEP_3) | instskip(NEXT) | instid1(VALU_DEP_3)
	v_add_co_ci_u32_e32 v8, vcc_lo, s9, v8, vcc_lo
	v_add_co_u32 v11, vcc_lo, s6, v11
	s_delay_alu instid0(VALU_DEP_4)
	v_add_co_ci_u32_e32 v12, vcc_lo, s7, v12, vcc_lo
	global_load_b64 v[7:8], v[7:8], off
	global_load_b32 v9, v[11:12], off
	s_waitcnt vmcnt(1)
	v_mul_f64 v[6:7], v[1:2], v[7:8]
	s_waitcnt vmcnt(0)
	v_subrev_nc_u32_e32 v11, s27, v9
	s_delay_alu instid0(VALU_DEP_1) | instskip(NEXT) | instid1(VALU_DEP_1)
	v_lshl_add_u32 v8, v11, 3, v11
	v_and_b32_e32 v12, 15, v8
	s_branch .LBB20_39
.LBB20_38:                              ;   in Loop: Header=BB20_39 Depth=2
	s_or_b32 exec_lo, exec_lo, s12
	s_xor_b32 s12, s13, -1
	s_delay_alu instid0(SALU_CYCLE_1) | instskip(NEXT) | instid1(SALU_CYCLE_1)
	s_and_b32 s12, exec_lo, s12
	s_or_b32 s5, s12, s5
	s_delay_alu instid0(SALU_CYCLE_1)
	s_and_not1_b32 exec_lo, exec_lo, s5
	s_cbranch_execz .LBB20_36
.LBB20_39:                              ;   Parent Loop BB20_37 Depth=1
                                        ; =>  This Loop Header: Depth=2
                                        ;       Child Loop BB20_45 Depth 3
                                        ;       Child Loop BB20_51 Depth 3
	s_delay_alu instid0(VALU_DEP_1)
	v_lshl_add_u32 v8, v12, 2, v17
	s_mov_b32 s12, exec_lo
                                        ; implicit-def: $sgpr13
	ds_load_b32 v9, v8
	s_waitcnt lgkmcnt(0)
	v_cmpx_ne_u32_e64 v9, v11
	s_xor_b32 s12, exec_lo, s12
	s_cbranch_execz .LBB20_49
; %bb.40:                               ;   in Loop: Header=BB20_39 Depth=2
	s_mov_b32 s14, exec_lo
                                        ; implicit-def: $sgpr13
	v_cmpx_ne_u32_e64 s1, v9
	s_xor_b32 s14, exec_lo, s14
; %bb.41:                               ;   in Loop: Header=BB20_39 Depth=2
	v_add_nc_u32_e32 v8, 1, v12
	s_mov_b32 s13, -1
	s_delay_alu instid0(VALU_DEP_1)
	v_and_b32_e32 v12, 15, v8
                                        ; implicit-def: $vgpr8
; %bb.42:                               ;   in Loop: Header=BB20_39 Depth=2
	s_and_not1_saveexec_b32 s14, s14
	s_cbranch_execz .LBB20_48
; %bb.43:                               ;   in Loop: Header=BB20_39 Depth=2
	v_mov_b32_e32 v9, s1
	s_mov_b32 s16, -1
	s_mov_b32 s15, exec_lo
	ds_cmpstore_rtn_b32 v8, v8, v11, v9
	s_waitcnt lgkmcnt(0)
	v_cmpx_eq_u32_e64 s1, v8
	s_cbranch_execz .LBB20_47
; %bb.44:                               ;   in Loop: Header=BB20_39 Depth=2
	v_lshl_add_u32 v13, v12, 3, v18
	s_mov_b32 s16, 0
	ds_load_b64 v[8:9], v13
.LBB20_45:                              ;   Parent Loop BB20_37 Depth=1
                                        ;     Parent Loop BB20_39 Depth=2
                                        ; =>    This Inner Loop Header: Depth=3
	s_waitcnt lgkmcnt(0)
	v_add_f64 v[19:20], v[8:9], v[6:7]
	ds_cmpstore_rtn_b64 v[19:20], v13, v[19:20], v[8:9]
	s_waitcnt lgkmcnt(0)
	v_cmp_eq_u64_e32 vcc_lo, v[19:20], v[8:9]
	v_dual_mov_b32 v8, v19 :: v_dual_mov_b32 v9, v20
	s_or_b32 s16, vcc_lo, s16
	s_delay_alu instid0(SALU_CYCLE_1)
	s_and_not1_b32 exec_lo, exec_lo, s16
	s_cbranch_execnz .LBB20_45
; %bb.46:                               ;   in Loop: Header=BB20_39 Depth=2
	s_or_b32 exec_lo, exec_lo, s16
	s_delay_alu instid0(SALU_CYCLE_1)
	s_xor_b32 s16, exec_lo, -1
.LBB20_47:                              ;   in Loop: Header=BB20_39 Depth=2
	s_or_b32 exec_lo, exec_lo, s15
	s_delay_alu instid0(SALU_CYCLE_1) | instskip(SKIP_1) | instid1(SALU_CYCLE_1)
	s_and_not1_b32 s13, s13, exec_lo
	s_and_b32 s15, s16, exec_lo
	s_or_b32 s13, s13, s15
.LBB20_48:                              ;   in Loop: Header=BB20_39 Depth=2
	s_or_b32 exec_lo, exec_lo, s14
	s_delay_alu instid0(SALU_CYCLE_1)
	s_and_b32 s13, s13, exec_lo
.LBB20_49:                              ;   in Loop: Header=BB20_39 Depth=2
	s_and_not1_saveexec_b32 s12, s12
	s_cbranch_execz .LBB20_38
; %bb.50:                               ;   in Loop: Header=BB20_39 Depth=2
	v_lshl_add_u32 v13, v12, 3, v18
	s_mov_b32 s14, 0
	ds_load_b64 v[8:9], v13
.LBB20_51:                              ;   Parent Loop BB20_37 Depth=1
                                        ;     Parent Loop BB20_39 Depth=2
                                        ; =>    This Inner Loop Header: Depth=3
	s_waitcnt lgkmcnt(0)
	v_add_f64 v[19:20], v[8:9], v[6:7]
	ds_cmpstore_rtn_b64 v[19:20], v13, v[19:20], v[8:9]
	s_waitcnt lgkmcnt(0)
	v_cmp_eq_u64_e32 vcc_lo, v[19:20], v[8:9]
	v_dual_mov_b32 v8, v19 :: v_dual_mov_b32 v9, v20
	s_or_b32 s14, vcc_lo, s14
	s_delay_alu instid0(SALU_CYCLE_1)
	s_and_not1_b32 exec_lo, exec_lo, s14
	s_cbranch_execnz .LBB20_51
; %bb.52:                               ;   in Loop: Header=BB20_39 Depth=2
	s_or_b32 exec_lo, exec_lo, s14
	s_delay_alu instid0(SALU_CYCLE_1)
	s_and_not1_b32 s13, s13, exec_lo
	s_branch .LBB20_38
.LBB20_53:
	s_or_b32 exec_lo, exec_lo, s0
.LBB20_54:
	s_delay_alu instid0(VALU_DEP_1) | instskip(NEXT) | instid1(VALU_DEP_2)
	v_add_co_u32 v1, vcc_lo, s10, v3
	v_add_co_ci_u32_e32 v2, vcc_lo, s11, v4, vcc_lo
	buffer_gl0_inv
	s_mov_b32 s0, 0
	global_load_b32 v1, v[1:2], off
	s_waitcnt vmcnt(0)
	v_subrev_nc_u32_e32 v1, s26, v1
	s_branch .LBB20_56
.LBB20_55:                              ;   in Loop: Header=BB20_56 Depth=1
	s_or_b32 exec_lo, exec_lo, s4
	v_add_co_u32 v16, s4, v16, 8
	s_delay_alu instid0(VALU_DEP_1) | instskip(SKIP_3) | instid1(SALU_CYCLE_1)
	s_xor_b32 s4, s4, -1
	v_add_nc_u32_e32 v15, 64, v15
	v_add_nc_u32_e32 v0, 32, v0
	s_and_b32 s4, exec_lo, s4
	s_or_b32 s0, s4, s0
	s_delay_alu instid0(SALU_CYCLE_1)
	s_and_not1_b32 exec_lo, exec_lo, s0
	s_cbranch_execz .LBB20_58
.LBB20_56:                              ; =>This Inner Loop Header: Depth=1
	ds_load_b32 v2, v0
	s_mov_b32 s4, exec_lo
	s_waitcnt lgkmcnt(0)
	v_cmpx_gt_i32_e64 s1, v2
	s_cbranch_execz .LBB20_55
; %bb.57:                               ;   in Loop: Header=BB20_56 Depth=1
	ds_load_b128 v[3:6], v17
	ds_load_b128 v[7:10], v17 offset:16
	ds_load_b128 v[11:14], v17 offset:32
	;; [unrolled: 1-line block ×3, first 2 shown]
	s_waitcnt lgkmcnt(3)
	v_cmp_gt_i32_e32 vcc_lo, v2, v3
	v_cndmask_b32_e64 v3, 0, 1, vcc_lo
	v_cmp_gt_i32_e32 vcc_lo, v2, v5
	v_cndmask_b32_e64 v5, 0, 1, vcc_lo
	v_cmp_gt_i32_e32 vcc_lo, v2, v4
	s_delay_alu instid0(VALU_DEP_4)
	v_add_co_ci_u32_e32 v3, vcc_lo, v1, v3, vcc_lo
	s_waitcnt lgkmcnt(2)
	v_cmp_gt_i32_e32 vcc_lo, v2, v7
	v_cndmask_b32_e64 v4, 0, 1, vcc_lo
	v_cmp_gt_i32_e32 vcc_lo, v2, v6
	v_add_co_ci_u32_e32 v3, vcc_lo, v3, v5, vcc_lo
	v_cmp_gt_i32_e32 vcc_lo, v2, v9
	v_cndmask_b32_e64 v5, 0, 1, vcc_lo
	v_cmp_gt_i32_e32 vcc_lo, v2, v8
	s_delay_alu instid0(VALU_DEP_4)
	v_add_co_ci_u32_e32 v3, vcc_lo, v3, v4, vcc_lo
	s_waitcnt lgkmcnt(1)
	v_cmp_gt_i32_e32 vcc_lo, v2, v11
	v_cndmask_b32_e64 v4, 0, 1, vcc_lo
	v_cmp_gt_i32_e32 vcc_lo, v2, v10
	v_add_co_ci_u32_e32 v3, vcc_lo, v3, v5, vcc_lo
	;; [unrolled: 10-line block ×3, first 2 shown]
	v_cmp_gt_i32_e32 vcc_lo, v2, v20
	v_cndmask_b32_e64 v5, 0, 1, vcc_lo
	v_cmp_gt_i32_e32 vcc_lo, v2, v19
	s_delay_alu instid0(VALU_DEP_4) | instskip(SKIP_1) | instid1(VALU_DEP_2)
	v_add_co_ci_u32_e32 v3, vcc_lo, v3, v4, vcc_lo
	v_cmp_gt_i32_e32 vcc_lo, v2, v21
	v_add_co_ci_u32_e32 v2, vcc_lo, v3, v5, vcc_lo
	ds_load_b64 v[4:5], v15
	v_ashrrev_i32_e32 v3, 31, v2
	s_delay_alu instid0(VALU_DEP_1) | instskip(NEXT) | instid1(VALU_DEP_1)
	v_lshlrev_b64 v[2:3], 3, v[2:3]
	v_add_co_u32 v2, vcc_lo, s2, v2
	s_delay_alu instid0(VALU_DEP_2)
	v_add_co_ci_u32_e32 v3, vcc_lo, s3, v3, vcc_lo
	s_waitcnt lgkmcnt(0)
	global_store_b64 v[2:3], v[4:5], off
	s_branch .LBB20_55
.LBB20_58:
	s_nop 0
	s_sendmsg sendmsg(MSG_DEALLOC_VGPRS)
	s_endpgm
	.section	.rodata,"a",@progbits
	.p2align	6, 0x0
	.amdhsa_kernel _ZN9rocsparseL38csrgemm_numeric_fill_wf_per_row_kernelILj256ELj8ELj16ELj137EiidEEvT4_S1_PKS1_S3_NS_24const_host_device_scalarIT5_EEPKT3_S3_PKS5_S9_S3_SB_S6_S9_S3_SB_S9_S3_PS5_21rocsparse_index_base_SD_SD_SD_bbb
		.amdhsa_group_segment_fixed_size 6144
		.amdhsa_private_segment_fixed_size 0
		.amdhsa_kernarg_size 156
		.amdhsa_user_sgpr_count 15
		.amdhsa_user_sgpr_dispatch_ptr 0
		.amdhsa_user_sgpr_queue_ptr 0
		.amdhsa_user_sgpr_kernarg_segment_ptr 1
		.amdhsa_user_sgpr_dispatch_id 0
		.amdhsa_user_sgpr_private_segment_size 0
		.amdhsa_wavefront_size32 1
		.amdhsa_uses_dynamic_stack 0
		.amdhsa_enable_private_segment 0
		.amdhsa_system_sgpr_workgroup_id_x 1
		.amdhsa_system_sgpr_workgroup_id_y 0
		.amdhsa_system_sgpr_workgroup_id_z 0
		.amdhsa_system_sgpr_workgroup_info 0
		.amdhsa_system_vgpr_workitem_id 0
		.amdhsa_next_free_vgpr 27
		.amdhsa_next_free_sgpr 42
		.amdhsa_reserve_vcc 1
		.amdhsa_float_round_mode_32 0
		.amdhsa_float_round_mode_16_64 0
		.amdhsa_float_denorm_mode_32 3
		.amdhsa_float_denorm_mode_16_64 3
		.amdhsa_dx10_clamp 1
		.amdhsa_ieee_mode 1
		.amdhsa_fp16_overflow 0
		.amdhsa_workgroup_processor_mode 1
		.amdhsa_memory_ordered 1
		.amdhsa_forward_progress 0
		.amdhsa_shared_vgpr_count 0
		.amdhsa_exception_fp_ieee_invalid_op 0
		.amdhsa_exception_fp_denorm_src 0
		.amdhsa_exception_fp_ieee_div_zero 0
		.amdhsa_exception_fp_ieee_overflow 0
		.amdhsa_exception_fp_ieee_underflow 0
		.amdhsa_exception_fp_ieee_inexact 0
		.amdhsa_exception_int_div_zero 0
	.end_amdhsa_kernel
	.section	.text._ZN9rocsparseL38csrgemm_numeric_fill_wf_per_row_kernelILj256ELj8ELj16ELj137EiidEEvT4_S1_PKS1_S3_NS_24const_host_device_scalarIT5_EEPKT3_S3_PKS5_S9_S3_SB_S6_S9_S3_SB_S9_S3_PS5_21rocsparse_index_base_SD_SD_SD_bbb,"axG",@progbits,_ZN9rocsparseL38csrgemm_numeric_fill_wf_per_row_kernelILj256ELj8ELj16ELj137EiidEEvT4_S1_PKS1_S3_NS_24const_host_device_scalarIT5_EEPKT3_S3_PKS5_S9_S3_SB_S6_S9_S3_SB_S9_S3_PS5_21rocsparse_index_base_SD_SD_SD_bbb,comdat
.Lfunc_end20:
	.size	_ZN9rocsparseL38csrgemm_numeric_fill_wf_per_row_kernelILj256ELj8ELj16ELj137EiidEEvT4_S1_PKS1_S3_NS_24const_host_device_scalarIT5_EEPKT3_S3_PKS5_S9_S3_SB_S6_S9_S3_SB_S9_S3_PS5_21rocsparse_index_base_SD_SD_SD_bbb, .Lfunc_end20-_ZN9rocsparseL38csrgemm_numeric_fill_wf_per_row_kernelILj256ELj8ELj16ELj137EiidEEvT4_S1_PKS1_S3_NS_24const_host_device_scalarIT5_EEPKT3_S3_PKS5_S9_S3_SB_S6_S9_S3_SB_S9_S3_PS5_21rocsparse_index_base_SD_SD_SD_bbb
                                        ; -- End function
	.section	.AMDGPU.csdata,"",@progbits
; Kernel info:
; codeLenInByte = 2328
; NumSgprs: 44
; NumVgprs: 27
; ScratchSize: 0
; MemoryBound: 0
; FloatMode: 240
; IeeeMode: 1
; LDSByteSize: 6144 bytes/workgroup (compile time only)
; SGPRBlocks: 5
; VGPRBlocks: 3
; NumSGPRsForWavesPerEU: 44
; NumVGPRsForWavesPerEU: 27
; Occupancy: 16
; WaveLimiterHint : 1
; COMPUTE_PGM_RSRC2:SCRATCH_EN: 0
; COMPUTE_PGM_RSRC2:USER_SGPR: 15
; COMPUTE_PGM_RSRC2:TRAP_HANDLER: 0
; COMPUTE_PGM_RSRC2:TGID_X_EN: 1
; COMPUTE_PGM_RSRC2:TGID_Y_EN: 0
; COMPUTE_PGM_RSRC2:TGID_Z_EN: 0
; COMPUTE_PGM_RSRC2:TIDIG_COMP_CNT: 0
	.section	.text._ZN9rocsparseL38csrgemm_numeric_fill_wf_per_row_kernelILj256ELj16ELj32ELj137EiidEEvT4_S1_PKS1_S3_NS_24const_host_device_scalarIT5_EEPKT3_S3_PKS5_S9_S3_SB_S6_S9_S3_SB_S9_S3_PS5_21rocsparse_index_base_SD_SD_SD_bbb,"axG",@progbits,_ZN9rocsparseL38csrgemm_numeric_fill_wf_per_row_kernelILj256ELj16ELj32ELj137EiidEEvT4_S1_PKS1_S3_NS_24const_host_device_scalarIT5_EEPKT3_S3_PKS5_S9_S3_SB_S6_S9_S3_SB_S9_S3_PS5_21rocsparse_index_base_SD_SD_SD_bbb,comdat
	.globl	_ZN9rocsparseL38csrgemm_numeric_fill_wf_per_row_kernelILj256ELj16ELj32ELj137EiidEEvT4_S1_PKS1_S3_NS_24const_host_device_scalarIT5_EEPKT3_S3_PKS5_S9_S3_SB_S6_S9_S3_SB_S9_S3_PS5_21rocsparse_index_base_SD_SD_SD_bbb ; -- Begin function _ZN9rocsparseL38csrgemm_numeric_fill_wf_per_row_kernelILj256ELj16ELj32ELj137EiidEEvT4_S1_PKS1_S3_NS_24const_host_device_scalarIT5_EEPKT3_S3_PKS5_S9_S3_SB_S6_S9_S3_SB_S9_S3_PS5_21rocsparse_index_base_SD_SD_SD_bbb
	.p2align	8
	.type	_ZN9rocsparseL38csrgemm_numeric_fill_wf_per_row_kernelILj256ELj16ELj32ELj137EiidEEvT4_S1_PKS1_S3_NS_24const_host_device_scalarIT5_EEPKT3_S3_PKS5_S9_S3_SB_S6_S9_S3_SB_S9_S3_PS5_21rocsparse_index_base_SD_SD_SD_bbb,@function
_ZN9rocsparseL38csrgemm_numeric_fill_wf_per_row_kernelILj256ELj16ELj32ELj137EiidEEvT4_S1_PKS1_S3_NS_24const_host_device_scalarIT5_EEPKT3_S3_PKS5_S9_S3_SB_S6_S9_S3_SB_S9_S3_PS5_21rocsparse_index_base_SD_SD_SD_bbb: ; @_ZN9rocsparseL38csrgemm_numeric_fill_wf_per_row_kernelILj256ELj16ELj32ELj137EiidEEvT4_S1_PKS1_S3_NS_24const_host_device_scalarIT5_EEPKT3_S3_PKS5_S9_S3_SB_S6_S9_S3_SB_S9_S3_PS5_21rocsparse_index_base_SD_SD_SD_bbb
; %bb.0:
	s_clause 0x3
	s_load_b32 s14, s[0:1], 0x98
	s_load_b64 s[2:3], s[0:1], 0x18
	s_load_b128 s[24:27], s[0:1], 0x88
	s_load_b64 s[12:13], s[0:1], 0x50
	s_waitcnt lgkmcnt(0)
	s_and_b32 s4, 1, s14
	s_bitcmp1_b32 s14, 16
	s_cselect_b32 s34, -1, 0
	s_cmp_eq_u32 s4, 1
	s_cselect_b32 s33, -1, 0
	s_delay_alu instid0(SALU_CYCLE_1)
	s_and_b32 s4, s33, exec_lo
	s_cselect_b32 s5, s3, 0
	s_cselect_b32 s4, s2, 0
	s_xor_b32 s6, s33, -1
	v_dual_mov_b32 v6, s5 :: v_dual_mov_b32 v5, s4
	s_or_b32 s6, s6, s34
	s_delay_alu instid0(SALU_CYCLE_1)
	s_and_b32 vcc_lo, exec_lo, s6
	s_cbranch_vccnz .LBB21_2
; %bb.1:
	v_dual_mov_b32 v1, s2 :: v_dual_mov_b32 v2, s3
	flat_load_b64 v[5:6], v[1:2]
.LBB21_2:
	s_clause 0x4
	s_load_b64 s[2:3], s[0:1], 0x80
	s_load_b256 s[4:11], s[0:1], 0x58
	s_load_b128 s[28:31], s[0:1], 0x40
	s_load_b128 s[36:39], s[0:1], 0x8
	s_load_b256 s[16:23], s[0:1], 0x20
	s_bitcmp1_b32 s14, 8
	s_cselect_b32 s14, -1, 0
	s_delay_alu instid0(SALU_CYCLE_1)
	s_and_b32 s35, s14, exec_lo
	s_cselect_b32 s41, s13, 0
	s_cselect_b32 s40, s12, 0
	s_xor_b32 s35, s14, -1
	v_dual_mov_b32 v1, s40 :: v_dual_mov_b32 v2, s41
	s_or_b32 s34, s35, s34
	s_delay_alu instid0(SALU_CYCLE_1)
	s_and_b32 vcc_lo, exec_lo, s34
	s_cbranch_vccnz .LBB21_4
; %bb.3:
	v_dual_mov_b32 v1, s12 :: v_dual_mov_b32 v2, s13
	flat_load_b64 v[1:2], v[1:2]
.LBB21_4:
	s_load_b64 s[0:1], s[0:1], 0x0
	v_lshrrev_b32_e32 v7, 4, v0
	v_mov_b32_e32 v3, 0
	v_and_b32_e32 v19, 15, v0
	s_mov_b32 s12, 0
	s_delay_alu instid0(VALU_DEP_3) | instskip(NEXT) | instid1(VALU_DEP_2)
	v_lshlrev_b32_e32 v0, 7, v7
	v_lshlrev_b32_e32 v4, 2, v19
	s_delay_alu instid0(VALU_DEP_1) | instskip(SKIP_3) | instid1(VALU_DEP_2)
	v_or3_b32 v0, v0, v4, 0x1000
	v_mov_b32_e32 v4, v3
	v_lshlrev_b32_e32 v8, 3, v19
	v_or_b32_e32 v16, -16, v19
	v_lshl_or_b32 v15, v7, 8, v8
	s_delay_alu instid0(VALU_DEP_2) | instskip(SKIP_2) | instid1(VALU_DEP_3)
	v_mov_b32_e32 v11, v16
	v_mov_b32_e32 v8, v0
	s_waitcnt lgkmcnt(0)
	v_dual_mov_b32 v10, s1 :: v_dual_mov_b32 v9, v15
.LBB21_5:                               ; =>This Inner Loop Header: Depth=1
	s_delay_alu instid0(VALU_DEP_3) | instskip(NEXT) | instid1(VALU_DEP_1)
	v_add_co_u32 v11, s13, v11, 16
	s_xor_b32 s13, s13, -1
	ds_store_b32 v8, v10
	ds_store_b64 v9, v[3:4]
	v_add_nc_u32_e32 v9, 0x80, v9
	v_add_nc_u32_e32 v8, 64, v8
	s_and_b32 s13, exec_lo, s13
	s_delay_alu instid0(SALU_CYCLE_1) | instskip(NEXT) | instid1(SALU_CYCLE_1)
	s_or_b32 s12, s13, s12
	s_and_not1_b32 exec_lo, exec_lo, s12
	s_cbranch_execnz .LBB21_5
; %bb.6:
	s_or_b32 exec_lo, exec_lo, s12
	s_lshl_b32 s12, s15, 4
	s_waitcnt vmcnt(0) lgkmcnt(0)
	buffer_gl0_inv
	v_and_or_b32 v3, 0xffffff0, s12, v7
	s_delay_alu instid0(VALU_DEP_1)
	v_cmp_gt_i32_e32 vcc_lo, s0, v3
	s_and_saveexec_b32 s0, vcc_lo
	s_cbranch_execz .LBB21_58
; %bb.7:
	s_cmp_eq_u64 s[38:39], 0
	s_cbranch_scc1 .LBB21_9
; %bb.8:
	s_load_b32 s0, s[36:37], 0x0
	s_waitcnt lgkmcnt(0)
	v_add_nc_u32_e32 v3, s0, v3
	s_delay_alu instid0(VALU_DEP_1) | instskip(NEXT) | instid1(VALU_DEP_1)
	v_ashrrev_i32_e32 v4, 31, v3
	v_lshlrev_b64 v[3:4], 2, v[3:4]
	s_delay_alu instid0(VALU_DEP_1) | instskip(NEXT) | instid1(VALU_DEP_2)
	v_add_co_u32 v3, vcc_lo, s38, v3
	v_add_co_ci_u32_e32 v4, vcc_lo, s39, v4, vcc_lo
	global_load_b32 v3, v[3:4], off
.LBB21_9:
	s_waitcnt vmcnt(0)
	v_ashrrev_i32_e32 v4, 31, v3
	v_lshl_or_b32 v17, v7, 7, 0x1000
	v_lshlrev_b32_e32 v18, 8, v7
	s_and_not1_b32 vcc_lo, exec_lo, s33
	s_delay_alu instid0(VALU_DEP_3)
	v_lshlrev_b64 v[3:4], 2, v[3:4]
	s_cbranch_vccnz .LBB21_33
; %bb.10:
	s_delay_alu instid0(VALU_DEP_1) | instskip(NEXT) | instid1(VALU_DEP_2)
	v_add_co_u32 v7, vcc_lo, s16, v3
	v_add_co_ci_u32_e32 v8, vcc_lo, s17, v4, vcc_lo
	v_subrev_nc_u32_e32 v9, s24, v19
	s_mov_b32 s0, exec_lo
	global_load_b64 v[7:8], v[7:8], off
	s_waitcnt vmcnt(0)
	v_subrev_nc_u32_e32 v20, s24, v8
	v_add_nc_u32_e32 v7, v7, v9
	s_delay_alu instid0(VALU_DEP_1)
	v_cmpx_lt_i32_e64 v7, v20
	s_cbranch_execz .LBB21_32
; %bb.11:
	s_mov_b32 s12, 0
	s_branch .LBB21_13
.LBB21_12:                              ;   in Loop: Header=BB21_13 Depth=1
	s_or_b32 exec_lo, exec_lo, s13
	v_add_nc_u32_e32 v7, 16, v7
	s_delay_alu instid0(VALU_DEP_1) | instskip(SKIP_1) | instid1(SALU_CYCLE_1)
	v_cmp_ge_i32_e32 vcc_lo, v7, v20
	s_or_b32 s12, vcc_lo, s12
	s_and_not1_b32 exec_lo, exec_lo, s12
	s_cbranch_execz .LBB21_32
.LBB21_13:                              ; =>This Loop Header: Depth=1
                                        ;     Child Loop BB21_16 Depth 2
                                        ;       Child Loop BB21_18 Depth 3
                                        ;         Child Loop BB21_24 Depth 4
                                        ;         Child Loop BB21_30 Depth 4
	v_ashrrev_i32_e32 v8, 31, v7
	s_mov_b32 s13, exec_lo
	s_delay_alu instid0(VALU_DEP_1) | instskip(NEXT) | instid1(VALU_DEP_1)
	v_lshlrev_b64 v[9:10], 2, v[7:8]
	v_add_co_u32 v9, vcc_lo, s18, v9
	s_delay_alu instid0(VALU_DEP_2) | instskip(SKIP_3) | instid1(VALU_DEP_1)
	v_add_co_ci_u32_e32 v10, vcc_lo, s19, v10, vcc_lo
	global_load_b32 v9, v[9:10], off
	s_waitcnt vmcnt(0)
	v_subrev_nc_u32_e32 v9, s24, v9
	v_ashrrev_i32_e32 v10, 31, v9
	s_delay_alu instid0(VALU_DEP_1) | instskip(NEXT) | instid1(VALU_DEP_1)
	v_lshlrev_b64 v[9:10], 2, v[9:10]
	v_add_co_u32 v9, vcc_lo, s22, v9
	s_delay_alu instid0(VALU_DEP_2)
	v_add_co_ci_u32_e32 v10, vcc_lo, s23, v10, vcc_lo
	global_load_b64 v[10:11], v[9:10], off
	s_waitcnt vmcnt(0)
	v_cmpx_lt_i32_e64 v10, v11
	s_cbranch_execz .LBB21_12
; %bb.14:                               ;   in Loop: Header=BB21_13 Depth=1
	v_lshlrev_b64 v[8:9], 3, v[7:8]
	v_subrev_nc_u32_e32 v21, s25, v11
	v_subrev_nc_u32_e32 v10, s25, v10
	s_mov_b32 s15, 0
	s_delay_alu instid0(VALU_DEP_3) | instskip(NEXT) | instid1(VALU_DEP_4)
	v_add_co_u32 v8, vcc_lo, s20, v8
	v_add_co_ci_u32_e32 v9, vcc_lo, s21, v9, vcc_lo
	global_load_b64 v[8:9], v[8:9], off
	s_waitcnt vmcnt(0)
	v_mul_f64 v[8:9], v[5:6], v[8:9]
	s_branch .LBB21_16
.LBB21_15:                              ;   in Loop: Header=BB21_16 Depth=2
	s_or_b32 exec_lo, exec_lo, s16
	v_add_nc_u32_e32 v10, 1, v10
	s_delay_alu instid0(VALU_DEP_1) | instskip(SKIP_1) | instid1(SALU_CYCLE_1)
	v_cmp_ge_i32_e32 vcc_lo, v10, v21
	s_or_b32 s15, vcc_lo, s15
	s_and_not1_b32 exec_lo, exec_lo, s15
	s_cbranch_execz .LBB21_12
.LBB21_16:                              ;   Parent Loop BB21_13 Depth=1
                                        ; =>  This Loop Header: Depth=2
                                        ;       Child Loop BB21_18 Depth 3
                                        ;         Child Loop BB21_24 Depth 4
                                        ;         Child Loop BB21_30 Depth 4
	v_ashrrev_i32_e32 v11, 31, v10
	s_mov_b32 s16, 0
	s_delay_alu instid0(VALU_DEP_1) | instskip(SKIP_1) | instid1(VALU_DEP_2)
	v_lshlrev_b64 v[12:13], 3, v[10:11]
	v_lshlrev_b64 v[22:23], 2, v[10:11]
	v_add_co_u32 v12, vcc_lo, s30, v12
	s_delay_alu instid0(VALU_DEP_3) | instskip(NEXT) | instid1(VALU_DEP_3)
	v_add_co_ci_u32_e32 v13, vcc_lo, s31, v13, vcc_lo
	v_add_co_u32 v22, vcc_lo, s28, v22
	s_delay_alu instid0(VALU_DEP_4)
	v_add_co_ci_u32_e32 v23, vcc_lo, s29, v23, vcc_lo
	global_load_b64 v[12:13], v[12:13], off
	global_load_b32 v14, v[22:23], off
	s_waitcnt vmcnt(1)
	v_mul_f64 v[11:12], v[8:9], v[12:13]
	s_waitcnt vmcnt(0)
	v_subrev_nc_u32_e32 v22, s25, v14
	s_delay_alu instid0(VALU_DEP_1) | instskip(NEXT) | instid1(VALU_DEP_1)
	v_lshl_add_u32 v13, v22, 3, v22
	v_and_b32_e32 v23, 31, v13
	s_branch .LBB21_18
.LBB21_17:                              ;   in Loop: Header=BB21_18 Depth=3
	s_or_b32 exec_lo, exec_lo, s17
	s_xor_b32 s17, s33, -1
	s_delay_alu instid0(SALU_CYCLE_1) | instskip(NEXT) | instid1(SALU_CYCLE_1)
	s_and_b32 s17, exec_lo, s17
	s_or_b32 s16, s17, s16
	s_delay_alu instid0(SALU_CYCLE_1)
	s_and_not1_b32 exec_lo, exec_lo, s16
	s_cbranch_execz .LBB21_15
.LBB21_18:                              ;   Parent Loop BB21_13 Depth=1
                                        ;     Parent Loop BB21_16 Depth=2
                                        ; =>    This Loop Header: Depth=3
                                        ;         Child Loop BB21_24 Depth 4
                                        ;         Child Loop BB21_30 Depth 4
	s_delay_alu instid0(VALU_DEP_1)
	v_lshl_add_u32 v13, v23, 2, v17
	s_mov_b32 s17, exec_lo
                                        ; implicit-def: $sgpr33
	ds_load_b32 v14, v13
	s_waitcnt lgkmcnt(0)
	v_cmpx_ne_u32_e64 v14, v22
	s_xor_b32 s17, exec_lo, s17
	s_cbranch_execz .LBB21_28
; %bb.19:                               ;   in Loop: Header=BB21_18 Depth=3
	s_mov_b32 s34, exec_lo
                                        ; implicit-def: $sgpr33
	v_cmpx_ne_u32_e64 s1, v14
	s_xor_b32 s34, exec_lo, s34
; %bb.20:                               ;   in Loop: Header=BB21_18 Depth=3
	v_add_nc_u32_e32 v13, 1, v23
	s_mov_b32 s33, -1
	s_delay_alu instid0(VALU_DEP_1)
	v_and_b32_e32 v23, 31, v13
                                        ; implicit-def: $vgpr13
; %bb.21:                               ;   in Loop: Header=BB21_18 Depth=3
	s_and_not1_saveexec_b32 s34, s34
	s_cbranch_execz .LBB21_27
; %bb.22:                               ;   in Loop: Header=BB21_18 Depth=3
	v_mov_b32_e32 v14, s1
	s_mov_b32 s36, -1
	s_mov_b32 s35, exec_lo
	ds_cmpstore_rtn_b32 v13, v13, v22, v14
	s_waitcnt lgkmcnt(0)
	v_cmpx_eq_u32_e64 s1, v13
	s_cbranch_execz .LBB21_26
; %bb.23:                               ;   in Loop: Header=BB21_18 Depth=3
	v_lshl_add_u32 v24, v23, 3, v18
	s_mov_b32 s36, 0
	ds_load_b64 v[13:14], v24
.LBB21_24:                              ;   Parent Loop BB21_13 Depth=1
                                        ;     Parent Loop BB21_16 Depth=2
                                        ;       Parent Loop BB21_18 Depth=3
                                        ; =>      This Inner Loop Header: Depth=4
	s_waitcnt lgkmcnt(0)
	v_add_f64 v[25:26], v[13:14], v[11:12]
	ds_cmpstore_rtn_b64 v[25:26], v24, v[25:26], v[13:14]
	s_waitcnt lgkmcnt(0)
	v_cmp_eq_u64_e32 vcc_lo, v[25:26], v[13:14]
	v_dual_mov_b32 v13, v25 :: v_dual_mov_b32 v14, v26
	s_or_b32 s36, vcc_lo, s36
	s_delay_alu instid0(SALU_CYCLE_1)
	s_and_not1_b32 exec_lo, exec_lo, s36
	s_cbranch_execnz .LBB21_24
; %bb.25:                               ;   in Loop: Header=BB21_18 Depth=3
	s_or_b32 exec_lo, exec_lo, s36
	s_delay_alu instid0(SALU_CYCLE_1)
	s_xor_b32 s36, exec_lo, -1
.LBB21_26:                              ;   in Loop: Header=BB21_18 Depth=3
	s_or_b32 exec_lo, exec_lo, s35
	s_delay_alu instid0(SALU_CYCLE_1) | instskip(SKIP_1) | instid1(SALU_CYCLE_1)
	s_and_not1_b32 s33, s33, exec_lo
	s_and_b32 s35, s36, exec_lo
	s_or_b32 s33, s33, s35
.LBB21_27:                              ;   in Loop: Header=BB21_18 Depth=3
	s_or_b32 exec_lo, exec_lo, s34
	s_delay_alu instid0(SALU_CYCLE_1)
	s_and_b32 s33, s33, exec_lo
.LBB21_28:                              ;   in Loop: Header=BB21_18 Depth=3
	s_and_not1_saveexec_b32 s17, s17
	s_cbranch_execz .LBB21_17
; %bb.29:                               ;   in Loop: Header=BB21_18 Depth=3
	v_lshl_add_u32 v24, v23, 3, v18
	s_mov_b32 s34, 0
	ds_load_b64 v[13:14], v24
.LBB21_30:                              ;   Parent Loop BB21_13 Depth=1
                                        ;     Parent Loop BB21_16 Depth=2
                                        ;       Parent Loop BB21_18 Depth=3
                                        ; =>      This Inner Loop Header: Depth=4
	s_waitcnt lgkmcnt(0)
	v_add_f64 v[25:26], v[13:14], v[11:12]
	ds_cmpstore_rtn_b64 v[25:26], v24, v[25:26], v[13:14]
	s_waitcnt lgkmcnt(0)
	v_cmp_eq_u64_e32 vcc_lo, v[25:26], v[13:14]
	v_dual_mov_b32 v13, v25 :: v_dual_mov_b32 v14, v26
	s_or_b32 s34, vcc_lo, s34
	s_delay_alu instid0(SALU_CYCLE_1)
	s_and_not1_b32 exec_lo, exec_lo, s34
	s_cbranch_execnz .LBB21_30
; %bb.31:                               ;   in Loop: Header=BB21_18 Depth=3
	s_or_b32 exec_lo, exec_lo, s34
	s_delay_alu instid0(SALU_CYCLE_1)
	s_and_not1_b32 s33, s33, exec_lo
	s_branch .LBB21_17
.LBB21_32:
	s_or_b32 exec_lo, exec_lo, s0
.LBB21_33:
	s_delay_alu instid0(SALU_CYCLE_1)
	s_and_not1_b32 vcc_lo, exec_lo, s14
	s_cbranch_vccnz .LBB21_54
; %bb.34:
	s_delay_alu instid0(VALU_DEP_1) | instskip(NEXT) | instid1(VALU_DEP_2)
	v_add_co_u32 v5, vcc_lo, s4, v3
	v_add_co_ci_u32_e32 v6, vcc_lo, s5, v4, vcc_lo
	v_subrev_nc_u32_e32 v7, s27, v19
	s_mov_b32 s0, exec_lo
	global_load_b64 v[5:6], v[5:6], off
	s_waitcnt vmcnt(0)
	v_subrev_nc_u32_e32 v10, s27, v6
	v_add_nc_u32_e32 v5, v5, v7
	s_delay_alu instid0(VALU_DEP_1)
	v_cmpx_lt_i32_e64 v5, v10
	s_cbranch_execz .LBB21_53
; %bb.35:
	s_mov_b32 s4, 0
	s_branch .LBB21_37
.LBB21_36:                              ;   in Loop: Header=BB21_37 Depth=1
	s_or_b32 exec_lo, exec_lo, s5
	v_add_nc_u32_e32 v5, 16, v5
	s_delay_alu instid0(VALU_DEP_1) | instskip(SKIP_1) | instid1(SALU_CYCLE_1)
	v_cmp_ge_i32_e32 vcc_lo, v5, v10
	s_or_b32 s4, vcc_lo, s4
	s_and_not1_b32 exec_lo, exec_lo, s4
	s_cbranch_execz .LBB21_53
.LBB21_37:                              ; =>This Loop Header: Depth=1
                                        ;     Child Loop BB21_39 Depth 2
                                        ;       Child Loop BB21_45 Depth 3
                                        ;       Child Loop BB21_51 Depth 3
	v_ashrrev_i32_e32 v6, 31, v5
	s_mov_b32 s5, 0
	s_delay_alu instid0(VALU_DEP_1) | instskip(SKIP_1) | instid1(VALU_DEP_2)
	v_lshlrev_b64 v[7:8], 3, v[5:6]
	v_lshlrev_b64 v[11:12], 2, v[5:6]
	v_add_co_u32 v7, vcc_lo, s8, v7
	s_delay_alu instid0(VALU_DEP_3) | instskip(NEXT) | instid1(VALU_DEP_3)
	v_add_co_ci_u32_e32 v8, vcc_lo, s9, v8, vcc_lo
	v_add_co_u32 v11, vcc_lo, s6, v11
	s_delay_alu instid0(VALU_DEP_4)
	v_add_co_ci_u32_e32 v12, vcc_lo, s7, v12, vcc_lo
	global_load_b64 v[7:8], v[7:8], off
	global_load_b32 v9, v[11:12], off
	s_waitcnt vmcnt(1)
	v_mul_f64 v[6:7], v[1:2], v[7:8]
	s_waitcnt vmcnt(0)
	v_subrev_nc_u32_e32 v11, s27, v9
	s_delay_alu instid0(VALU_DEP_1) | instskip(NEXT) | instid1(VALU_DEP_1)
	v_lshl_add_u32 v8, v11, 3, v11
	v_and_b32_e32 v12, 31, v8
	s_branch .LBB21_39
.LBB21_38:                              ;   in Loop: Header=BB21_39 Depth=2
	s_or_b32 exec_lo, exec_lo, s12
	s_xor_b32 s12, s13, -1
	s_delay_alu instid0(SALU_CYCLE_1) | instskip(NEXT) | instid1(SALU_CYCLE_1)
	s_and_b32 s12, exec_lo, s12
	s_or_b32 s5, s12, s5
	s_delay_alu instid0(SALU_CYCLE_1)
	s_and_not1_b32 exec_lo, exec_lo, s5
	s_cbranch_execz .LBB21_36
.LBB21_39:                              ;   Parent Loop BB21_37 Depth=1
                                        ; =>  This Loop Header: Depth=2
                                        ;       Child Loop BB21_45 Depth 3
                                        ;       Child Loop BB21_51 Depth 3
	s_delay_alu instid0(VALU_DEP_1)
	v_lshl_add_u32 v8, v12, 2, v17
	s_mov_b32 s12, exec_lo
                                        ; implicit-def: $sgpr13
	ds_load_b32 v9, v8
	s_waitcnt lgkmcnt(0)
	v_cmpx_ne_u32_e64 v9, v11
	s_xor_b32 s12, exec_lo, s12
	s_cbranch_execz .LBB21_49
; %bb.40:                               ;   in Loop: Header=BB21_39 Depth=2
	s_mov_b32 s14, exec_lo
                                        ; implicit-def: $sgpr13
	v_cmpx_ne_u32_e64 s1, v9
	s_xor_b32 s14, exec_lo, s14
; %bb.41:                               ;   in Loop: Header=BB21_39 Depth=2
	v_add_nc_u32_e32 v8, 1, v12
	s_mov_b32 s13, -1
	s_delay_alu instid0(VALU_DEP_1)
	v_and_b32_e32 v12, 31, v8
                                        ; implicit-def: $vgpr8
; %bb.42:                               ;   in Loop: Header=BB21_39 Depth=2
	s_and_not1_saveexec_b32 s14, s14
	s_cbranch_execz .LBB21_48
; %bb.43:                               ;   in Loop: Header=BB21_39 Depth=2
	v_mov_b32_e32 v9, s1
	s_mov_b32 s16, -1
	s_mov_b32 s15, exec_lo
	ds_cmpstore_rtn_b32 v8, v8, v11, v9
	s_waitcnt lgkmcnt(0)
	v_cmpx_eq_u32_e64 s1, v8
	s_cbranch_execz .LBB21_47
; %bb.44:                               ;   in Loop: Header=BB21_39 Depth=2
	v_lshl_add_u32 v13, v12, 3, v18
	s_mov_b32 s16, 0
	ds_load_b64 v[8:9], v13
.LBB21_45:                              ;   Parent Loop BB21_37 Depth=1
                                        ;     Parent Loop BB21_39 Depth=2
                                        ; =>    This Inner Loop Header: Depth=3
	s_waitcnt lgkmcnt(0)
	v_add_f64 v[19:20], v[8:9], v[6:7]
	ds_cmpstore_rtn_b64 v[19:20], v13, v[19:20], v[8:9]
	s_waitcnt lgkmcnt(0)
	v_cmp_eq_u64_e32 vcc_lo, v[19:20], v[8:9]
	v_dual_mov_b32 v8, v19 :: v_dual_mov_b32 v9, v20
	s_or_b32 s16, vcc_lo, s16
	s_delay_alu instid0(SALU_CYCLE_1)
	s_and_not1_b32 exec_lo, exec_lo, s16
	s_cbranch_execnz .LBB21_45
; %bb.46:                               ;   in Loop: Header=BB21_39 Depth=2
	s_or_b32 exec_lo, exec_lo, s16
	s_delay_alu instid0(SALU_CYCLE_1)
	s_xor_b32 s16, exec_lo, -1
.LBB21_47:                              ;   in Loop: Header=BB21_39 Depth=2
	s_or_b32 exec_lo, exec_lo, s15
	s_delay_alu instid0(SALU_CYCLE_1) | instskip(SKIP_1) | instid1(SALU_CYCLE_1)
	s_and_not1_b32 s13, s13, exec_lo
	s_and_b32 s15, s16, exec_lo
	s_or_b32 s13, s13, s15
.LBB21_48:                              ;   in Loop: Header=BB21_39 Depth=2
	s_or_b32 exec_lo, exec_lo, s14
	s_delay_alu instid0(SALU_CYCLE_1)
	s_and_b32 s13, s13, exec_lo
.LBB21_49:                              ;   in Loop: Header=BB21_39 Depth=2
	s_and_not1_saveexec_b32 s12, s12
	s_cbranch_execz .LBB21_38
; %bb.50:                               ;   in Loop: Header=BB21_39 Depth=2
	v_lshl_add_u32 v13, v12, 3, v18
	s_mov_b32 s14, 0
	ds_load_b64 v[8:9], v13
.LBB21_51:                              ;   Parent Loop BB21_37 Depth=1
                                        ;     Parent Loop BB21_39 Depth=2
                                        ; =>    This Inner Loop Header: Depth=3
	s_waitcnt lgkmcnt(0)
	v_add_f64 v[19:20], v[8:9], v[6:7]
	ds_cmpstore_rtn_b64 v[19:20], v13, v[19:20], v[8:9]
	s_waitcnt lgkmcnt(0)
	v_cmp_eq_u64_e32 vcc_lo, v[19:20], v[8:9]
	v_dual_mov_b32 v8, v19 :: v_dual_mov_b32 v9, v20
	s_or_b32 s14, vcc_lo, s14
	s_delay_alu instid0(SALU_CYCLE_1)
	s_and_not1_b32 exec_lo, exec_lo, s14
	s_cbranch_execnz .LBB21_51
; %bb.52:                               ;   in Loop: Header=BB21_39 Depth=2
	s_or_b32 exec_lo, exec_lo, s14
	s_delay_alu instid0(SALU_CYCLE_1)
	s_and_not1_b32 s13, s13, exec_lo
	s_branch .LBB21_38
.LBB21_53:
	s_or_b32 exec_lo, exec_lo, s0
.LBB21_54:
	s_delay_alu instid0(VALU_DEP_1) | instskip(NEXT) | instid1(VALU_DEP_2)
	v_add_co_u32 v1, vcc_lo, s10, v3
	v_add_co_ci_u32_e32 v2, vcc_lo, s11, v4, vcc_lo
	buffer_gl0_inv
	s_mov_b32 s0, 0
	global_load_b32 v1, v[1:2], off
	s_waitcnt vmcnt(0)
	v_subrev_nc_u32_e32 v1, s26, v1
	s_branch .LBB21_56
.LBB21_55:                              ;   in Loop: Header=BB21_56 Depth=1
	s_or_b32 exec_lo, exec_lo, s4
	v_add_co_u32 v16, s4, v16, 16
	s_delay_alu instid0(VALU_DEP_1) | instskip(SKIP_3) | instid1(SALU_CYCLE_1)
	s_xor_b32 s4, s4, -1
	v_add_nc_u32_e32 v15, 0x80, v15
	v_add_nc_u32_e32 v0, 64, v0
	s_and_b32 s4, exec_lo, s4
	s_or_b32 s0, s4, s0
	s_delay_alu instid0(SALU_CYCLE_1)
	s_and_not1_b32 exec_lo, exec_lo, s0
	s_cbranch_execz .LBB21_58
.LBB21_56:                              ; =>This Inner Loop Header: Depth=1
	ds_load_b32 v2, v0
	s_mov_b32 s4, exec_lo
	s_waitcnt lgkmcnt(0)
	v_cmpx_gt_i32_e64 s1, v2
	s_cbranch_execz .LBB21_55
; %bb.57:                               ;   in Loop: Header=BB21_56 Depth=1
	ds_load_b128 v[3:6], v17
	ds_load_b128 v[7:10], v17 offset:16
	ds_load_b128 v[11:14], v17 offset:32
	;; [unrolled: 1-line block ×7, first 2 shown]
	s_waitcnt lgkmcnt(7)
	v_cmp_gt_i32_e32 vcc_lo, v2, v3
	v_cndmask_b32_e64 v3, 0, 1, vcc_lo
	v_cmp_gt_i32_e32 vcc_lo, v2, v5
	v_cndmask_b32_e64 v5, 0, 1, vcc_lo
	v_cmp_gt_i32_e32 vcc_lo, v2, v4
	s_delay_alu instid0(VALU_DEP_4)
	v_add_co_ci_u32_e32 v3, vcc_lo, v1, v3, vcc_lo
	s_waitcnt lgkmcnt(6)
	v_cmp_gt_i32_e32 vcc_lo, v2, v7
	v_cndmask_b32_e64 v4, 0, 1, vcc_lo
	v_cmp_gt_i32_e32 vcc_lo, v2, v6
	v_add_co_ci_u32_e32 v3, vcc_lo, v3, v5, vcc_lo
	v_cmp_gt_i32_e32 vcc_lo, v2, v9
	v_cndmask_b32_e64 v5, 0, 1, vcc_lo
	v_cmp_gt_i32_e32 vcc_lo, v2, v8
	s_delay_alu instid0(VALU_DEP_4)
	v_add_co_ci_u32_e32 v3, vcc_lo, v3, v4, vcc_lo
	s_waitcnt lgkmcnt(5)
	v_cmp_gt_i32_e32 vcc_lo, v2, v11
	v_cndmask_b32_e64 v4, 0, 1, vcc_lo
	v_cmp_gt_i32_e32 vcc_lo, v2, v10
	v_add_co_ci_u32_e32 v3, vcc_lo, v3, v5, vcc_lo
	;; [unrolled: 10-line block ×7, first 2 shown]
	v_cmp_gt_i32_e32 vcc_lo, v2, v36
	v_cndmask_b32_e64 v5, 0, 1, vcc_lo
	v_cmp_gt_i32_e32 vcc_lo, v2, v35
	s_delay_alu instid0(VALU_DEP_4) | instskip(SKIP_1) | instid1(VALU_DEP_2)
	v_add_co_ci_u32_e32 v3, vcc_lo, v3, v4, vcc_lo
	v_cmp_gt_i32_e32 vcc_lo, v2, v37
	v_add_co_ci_u32_e32 v2, vcc_lo, v3, v5, vcc_lo
	ds_load_b64 v[4:5], v15
	v_ashrrev_i32_e32 v3, 31, v2
	s_delay_alu instid0(VALU_DEP_1) | instskip(NEXT) | instid1(VALU_DEP_1)
	v_lshlrev_b64 v[2:3], 3, v[2:3]
	v_add_co_u32 v2, vcc_lo, s2, v2
	s_delay_alu instid0(VALU_DEP_2)
	v_add_co_ci_u32_e32 v3, vcc_lo, s3, v3, vcc_lo
	s_waitcnt lgkmcnt(0)
	global_store_b64 v[2:3], v[4:5], off
	s_branch .LBB21_55
.LBB21_58:
	s_nop 0
	s_sendmsg sendmsg(MSG_DEALLOC_VGPRS)
	s_endpgm
	.section	.rodata,"a",@progbits
	.p2align	6, 0x0
	.amdhsa_kernel _ZN9rocsparseL38csrgemm_numeric_fill_wf_per_row_kernelILj256ELj16ELj32ELj137EiidEEvT4_S1_PKS1_S3_NS_24const_host_device_scalarIT5_EEPKT3_S3_PKS5_S9_S3_SB_S6_S9_S3_SB_S9_S3_PS5_21rocsparse_index_base_SD_SD_SD_bbb
		.amdhsa_group_segment_fixed_size 6144
		.amdhsa_private_segment_fixed_size 0
		.amdhsa_kernarg_size 156
		.amdhsa_user_sgpr_count 15
		.amdhsa_user_sgpr_dispatch_ptr 0
		.amdhsa_user_sgpr_queue_ptr 0
		.amdhsa_user_sgpr_kernarg_segment_ptr 1
		.amdhsa_user_sgpr_dispatch_id 0
		.amdhsa_user_sgpr_private_segment_size 0
		.amdhsa_wavefront_size32 1
		.amdhsa_uses_dynamic_stack 0
		.amdhsa_enable_private_segment 0
		.amdhsa_system_sgpr_workgroup_id_x 1
		.amdhsa_system_sgpr_workgroup_id_y 0
		.amdhsa_system_sgpr_workgroup_id_z 0
		.amdhsa_system_sgpr_workgroup_info 0
		.amdhsa_system_vgpr_workitem_id 0
		.amdhsa_next_free_vgpr 38
		.amdhsa_next_free_sgpr 42
		.amdhsa_reserve_vcc 1
		.amdhsa_float_round_mode_32 0
		.amdhsa_float_round_mode_16_64 0
		.amdhsa_float_denorm_mode_32 3
		.amdhsa_float_denorm_mode_16_64 3
		.amdhsa_dx10_clamp 1
		.amdhsa_ieee_mode 1
		.amdhsa_fp16_overflow 0
		.amdhsa_workgroup_processor_mode 1
		.amdhsa_memory_ordered 1
		.amdhsa_forward_progress 0
		.amdhsa_shared_vgpr_count 0
		.amdhsa_exception_fp_ieee_invalid_op 0
		.amdhsa_exception_fp_denorm_src 0
		.amdhsa_exception_fp_ieee_div_zero 0
		.amdhsa_exception_fp_ieee_overflow 0
		.amdhsa_exception_fp_ieee_underflow 0
		.amdhsa_exception_fp_ieee_inexact 0
		.amdhsa_exception_int_div_zero 0
	.end_amdhsa_kernel
	.section	.text._ZN9rocsparseL38csrgemm_numeric_fill_wf_per_row_kernelILj256ELj16ELj32ELj137EiidEEvT4_S1_PKS1_S3_NS_24const_host_device_scalarIT5_EEPKT3_S3_PKS5_S9_S3_SB_S6_S9_S3_SB_S9_S3_PS5_21rocsparse_index_base_SD_SD_SD_bbb,"axG",@progbits,_ZN9rocsparseL38csrgemm_numeric_fill_wf_per_row_kernelILj256ELj16ELj32ELj137EiidEEvT4_S1_PKS1_S3_NS_24const_host_device_scalarIT5_EEPKT3_S3_PKS5_S9_S3_SB_S6_S9_S3_SB_S9_S3_PS5_21rocsparse_index_base_SD_SD_SD_bbb,comdat
.Lfunc_end21:
	.size	_ZN9rocsparseL38csrgemm_numeric_fill_wf_per_row_kernelILj256ELj16ELj32ELj137EiidEEvT4_S1_PKS1_S3_NS_24const_host_device_scalarIT5_EEPKT3_S3_PKS5_S9_S3_SB_S6_S9_S3_SB_S9_S3_PS5_21rocsparse_index_base_SD_SD_SD_bbb, .Lfunc_end21-_ZN9rocsparseL38csrgemm_numeric_fill_wf_per_row_kernelILj256ELj16ELj32ELj137EiidEEvT4_S1_PKS1_S3_NS_24const_host_device_scalarIT5_EEPKT3_S3_PKS5_S9_S3_SB_S6_S9_S3_SB_S9_S3_PS5_21rocsparse_index_base_SD_SD_SD_bbb
                                        ; -- End function
	.section	.AMDGPU.csdata,"",@progbits
; Kernel info:
; codeLenInByte = 2560
; NumSgprs: 44
; NumVgprs: 38
; ScratchSize: 0
; MemoryBound: 0
; FloatMode: 240
; IeeeMode: 1
; LDSByteSize: 6144 bytes/workgroup (compile time only)
; SGPRBlocks: 5
; VGPRBlocks: 4
; NumSGPRsForWavesPerEU: 44
; NumVGPRsForWavesPerEU: 38
; Occupancy: 16
; WaveLimiterHint : 1
; COMPUTE_PGM_RSRC2:SCRATCH_EN: 0
; COMPUTE_PGM_RSRC2:USER_SGPR: 15
; COMPUTE_PGM_RSRC2:TRAP_HANDLER: 0
; COMPUTE_PGM_RSRC2:TGID_X_EN: 1
; COMPUTE_PGM_RSRC2:TGID_Y_EN: 0
; COMPUTE_PGM_RSRC2:TGID_Z_EN: 0
; COMPUTE_PGM_RSRC2:TIDIG_COMP_CNT: 0
	.section	.text._ZN9rocsparseL41csrgemm_numeric_fill_block_per_row_kernelILj128ELj16ELj256ELj137ELj32EiidEEvT5_PKS1_S3_NS_24const_host_device_scalarIT6_EEPKT4_S3_PKS5_S9_S3_SB_S6_S9_S3_SB_S9_S3_PS5_21rocsparse_index_base_SD_SD_SD_bbb,"axG",@progbits,_ZN9rocsparseL41csrgemm_numeric_fill_block_per_row_kernelILj128ELj16ELj256ELj137ELj32EiidEEvT5_PKS1_S3_NS_24const_host_device_scalarIT6_EEPKT4_S3_PKS5_S9_S3_SB_S6_S9_S3_SB_S9_S3_PS5_21rocsparse_index_base_SD_SD_SD_bbb,comdat
	.globl	_ZN9rocsparseL41csrgemm_numeric_fill_block_per_row_kernelILj128ELj16ELj256ELj137ELj32EiidEEvT5_PKS1_S3_NS_24const_host_device_scalarIT6_EEPKT4_S3_PKS5_S9_S3_SB_S6_S9_S3_SB_S9_S3_PS5_21rocsparse_index_base_SD_SD_SD_bbb ; -- Begin function _ZN9rocsparseL41csrgemm_numeric_fill_block_per_row_kernelILj128ELj16ELj256ELj137ELj32EiidEEvT5_PKS1_S3_NS_24const_host_device_scalarIT6_EEPKT4_S3_PKS5_S9_S3_SB_S6_S9_S3_SB_S9_S3_PS5_21rocsparse_index_base_SD_SD_SD_bbb
	.p2align	8
	.type	_ZN9rocsparseL41csrgemm_numeric_fill_block_per_row_kernelILj128ELj16ELj256ELj137ELj32EiidEEvT5_PKS1_S3_NS_24const_host_device_scalarIT6_EEPKT4_S3_PKS5_S9_S3_SB_S6_S9_S3_SB_S9_S3_PS5_21rocsparse_index_base_SD_SD_SD_bbb,@function
_ZN9rocsparseL41csrgemm_numeric_fill_block_per_row_kernelILj128ELj16ELj256ELj137ELj32EiidEEvT5_PKS1_S3_NS_24const_host_device_scalarIT6_EEPKT4_S3_PKS5_S9_S3_SB_S6_S9_S3_SB_S9_S3_PS5_21rocsparse_index_base_SD_SD_SD_bbb: ; @_ZN9rocsparseL41csrgemm_numeric_fill_block_per_row_kernelILj128ELj16ELj256ELj137ELj32EiidEEvT5_PKS1_S3_NS_24const_host_device_scalarIT6_EEPKT4_S3_PKS5_S9_S3_SB_S6_S9_S3_SB_S9_S3_PS5_21rocsparse_index_base_SD_SD_SD_bbb
; %bb.0:
	s_clause 0x2
	s_load_b32 s6, s[0:1], 0x98
	s_load_b64 s[4:5], s[0:1], 0x18
	s_load_b64 s[2:3], s[0:1], 0x50
	s_waitcnt lgkmcnt(0)
	s_and_b32 s8, 1, s6
	s_bitcmp1_b32 s6, 16
	s_cselect_b32 s7, -1, 0
	s_cmp_eq_u32 s8, 1
	s_cselect_b32 s35, -1, 0
	s_delay_alu instid0(SALU_CYCLE_1)
	s_and_b32 s8, s35, exec_lo
	s_cselect_b32 s9, s5, 0
	s_cselect_b32 s8, s4, 0
	s_xor_b32 s10, s35, -1
	v_dual_mov_b32 v3, s8 :: v_dual_mov_b32 v4, s9
	s_or_b32 s10, s10, s7
	s_delay_alu instid0(SALU_CYCLE_1)
	s_and_b32 vcc_lo, exec_lo, s10
	s_cbranch_vccnz .LBB22_2
; %bb.1:
	v_dual_mov_b32 v1, s4 :: v_dual_mov_b32 v2, s5
	flat_load_b64 v[3:4], v[1:2]
.LBB22_2:
	s_load_b128 s[24:27], s[0:1], 0x88
	s_bitcmp1_b32 s6, 8
	s_cselect_b32 s34, -1, 0
	s_delay_alu instid0(SALU_CYCLE_1)
	s_and_b32 s4, s34, exec_lo
	s_cselect_b32 s5, s3, 0
	s_cselect_b32 s4, s2, 0
	s_xor_b32 s6, s34, -1
	v_dual_mov_b32 v1, s4 :: v_dual_mov_b32 v2, s5
	s_or_b32 s6, s6, s7
	s_delay_alu instid0(SALU_CYCLE_1)
	s_and_b32 vcc_lo, exec_lo, s6
	s_cbranch_vccnz .LBB22_4
; %bb.3:
	v_dual_mov_b32 v1, s2 :: v_dual_mov_b32 v2, s3
	flat_load_b64 v[1:2], v[1:2]
.LBB22_4:
	s_clause 0x5
	s_load_b64 s[12:13], s[0:1], 0x80
	s_load_b256 s[4:11], s[0:1], 0x58
	s_load_b128 s[28:31], s[0:1], 0x40
	s_load_b256 s[16:23], s[0:1], 0x20
	s_load_b128 s[36:39], s[0:1], 0x8
	s_load_b32 s33, s[0:1], 0x0
	v_cmp_gt_u32_e64 s0, 0x100, v0
	v_lshlrev_b32_e32 v17, 3, v0
	v_or_b32_e32 v15, 0xffffff80, v0
	v_lshl_add_u32 v16, v0, 2, 0
	s_delay_alu instid0(VALU_DEP_4)
	s_and_saveexec_b32 s1, s0
	s_cbranch_execz .LBB22_7
; %bb.5:
	s_waitcnt lgkmcnt(0)
	v_dual_mov_b32 v5, 0 :: v_dual_mov_b32 v10, s33
	v_add3_u32 v7, v17, 0, 0x400
	v_or_b32_e32 v8, 0xffffff80, v0
	v_lshl_add_u32 v9, v0, 2, 0
	s_delay_alu instid0(VALU_DEP_4)
	v_mov_b32_e32 v6, v5
	s_mov_b32 s2, 0
.LBB22_6:                               ; =>This Inner Loop Header: Depth=1
	s_delay_alu instid0(VALU_DEP_3) | instskip(NEXT) | instid1(VALU_DEP_1)
	v_add_co_u32 v8, s3, 0x80, v8
	s_xor_b32 s3, s3, -1
	ds_store_b32 v9, v10
	ds_store_b64 v7, v[5:6]
	v_add_nc_u32_e32 v7, 0x400, v7
	v_add_nc_u32_e32 v9, 0x200, v9
	s_and_b32 s3, exec_lo, s3
	s_delay_alu instid0(SALU_CYCLE_1) | instskip(NEXT) | instid1(SALU_CYCLE_1)
	s_or_b32 s2, s3, s2
	s_and_not1_b32 exec_lo, exec_lo, s2
	s_cbranch_execnz .LBB22_6
.LBB22_7:
	s_or_b32 exec_lo, exec_lo, s1
	s_waitcnt vmcnt(0) lgkmcnt(0)
	s_barrier
	buffer_gl0_inv
	s_load_b32 s1, s[36:37], 0x0
	s_mov_b32 s3, 0
	s_waitcnt lgkmcnt(0)
	s_add_i32 s2, s1, s15
	s_delay_alu instid0(SALU_CYCLE_1) | instskip(NEXT) | instid1(SALU_CYCLE_1)
	s_lshl_b64 s[2:3], s[2:3], 2
	s_add_u32 s2, s38, s2
	s_addc_u32 s3, s39, s3
	s_and_b32 vcc_lo, exec_lo, s35
	s_load_b32 s14, s[2:3], 0x0
	s_cbranch_vccz .LBB22_31
; %bb.8:
	s_waitcnt lgkmcnt(0)
	s_ashr_i32 s15, s14, 31
	v_lshrrev_b32_e32 v5, 4, v0
	s_lshl_b64 s[2:3], s[14:15], 2
	s_delay_alu instid0(SALU_CYCLE_1) | instskip(SKIP_1) | instid1(VALU_DEP_1)
	s_add_u32 s2, s16, s2
	s_addc_u32 s3, s17, s3
	v_subrev_nc_u32_e32 v5, s24, v5
	s_load_b64 s[2:3], s[2:3], 0x0
	s_waitcnt lgkmcnt(0)
	s_delay_alu instid0(VALU_DEP_1) | instskip(SKIP_2) | instid1(VALU_DEP_1)
	v_add_nc_u32_e32 v5, s2, v5
	s_sub_i32 s1, s3, s24
	s_mov_b32 s2, exec_lo
	v_cmpx_gt_i32_e64 s1, v5
	s_cbranch_execz .LBB22_30
; %bb.9:
	v_and_b32_e32 v6, 15, v0
	s_mov_b32 s3, 0
	s_delay_alu instid0(VALU_DEP_1)
	v_subrev_nc_u32_e32 v18, s25, v6
	s_branch .LBB22_11
.LBB22_10:                              ;   in Loop: Header=BB22_11 Depth=1
	s_or_b32 exec_lo, exec_lo, s15
	v_add_nc_u32_e32 v5, 8, v5
	s_delay_alu instid0(VALU_DEP_1) | instskip(SKIP_1) | instid1(SALU_CYCLE_1)
	v_cmp_le_i32_e32 vcc_lo, s1, v5
	s_or_b32 s3, vcc_lo, s3
	s_and_not1_b32 exec_lo, exec_lo, s3
	s_cbranch_execz .LBB22_30
.LBB22_11:                              ; =>This Loop Header: Depth=1
                                        ;     Child Loop BB22_14 Depth 2
                                        ;       Child Loop BB22_16 Depth 3
                                        ;         Child Loop BB22_22 Depth 4
                                        ;         Child Loop BB22_28 Depth 4
	v_ashrrev_i32_e32 v6, 31, v5
	s_mov_b32 s15, exec_lo
	s_delay_alu instid0(VALU_DEP_1) | instskip(NEXT) | instid1(VALU_DEP_1)
	v_lshlrev_b64 v[7:8], 2, v[5:6]
	v_add_co_u32 v7, vcc_lo, s18, v7
	s_delay_alu instid0(VALU_DEP_2) | instskip(SKIP_3) | instid1(VALU_DEP_1)
	v_add_co_ci_u32_e32 v8, vcc_lo, s19, v8, vcc_lo
	global_load_b32 v7, v[7:8], off
	s_waitcnt vmcnt(0)
	v_subrev_nc_u32_e32 v7, s24, v7
	v_ashrrev_i32_e32 v8, 31, v7
	s_delay_alu instid0(VALU_DEP_1) | instskip(NEXT) | instid1(VALU_DEP_1)
	v_lshlrev_b64 v[7:8], 2, v[7:8]
	v_add_co_u32 v7, vcc_lo, s22, v7
	s_delay_alu instid0(VALU_DEP_2) | instskip(SKIP_4) | instid1(VALU_DEP_1)
	v_add_co_ci_u32_e32 v8, vcc_lo, s23, v8, vcc_lo
	global_load_b64 v[7:8], v[7:8], off
	s_waitcnt vmcnt(0)
	v_subrev_nc_u32_e32 v19, s25, v8
	v_add_nc_u32_e32 v7, v7, v18
	v_cmpx_lt_i32_e64 v7, v19
	s_cbranch_execz .LBB22_10
; %bb.12:                               ;   in Loop: Header=BB22_11 Depth=1
	v_lshlrev_b64 v[8:9], 3, v[5:6]
	s_mov_b32 s16, 0
	s_delay_alu instid0(VALU_DEP_1) | instskip(NEXT) | instid1(VALU_DEP_2)
	v_add_co_u32 v8, vcc_lo, s20, v8
	v_add_co_ci_u32_e32 v9, vcc_lo, s21, v9, vcc_lo
	global_load_b64 v[8:9], v[8:9], off
	s_waitcnt vmcnt(0)
	v_mul_f64 v[9:10], v[3:4], v[8:9]
	s_branch .LBB22_14
.LBB22_13:                              ;   in Loop: Header=BB22_14 Depth=2
	s_or_b32 exec_lo, exec_lo, s17
	v_add_nc_u32_e32 v7, 16, v7
	s_delay_alu instid0(VALU_DEP_1) | instskip(SKIP_1) | instid1(SALU_CYCLE_1)
	v_cmp_ge_i32_e32 vcc_lo, v7, v19
	s_or_b32 s16, vcc_lo, s16
	s_and_not1_b32 exec_lo, exec_lo, s16
	s_cbranch_execz .LBB22_10
.LBB22_14:                              ;   Parent Loop BB22_11 Depth=1
                                        ; =>  This Loop Header: Depth=2
                                        ;       Child Loop BB22_16 Depth 3
                                        ;         Child Loop BB22_22 Depth 4
                                        ;         Child Loop BB22_28 Depth 4
	v_ashrrev_i32_e32 v8, 31, v7
	s_mov_b32 s17, 0
	s_delay_alu instid0(VALU_DEP_1) | instskip(SKIP_1) | instid1(VALU_DEP_2)
	v_lshlrev_b64 v[11:12], 3, v[7:8]
	v_lshlrev_b64 v[13:14], 2, v[7:8]
	v_add_co_u32 v11, vcc_lo, s30, v11
	s_delay_alu instid0(VALU_DEP_3) | instskip(NEXT) | instid1(VALU_DEP_3)
	v_add_co_ci_u32_e32 v12, vcc_lo, s31, v12, vcc_lo
	v_add_co_u32 v13, vcc_lo, s28, v13
	s_delay_alu instid0(VALU_DEP_4)
	v_add_co_ci_u32_e32 v14, vcc_lo, s29, v14, vcc_lo
	global_load_b64 v[11:12], v[11:12], off
	global_load_b32 v6, v[13:14], off
	s_waitcnt vmcnt(1)
	v_mul_f64 v[11:12], v[9:10], v[11:12]
	s_waitcnt vmcnt(0)
	v_subrev_nc_u32_e32 v6, s25, v6
	s_delay_alu instid0(VALU_DEP_1) | instskip(NEXT) | instid1(VALU_DEP_1)
	v_mul_lo_u32 v8, 0x89, v6
	v_and_b32_e32 v8, 0xff, v8
	s_branch .LBB22_16
.LBB22_15:                              ;   in Loop: Header=BB22_16 Depth=3
	s_or_b32 exec_lo, exec_lo, s35
	s_xor_b32 s35, s36, -1
	s_delay_alu instid0(SALU_CYCLE_1) | instskip(NEXT) | instid1(SALU_CYCLE_1)
	s_and_b32 s35, exec_lo, s35
	s_or_b32 s17, s35, s17
	s_delay_alu instid0(SALU_CYCLE_1)
	s_and_not1_b32 exec_lo, exec_lo, s17
	s_cbranch_execz .LBB22_13
.LBB22_16:                              ;   Parent Loop BB22_11 Depth=1
                                        ;     Parent Loop BB22_14 Depth=2
                                        ; =>    This Loop Header: Depth=3
                                        ;         Child Loop BB22_22 Depth 4
                                        ;         Child Loop BB22_28 Depth 4
	s_delay_alu instid0(VALU_DEP_1)
	v_lshl_add_u32 v13, v8, 2, 0
	s_mov_b32 s35, exec_lo
                                        ; implicit-def: $sgpr36
	ds_load_b32 v14, v13
	s_waitcnt lgkmcnt(0)
	v_cmpx_ne_u32_e64 v14, v6
	s_xor_b32 s35, exec_lo, s35
	s_cbranch_execz .LBB22_26
; %bb.17:                               ;   in Loop: Header=BB22_16 Depth=3
	s_mov_b32 s37, exec_lo
                                        ; implicit-def: $sgpr36
	v_cmpx_ne_u32_e64 s33, v14
	s_xor_b32 s37, exec_lo, s37
; %bb.18:                               ;   in Loop: Header=BB22_16 Depth=3
	v_add_nc_u32_e32 v8, 1, v8
	s_mov_b32 s36, -1
                                        ; implicit-def: $vgpr13
	s_delay_alu instid0(VALU_DEP_1)
	v_and_b32_e32 v8, 0xff, v8
; %bb.19:                               ;   in Loop: Header=BB22_16 Depth=3
	s_and_not1_saveexec_b32 s37, s37
	s_cbranch_execz .LBB22_25
; %bb.20:                               ;   in Loop: Header=BB22_16 Depth=3
	v_mov_b32_e32 v14, s33
	s_mov_b32 s39, -1
	s_mov_b32 s38, exec_lo
	ds_cmpstore_rtn_b32 v14, v13, v6, v14
	s_waitcnt lgkmcnt(0)
	v_cmpx_eq_u32_e64 s33, v14
	s_cbranch_execz .LBB22_24
; %bb.21:                               ;   in Loop: Header=BB22_16 Depth=3
	v_lshlrev_b32_e32 v14, 2, v8
	s_mov_b32 s39, 0
	s_delay_alu instid0(VALU_DEP_1)
	v_add_nc_u32_e32 v20, v13, v14
	ds_load_b64 v[13:14], v20 offset:1024
.LBB22_22:                              ;   Parent Loop BB22_11 Depth=1
                                        ;     Parent Loop BB22_14 Depth=2
                                        ;       Parent Loop BB22_16 Depth=3
                                        ; =>      This Inner Loop Header: Depth=4
	s_waitcnt lgkmcnt(0)
	v_add_f64 v[21:22], v[13:14], v[11:12]
	ds_cmpstore_rtn_b64 v[21:22], v20, v[21:22], v[13:14] offset:1024
	s_waitcnt lgkmcnt(0)
	v_cmp_eq_u64_e32 vcc_lo, v[21:22], v[13:14]
	v_dual_mov_b32 v13, v21 :: v_dual_mov_b32 v14, v22
	s_or_b32 s39, vcc_lo, s39
	s_delay_alu instid0(SALU_CYCLE_1)
	s_and_not1_b32 exec_lo, exec_lo, s39
	s_cbranch_execnz .LBB22_22
; %bb.23:                               ;   in Loop: Header=BB22_16 Depth=3
	s_or_b32 exec_lo, exec_lo, s39
	s_delay_alu instid0(SALU_CYCLE_1)
	s_xor_b32 s39, exec_lo, -1
.LBB22_24:                              ;   in Loop: Header=BB22_16 Depth=3
	s_or_b32 exec_lo, exec_lo, s38
	s_delay_alu instid0(SALU_CYCLE_1) | instskip(SKIP_1) | instid1(SALU_CYCLE_1)
	s_and_not1_b32 s36, s36, exec_lo
	s_and_b32 s38, s39, exec_lo
	s_or_b32 s36, s36, s38
.LBB22_25:                              ;   in Loop: Header=BB22_16 Depth=3
	s_or_b32 exec_lo, exec_lo, s37
	s_delay_alu instid0(SALU_CYCLE_1)
	s_and_b32 s36, s36, exec_lo
                                        ; implicit-def: $vgpr13
.LBB22_26:                              ;   in Loop: Header=BB22_16 Depth=3
	s_and_not1_saveexec_b32 s35, s35
	s_cbranch_execz .LBB22_15
; %bb.27:                               ;   in Loop: Header=BB22_16 Depth=3
	v_lshlrev_b32_e32 v14, 2, v8
	s_mov_b32 s37, 0
	s_delay_alu instid0(VALU_DEP_1)
	v_add_nc_u32_e32 v20, v13, v14
	ds_load_b64 v[13:14], v20 offset:1024
.LBB22_28:                              ;   Parent Loop BB22_11 Depth=1
                                        ;     Parent Loop BB22_14 Depth=2
                                        ;       Parent Loop BB22_16 Depth=3
                                        ; =>      This Inner Loop Header: Depth=4
	s_waitcnt lgkmcnt(0)
	v_add_f64 v[21:22], v[13:14], v[11:12]
	ds_cmpstore_rtn_b64 v[21:22], v20, v[21:22], v[13:14] offset:1024
	s_waitcnt lgkmcnt(0)
	v_cmp_eq_u64_e32 vcc_lo, v[21:22], v[13:14]
	v_dual_mov_b32 v13, v21 :: v_dual_mov_b32 v14, v22
	s_or_b32 s37, vcc_lo, s37
	s_delay_alu instid0(SALU_CYCLE_1)
	s_and_not1_b32 exec_lo, exec_lo, s37
	s_cbranch_execnz .LBB22_28
; %bb.29:                               ;   in Loop: Header=BB22_16 Depth=3
	s_or_b32 exec_lo, exec_lo, s37
	s_delay_alu instid0(SALU_CYCLE_1)
	s_and_not1_b32 s36, s36, exec_lo
	s_branch .LBB22_15
.LBB22_30:
	s_or_b32 exec_lo, exec_lo, s2
.LBB22_31:
	s_delay_alu instid0(SALU_CYCLE_1)
	s_and_not1_b32 vcc_lo, exec_lo, s34
	s_cbranch_vccnz .LBB22_52
; %bb.32:
	s_waitcnt lgkmcnt(0)
	s_ashr_i32 s15, s14, 31
	v_subrev_nc_u32_e32 v3, s27, v0
	s_lshl_b64 s[2:3], s[14:15], 2
	s_delay_alu instid0(SALU_CYCLE_1)
	s_add_u32 s2, s4, s2
	s_addc_u32 s3, s5, s3
	s_load_b64 s[2:3], s[2:3], 0x0
	s_waitcnt lgkmcnt(0)
	v_add_nc_u32_e32 v3, s2, v3
	s_sub_i32 s1, s3, s27
	s_mov_b32 s2, exec_lo
	s_delay_alu instid0(VALU_DEP_1)
	v_cmpx_gt_i32_e64 s1, v3
	s_cbranch_execz .LBB22_51
; %bb.33:
	s_mov_b32 s3, 0
	s_branch .LBB22_35
.LBB22_34:                              ;   in Loop: Header=BB22_35 Depth=1
	s_or_b32 exec_lo, exec_lo, s4
	v_add_nc_u32_e32 v3, 0x80, v3
	s_delay_alu instid0(VALU_DEP_1) | instskip(SKIP_1) | instid1(SALU_CYCLE_1)
	v_cmp_le_i32_e32 vcc_lo, s1, v3
	s_or_b32 s3, vcc_lo, s3
	s_and_not1_b32 exec_lo, exec_lo, s3
	s_cbranch_execz .LBB22_51
.LBB22_35:                              ; =>This Loop Header: Depth=1
                                        ;     Child Loop BB22_37 Depth 2
                                        ;       Child Loop BB22_43 Depth 3
                                        ;       Child Loop BB22_49 Depth 3
	v_ashrrev_i32_e32 v4, 31, v3
	s_mov_b32 s4, 0
	s_delay_alu instid0(VALU_DEP_1) | instskip(SKIP_1) | instid1(VALU_DEP_2)
	v_lshlrev_b64 v[5:6], 3, v[3:4]
	v_lshlrev_b64 v[7:8], 2, v[3:4]
	v_add_co_u32 v5, vcc_lo, s8, v5
	s_delay_alu instid0(VALU_DEP_3) | instskip(NEXT) | instid1(VALU_DEP_3)
	v_add_co_ci_u32_e32 v6, vcc_lo, s9, v6, vcc_lo
	v_add_co_u32 v7, vcc_lo, s6, v7
	s_delay_alu instid0(VALU_DEP_4)
	v_add_co_ci_u32_e32 v8, vcc_lo, s7, v8, vcc_lo
	global_load_b64 v[5:6], v[5:6], off
	global_load_b32 v7, v[7:8], off
	s_waitcnt vmcnt(1)
	v_mul_f64 v[4:5], v[1:2], v[5:6]
	s_waitcnt vmcnt(0)
	v_subrev_nc_u32_e32 v8, s27, v7
	s_delay_alu instid0(VALU_DEP_1) | instskip(NEXT) | instid1(VALU_DEP_1)
	v_mul_lo_u32 v6, 0x89, v8
	v_and_b32_e32 v9, 0xff, v6
	s_branch .LBB22_37
.LBB22_36:                              ;   in Loop: Header=BB22_37 Depth=2
	s_or_b32 exec_lo, exec_lo, s5
	s_xor_b32 s5, s15, -1
	s_delay_alu instid0(SALU_CYCLE_1) | instskip(NEXT) | instid1(SALU_CYCLE_1)
	s_and_b32 s5, exec_lo, s5
	s_or_b32 s4, s5, s4
	s_delay_alu instid0(SALU_CYCLE_1)
	s_and_not1_b32 exec_lo, exec_lo, s4
	s_cbranch_execz .LBB22_34
.LBB22_37:                              ;   Parent Loop BB22_35 Depth=1
                                        ; =>  This Loop Header: Depth=2
                                        ;       Child Loop BB22_43 Depth 3
                                        ;       Child Loop BB22_49 Depth 3
	s_delay_alu instid0(VALU_DEP_1)
	v_lshl_add_u32 v6, v9, 2, 0
	s_mov_b32 s5, exec_lo
                                        ; implicit-def: $sgpr15
	ds_load_b32 v7, v6
	s_waitcnt lgkmcnt(0)
	v_cmpx_ne_u32_e64 v7, v8
	s_xor_b32 s5, exec_lo, s5
	s_cbranch_execz .LBB22_47
; %bb.38:                               ;   in Loop: Header=BB22_37 Depth=2
	s_mov_b32 s16, exec_lo
                                        ; implicit-def: $sgpr15
	v_cmpx_ne_u32_e64 s33, v7
	s_xor_b32 s16, exec_lo, s16
; %bb.39:                               ;   in Loop: Header=BB22_37 Depth=2
	v_add_nc_u32_e32 v6, 1, v9
	s_mov_b32 s15, -1
	s_delay_alu instid0(VALU_DEP_1)
	v_and_b32_e32 v9, 0xff, v6
                                        ; implicit-def: $vgpr6
; %bb.40:                               ;   in Loop: Header=BB22_37 Depth=2
	s_and_not1_saveexec_b32 s16, s16
	s_cbranch_execz .LBB22_46
; %bb.41:                               ;   in Loop: Header=BB22_37 Depth=2
	v_mov_b32_e32 v7, s33
	s_mov_b32 s18, -1
	s_mov_b32 s17, exec_lo
	ds_cmpstore_rtn_b32 v7, v6, v8, v7
	s_waitcnt lgkmcnt(0)
	v_cmpx_eq_u32_e64 s33, v7
	s_cbranch_execz .LBB22_45
; %bb.42:                               ;   in Loop: Header=BB22_37 Depth=2
	v_lshlrev_b32_e32 v7, 2, v9
	s_mov_b32 s18, 0
	s_delay_alu instid0(VALU_DEP_1)
	v_add_nc_u32_e32 v10, v6, v7
	ds_load_b64 v[6:7], v10 offset:1024
.LBB22_43:                              ;   Parent Loop BB22_35 Depth=1
                                        ;     Parent Loop BB22_37 Depth=2
                                        ; =>    This Inner Loop Header: Depth=3
	s_waitcnt lgkmcnt(0)
	v_add_f64 v[11:12], v[6:7], v[4:5]
	ds_cmpstore_rtn_b64 v[11:12], v10, v[11:12], v[6:7] offset:1024
	s_waitcnt lgkmcnt(0)
	v_cmp_eq_u64_e32 vcc_lo, v[11:12], v[6:7]
	v_dual_mov_b32 v6, v11 :: v_dual_mov_b32 v7, v12
	s_or_b32 s18, vcc_lo, s18
	s_delay_alu instid0(SALU_CYCLE_1)
	s_and_not1_b32 exec_lo, exec_lo, s18
	s_cbranch_execnz .LBB22_43
; %bb.44:                               ;   in Loop: Header=BB22_37 Depth=2
	s_or_b32 exec_lo, exec_lo, s18
	s_delay_alu instid0(SALU_CYCLE_1)
	s_xor_b32 s18, exec_lo, -1
.LBB22_45:                              ;   in Loop: Header=BB22_37 Depth=2
	s_or_b32 exec_lo, exec_lo, s17
	s_delay_alu instid0(SALU_CYCLE_1) | instskip(SKIP_1) | instid1(SALU_CYCLE_1)
	s_and_not1_b32 s15, s15, exec_lo
	s_and_b32 s17, s18, exec_lo
	s_or_b32 s15, s15, s17
.LBB22_46:                              ;   in Loop: Header=BB22_37 Depth=2
	s_or_b32 exec_lo, exec_lo, s16
	s_delay_alu instid0(SALU_CYCLE_1)
	s_and_b32 s15, s15, exec_lo
                                        ; implicit-def: $vgpr6
.LBB22_47:                              ;   in Loop: Header=BB22_37 Depth=2
	s_and_not1_saveexec_b32 s5, s5
	s_cbranch_execz .LBB22_36
; %bb.48:                               ;   in Loop: Header=BB22_37 Depth=2
	v_lshlrev_b32_e32 v7, 2, v9
	s_mov_b32 s16, 0
	s_delay_alu instid0(VALU_DEP_1)
	v_add_nc_u32_e32 v10, v6, v7
	ds_load_b64 v[6:7], v10 offset:1024
.LBB22_49:                              ;   Parent Loop BB22_35 Depth=1
                                        ;     Parent Loop BB22_37 Depth=2
                                        ; =>    This Inner Loop Header: Depth=3
	s_waitcnt lgkmcnt(0)
	v_add_f64 v[11:12], v[6:7], v[4:5]
	ds_cmpstore_rtn_b64 v[11:12], v10, v[11:12], v[6:7] offset:1024
	s_waitcnt lgkmcnt(0)
	v_cmp_eq_u64_e32 vcc_lo, v[11:12], v[6:7]
	v_dual_mov_b32 v6, v11 :: v_dual_mov_b32 v7, v12
	s_or_b32 s16, vcc_lo, s16
	s_delay_alu instid0(SALU_CYCLE_1)
	s_and_not1_b32 exec_lo, exec_lo, s16
	s_cbranch_execnz .LBB22_49
; %bb.50:                               ;   in Loop: Header=BB22_37 Depth=2
	s_or_b32 exec_lo, exec_lo, s16
	s_delay_alu instid0(SALU_CYCLE_1)
	s_and_not1_b32 s15, s15, exec_lo
	s_branch .LBB22_36
.LBB22_51:
	s_or_b32 exec_lo, exec_lo, s2
.LBB22_52:
	s_waitcnt lgkmcnt(0)
	s_barrier
	buffer_gl0_inv
	s_and_saveexec_b32 s4, s0
	s_cbranch_execz .LBB22_65
; %bb.53:
	v_mbcnt_lo_u32_b32 v1, -1, 0
	v_lshrrev_b32_e32 v2, 3, v0
	v_cmp_eq_u32_e32 vcc_lo, 0x7f, v0
	v_cmp_lt_u32_e64 s0, 31, v0
	v_cmp_lt_u32_e64 s1, 63, v0
	v_xor_b32_e32 v1, 63, v1
	v_dual_mov_b32 v6, 0 :: v_dual_and_b32 v3, 12, v2
	v_cmp_lt_u32_e64 s2, 0x5f, v0
	v_add3_u32 v4, v17, 0, 0x400
	s_delay_alu instid0(VALU_DEP_4) | instskip(NEXT) | instid1(VALU_DEP_4)
	v_lshrrev_b64 v[1:2], v1, -1
	v_add_nc_u32_e32 v5, 0, v3
	v_mov_b32_e32 v7, 0
	s_mov_b32 s5, 0
	s_branch .LBB22_55
.LBB22_54:                              ;   in Loop: Header=BB22_55 Depth=1
	s_or_b32 exec_lo, exec_lo, s3
	s_waitcnt lgkmcnt(0)
	s_barrier
	buffer_gl0_inv
	ds_load_b32 v2, v6 offset:3084
	v_add_co_u32 v15, s3, 0x80, v15
	s_delay_alu instid0(VALU_DEP_1) | instskip(SKIP_3) | instid1(SALU_CYCLE_1)
	s_xor_b32 s3, s3, -1
	v_add_nc_u32_e32 v4, 0x400, v4
	v_add_nc_u32_e32 v16, 0x200, v16
	s_and_b32 s3, exec_lo, s3
	s_or_b32 s5, s3, s5
	s_waitcnt lgkmcnt(0)
	v_add_nc_u32_e32 v7, v2, v7
	s_and_not1_b32 exec_lo, exec_lo, s5
	s_cbranch_execz .LBB22_65
.LBB22_55:                              ; =>This Inner Loop Header: Depth=1
	ds_load_b32 v8, v16
	ds_load_b64 v[2:3], v4
	s_waitcnt lgkmcnt(0)
	s_barrier
	buffer_gl0_inv
	v_cmp_gt_i32_e64 s3, s33, v8
	s_delay_alu instid0(VALU_DEP_1) | instskip(NEXT) | instid1(SALU_CYCLE_1)
	s_bcnt1_i32_b32 s6, s3
	v_dual_mov_b32 v10, s6 :: v_dual_and_b32 v9, s3, v1
	s_delay_alu instid0(VALU_DEP_1)
	v_bcnt_u32_b32 v9, v9, 0
	ds_store_b32 v5, v10 offset:3072
	s_waitcnt lgkmcnt(0)
	s_barrier
	buffer_gl0_inv
	s_and_saveexec_b32 s6, s0
	s_cbranch_execnz .LBB22_60
; %bb.56:                               ;   in Loop: Header=BB22_55 Depth=1
	s_or_b32 exec_lo, exec_lo, s6
	s_and_saveexec_b32 s6, s1
	s_cbranch_execnz .LBB22_61
.LBB22_57:                              ;   in Loop: Header=BB22_55 Depth=1
	s_or_b32 exec_lo, exec_lo, s6
	s_and_saveexec_b32 s6, s2
	s_cbranch_execnz .LBB22_62
.LBB22_58:                              ;   in Loop: Header=BB22_55 Depth=1
	s_or_b32 exec_lo, exec_lo, s6
	s_and_saveexec_b32 s6, s3
	s_cbranch_execnz .LBB22_63
.LBB22_59:                              ;   in Loop: Header=BB22_55 Depth=1
	s_or_b32 exec_lo, exec_lo, s6
	s_and_saveexec_b32 s3, vcc_lo
	s_cbranch_execz .LBB22_54
	s_branch .LBB22_64
.LBB22_60:                              ;   in Loop: Header=BB22_55 Depth=1
	ds_load_b32 v10, v6 offset:3072
	s_waitcnt lgkmcnt(0)
	v_add_nc_u32_e32 v9, v10, v9
	s_or_b32 exec_lo, exec_lo, s6
	s_and_saveexec_b32 s6, s1
	s_cbranch_execz .LBB22_57
.LBB22_61:                              ;   in Loop: Header=BB22_55 Depth=1
	ds_load_b32 v10, v6 offset:3076
	s_waitcnt lgkmcnt(0)
	v_add_nc_u32_e32 v9, v10, v9
	s_or_b32 exec_lo, exec_lo, s6
	s_and_saveexec_b32 s6, s2
	s_cbranch_execz .LBB22_58
.LBB22_62:                              ;   in Loop: Header=BB22_55 Depth=1
	ds_load_b32 v10, v6 offset:3080
	s_waitcnt lgkmcnt(0)
	v_add_nc_u32_e32 v9, v10, v9
	s_or_b32 exec_lo, exec_lo, s6
	s_and_saveexec_b32 s6, s3
	s_cbranch_execz .LBB22_59
.LBB22_63:                              ;   in Loop: Header=BB22_55 Depth=1
	s_delay_alu instid0(VALU_DEP_1) | instskip(NEXT) | instid1(VALU_DEP_1)
	v_add3_u32 v10, v7, -1, v9
	v_lshl_add_u32 v11, v10, 2, 0
	v_lshl_add_u32 v10, v10, 3, 0
	ds_store_b32 v11, v8
	ds_store_b64 v10, v[2:3] offset:1024
	s_or_b32 exec_lo, exec_lo, s6
	s_and_saveexec_b32 s3, vcc_lo
	s_cbranch_execz .LBB22_54
.LBB22_64:                              ;   in Loop: Header=BB22_55 Depth=1
	ds_store_b32 v6, v9 offset:3084
	s_branch .LBB22_54
.LBB22_65:
	s_or_b32 exec_lo, exec_lo, s4
	s_ashr_i32 s15, s14, 31
	s_mov_b32 s3, exec_lo
	s_lshl_b64 s[0:1], s[14:15], 2
	s_delay_alu instid0(SALU_CYCLE_1) | instskip(SKIP_4) | instid1(SALU_CYCLE_1)
	s_add_u32 s0, s10, s0
	s_addc_u32 s1, s11, s1
	s_load_b64 s[0:1], s[0:1], 0x0
	s_waitcnt lgkmcnt(0)
	s_sub_i32 s2, s1, s0
	v_cmpx_gt_i32_e64 s2, v0
	s_cbranch_execz .LBB22_75
; %bb.66:
	s_sub_i32 s3, s0, s26
	s_sub_i32 s0, s0, s1
	s_and_b32 s1, s2, 7
	s_cmp_lt_u32 s0, -7
	s_mov_b32 s7, 0
	s_cselect_b32 s4, -1, 0
	s_and_b32 s5, s2, -8
	s_cmp_lg_u32 s1, 0
	s_cselect_b32 s6, -1, 0
	s_branch .LBB22_68
.LBB22_67:                              ;   in Loop: Header=BB22_68 Depth=1
	s_waitcnt lgkmcnt(1)
	s_delay_alu instid0(VALU_DEP_1) | instskip(SKIP_1) | instid1(VALU_DEP_2)
	v_ashrrev_i32_e32 v4, 31, v3
	v_add_nc_u32_e32 v0, 0x80, v0
	v_lshlrev_b64 v[3:4], 3, v[3:4]
	s_delay_alu instid0(VALU_DEP_2) | instskip(SKIP_1) | instid1(VALU_DEP_2)
	v_cmp_le_i32_e32 vcc_lo, s2, v0
	s_or_b32 s7, vcc_lo, s7
	v_add_co_u32 v3, s0, s12, v3
	s_delay_alu instid0(VALU_DEP_1)
	v_add_co_ci_u32_e64 v4, s0, s13, v4, s0
	s_waitcnt lgkmcnt(0)
	global_store_b64 v[3:4], v[1:2], off
	s_and_not1_b32 exec_lo, exec_lo, s7
	s_cbranch_execz .LBB22_75
.LBB22_68:                              ; =>This Loop Header: Depth=1
                                        ;     Child Loop BB22_70 Depth 2
                                        ;     Child Loop BB22_74 Depth 2
	v_lshlrev_b32_e32 v1, 2, v0
	s_and_not1_b32 vcc_lo, exec_lo, s4
	s_mov_b32 s0, 0
	s_delay_alu instid0(VALU_DEP_1) | instskip(NEXT) | instid1(VALU_DEP_1)
	v_dual_mov_b32 v3, s3 :: v_dual_add_nc_u32 v2, 0, v1
	v_add_nc_u32_e32 v1, v2, v1
	ds_load_b32 v4, v2
	ds_load_b64 v[1:2], v1 offset:1024
	s_cbranch_vccnz .LBB22_72
; %bb.69:                               ;   in Loop: Header=BB22_68 Depth=1
	v_mov_b32_e32 v3, s3
	s_mov_b32 s8, 0
	s_set_inst_prefetch_distance 0x1
	.p2align	6
.LBB22_70:                              ;   Parent Loop BB22_68 Depth=1
                                        ; =>  This Inner Loop Header: Depth=2
	v_mov_b32_e32 v11, s8
	s_add_i32 s0, s0, 8
	s_add_i32 s8, s8, 32
	s_cmp_eq_u32 s5, s0
	ds_load_2addr_b32 v[5:6], v11 offset1:1
	ds_load_2addr_b32 v[7:8], v11 offset0:2 offset1:3
	ds_load_2addr_b32 v[9:10], v11 offset0:4 offset1:5
	;; [unrolled: 1-line block ×3, first 2 shown]
	s_waitcnt lgkmcnt(3)
	v_cmp_gt_i32_e32 vcc_lo, v4, v5
	v_cndmask_b32_e64 v5, 0, 1, vcc_lo
	s_waitcnt lgkmcnt(2)
	v_cmp_gt_i32_e32 vcc_lo, v4, v7
	v_cndmask_b32_e64 v7, 0, 1, vcc_lo
	v_cmp_gt_i32_e32 vcc_lo, v4, v6
	v_add_co_ci_u32_e32 v3, vcc_lo, v3, v5, vcc_lo
	s_waitcnt lgkmcnt(1)
	v_cmp_gt_i32_e32 vcc_lo, v4, v9
	v_cndmask_b32_e64 v5, 0, 1, vcc_lo
	v_cmp_gt_i32_e32 vcc_lo, v4, v8
	v_add_co_ci_u32_e32 v3, vcc_lo, v3, v7, vcc_lo
	;; [unrolled: 5-line block ×3, first 2 shown]
	v_cmp_gt_i32_e32 vcc_lo, v4, v12
	s_delay_alu instid0(VALU_DEP_2)
	v_add_co_ci_u32_e32 v3, vcc_lo, v3, v6, vcc_lo
	s_cbranch_scc0 .LBB22_70
; %bb.71:                               ;   in Loop: Header=BB22_68 Depth=1
	s_set_inst_prefetch_distance 0x2
	s_mov_b32 s0, s5
.LBB22_72:                              ;   in Loop: Header=BB22_68 Depth=1
	s_and_not1_b32 vcc_lo, exec_lo, s6
	s_cbranch_vccnz .LBB22_67
; %bb.73:                               ;   in Loop: Header=BB22_68 Depth=1
	s_lshl_b32 s0, s0, 2
	s_mov_b32 s8, s1
	s_add_i32 s0, s0, 0
.LBB22_74:                              ;   Parent Loop BB22_68 Depth=1
                                        ; =>  This Inner Loop Header: Depth=2
	s_delay_alu instid0(SALU_CYCLE_1)
	v_mov_b32_e32 v5, s0
	s_add_i32 s8, s8, -1
	s_add_i32 s0, s0, 4
	s_cmp_lg_u32 s8, 0
	ds_load_b32 v5, v5
	s_waitcnt lgkmcnt(0)
	v_cmp_gt_i32_e32 vcc_lo, v4, v5
	v_add_co_ci_u32_e32 v3, vcc_lo, 0, v3, vcc_lo
	s_cbranch_scc1 .LBB22_74
	s_branch .LBB22_67
.LBB22_75:
	s_nop 0
	s_sendmsg sendmsg(MSG_DEALLOC_VGPRS)
	s_endpgm
	.section	.rodata,"a",@progbits
	.p2align	6, 0x0
	.amdhsa_kernel _ZN9rocsparseL41csrgemm_numeric_fill_block_per_row_kernelILj128ELj16ELj256ELj137ELj32EiidEEvT5_PKS1_S3_NS_24const_host_device_scalarIT6_EEPKT4_S3_PKS5_S9_S3_SB_S6_S9_S3_SB_S9_S3_PS5_21rocsparse_index_base_SD_SD_SD_bbb
		.amdhsa_group_segment_fixed_size 0
		.amdhsa_private_segment_fixed_size 0
		.amdhsa_kernarg_size 156
		.amdhsa_user_sgpr_count 15
		.amdhsa_user_sgpr_dispatch_ptr 0
		.amdhsa_user_sgpr_queue_ptr 0
		.amdhsa_user_sgpr_kernarg_segment_ptr 1
		.amdhsa_user_sgpr_dispatch_id 0
		.amdhsa_user_sgpr_private_segment_size 0
		.amdhsa_wavefront_size32 1
		.amdhsa_uses_dynamic_stack 0
		.amdhsa_enable_private_segment 0
		.amdhsa_system_sgpr_workgroup_id_x 1
		.amdhsa_system_sgpr_workgroup_id_y 0
		.amdhsa_system_sgpr_workgroup_id_z 0
		.amdhsa_system_sgpr_workgroup_info 0
		.amdhsa_system_vgpr_workitem_id 0
		.amdhsa_next_free_vgpr 23
		.amdhsa_next_free_sgpr 40
		.amdhsa_reserve_vcc 1
		.amdhsa_float_round_mode_32 0
		.amdhsa_float_round_mode_16_64 0
		.amdhsa_float_denorm_mode_32 3
		.amdhsa_float_denorm_mode_16_64 3
		.amdhsa_dx10_clamp 1
		.amdhsa_ieee_mode 1
		.amdhsa_fp16_overflow 0
		.amdhsa_workgroup_processor_mode 1
		.amdhsa_memory_ordered 1
		.amdhsa_forward_progress 0
		.amdhsa_shared_vgpr_count 0
		.amdhsa_exception_fp_ieee_invalid_op 0
		.amdhsa_exception_fp_denorm_src 0
		.amdhsa_exception_fp_ieee_div_zero 0
		.amdhsa_exception_fp_ieee_overflow 0
		.amdhsa_exception_fp_ieee_underflow 0
		.amdhsa_exception_fp_ieee_inexact 0
		.amdhsa_exception_int_div_zero 0
	.end_amdhsa_kernel
	.section	.text._ZN9rocsparseL41csrgemm_numeric_fill_block_per_row_kernelILj128ELj16ELj256ELj137ELj32EiidEEvT5_PKS1_S3_NS_24const_host_device_scalarIT6_EEPKT4_S3_PKS5_S9_S3_SB_S6_S9_S3_SB_S9_S3_PS5_21rocsparse_index_base_SD_SD_SD_bbb,"axG",@progbits,_ZN9rocsparseL41csrgemm_numeric_fill_block_per_row_kernelILj128ELj16ELj256ELj137ELj32EiidEEvT5_PKS1_S3_NS_24const_host_device_scalarIT6_EEPKT4_S3_PKS5_S9_S3_SB_S6_S9_S3_SB_S9_S3_PS5_21rocsparse_index_base_SD_SD_SD_bbb,comdat
.Lfunc_end22:
	.size	_ZN9rocsparseL41csrgemm_numeric_fill_block_per_row_kernelILj128ELj16ELj256ELj137ELj32EiidEEvT5_PKS1_S3_NS_24const_host_device_scalarIT6_EEPKT4_S3_PKS5_S9_S3_SB_S6_S9_S3_SB_S9_S3_PS5_21rocsparse_index_base_SD_SD_SD_bbb, .Lfunc_end22-_ZN9rocsparseL41csrgemm_numeric_fill_block_per_row_kernelILj128ELj16ELj256ELj137ELj32EiidEEvT5_PKS1_S3_NS_24const_host_device_scalarIT6_EEPKT4_S3_PKS5_S9_S3_SB_S6_S9_S3_SB_S9_S3_PS5_21rocsparse_index_base_SD_SD_SD_bbb
                                        ; -- End function
	.section	.AMDGPU.csdata,"",@progbits
; Kernel info:
; codeLenInByte = 2916
; NumSgprs: 42
; NumVgprs: 23
; ScratchSize: 0
; MemoryBound: 0
; FloatMode: 240
; IeeeMode: 1
; LDSByteSize: 0 bytes/workgroup (compile time only)
; SGPRBlocks: 5
; VGPRBlocks: 2
; NumSGPRsForWavesPerEU: 42
; NumVGPRsForWavesPerEU: 23
; Occupancy: 16
; WaveLimiterHint : 1
; COMPUTE_PGM_RSRC2:SCRATCH_EN: 0
; COMPUTE_PGM_RSRC2:USER_SGPR: 15
; COMPUTE_PGM_RSRC2:TRAP_HANDLER: 0
; COMPUTE_PGM_RSRC2:TGID_X_EN: 1
; COMPUTE_PGM_RSRC2:TGID_Y_EN: 0
; COMPUTE_PGM_RSRC2:TGID_Z_EN: 0
; COMPUTE_PGM_RSRC2:TIDIG_COMP_CNT: 0
	.section	.text._ZN9rocsparseL41csrgemm_numeric_fill_block_per_row_kernelILj128ELj16ELj256ELj137ELj64EiidEEvT5_PKS1_S3_NS_24const_host_device_scalarIT6_EEPKT4_S3_PKS5_S9_S3_SB_S6_S9_S3_SB_S9_S3_PS5_21rocsparse_index_base_SD_SD_SD_bbb,"axG",@progbits,_ZN9rocsparseL41csrgemm_numeric_fill_block_per_row_kernelILj128ELj16ELj256ELj137ELj64EiidEEvT5_PKS1_S3_NS_24const_host_device_scalarIT6_EEPKT4_S3_PKS5_S9_S3_SB_S6_S9_S3_SB_S9_S3_PS5_21rocsparse_index_base_SD_SD_SD_bbb,comdat
	.globl	_ZN9rocsparseL41csrgemm_numeric_fill_block_per_row_kernelILj128ELj16ELj256ELj137ELj64EiidEEvT5_PKS1_S3_NS_24const_host_device_scalarIT6_EEPKT4_S3_PKS5_S9_S3_SB_S6_S9_S3_SB_S9_S3_PS5_21rocsparse_index_base_SD_SD_SD_bbb ; -- Begin function _ZN9rocsparseL41csrgemm_numeric_fill_block_per_row_kernelILj128ELj16ELj256ELj137ELj64EiidEEvT5_PKS1_S3_NS_24const_host_device_scalarIT6_EEPKT4_S3_PKS5_S9_S3_SB_S6_S9_S3_SB_S9_S3_PS5_21rocsparse_index_base_SD_SD_SD_bbb
	.p2align	8
	.type	_ZN9rocsparseL41csrgemm_numeric_fill_block_per_row_kernelILj128ELj16ELj256ELj137ELj64EiidEEvT5_PKS1_S3_NS_24const_host_device_scalarIT6_EEPKT4_S3_PKS5_S9_S3_SB_S6_S9_S3_SB_S9_S3_PS5_21rocsparse_index_base_SD_SD_SD_bbb,@function
_ZN9rocsparseL41csrgemm_numeric_fill_block_per_row_kernelILj128ELj16ELj256ELj137ELj64EiidEEvT5_PKS1_S3_NS_24const_host_device_scalarIT6_EEPKT4_S3_PKS5_S9_S3_SB_S6_S9_S3_SB_S9_S3_PS5_21rocsparse_index_base_SD_SD_SD_bbb: ; @_ZN9rocsparseL41csrgemm_numeric_fill_block_per_row_kernelILj128ELj16ELj256ELj137ELj64EiidEEvT5_PKS1_S3_NS_24const_host_device_scalarIT6_EEPKT4_S3_PKS5_S9_S3_SB_S6_S9_S3_SB_S9_S3_PS5_21rocsparse_index_base_SD_SD_SD_bbb
; %bb.0:
	s_clause 0x2
	s_load_b32 s6, s[0:1], 0x98
	s_load_b64 s[4:5], s[0:1], 0x18
	s_load_b64 s[2:3], s[0:1], 0x50
	s_waitcnt lgkmcnt(0)
	s_and_b32 s8, 1, s6
	s_bitcmp1_b32 s6, 16
	s_cselect_b32 s7, -1, 0
	s_cmp_eq_u32 s8, 1
	s_cselect_b32 s13, -1, 0
	s_delay_alu instid0(SALU_CYCLE_1)
	s_and_b32 s8, s13, exec_lo
	s_cselect_b32 s9, s5, 0
	s_cselect_b32 s8, s4, 0
	s_xor_b32 s10, s13, -1
	v_dual_mov_b32 v3, s8 :: v_dual_mov_b32 v4, s9
	s_or_b32 s10, s10, s7
	s_delay_alu instid0(SALU_CYCLE_1)
	s_and_b32 vcc_lo, exec_lo, s10
	s_cbranch_vccnz .LBB23_2
; %bb.1:
	v_dual_mov_b32 v1, s4 :: v_dual_mov_b32 v2, s5
	flat_load_b64 v[3:4], v[1:2]
.LBB23_2:
	s_load_b128 s[24:27], s[0:1], 0x88
	s_bitcmp1_b32 s6, 8
	s_cselect_b32 s33, -1, 0
	s_delay_alu instid0(SALU_CYCLE_1)
	s_and_b32 s4, s33, exec_lo
	s_cselect_b32 s5, s3, 0
	s_cselect_b32 s4, s2, 0
	s_xor_b32 s6, s33, -1
	v_dual_mov_b32 v1, s4 :: v_dual_mov_b32 v2, s5
	s_or_b32 s6, s6, s7
	s_delay_alu instid0(SALU_CYCLE_1)
	s_and_b32 vcc_lo, exec_lo, s6
	s_cbranch_vccnz .LBB23_4
; %bb.3:
	v_dual_mov_b32 v1, s2 :: v_dual_mov_b32 v2, s3
	flat_load_b64 v[1:2], v[1:2]
.LBB23_4:
	s_clause 0x5
	s_load_b64 s[2:3], s[0:1], 0x80
	s_load_b256 s[4:11], s[0:1], 0x58
	s_load_b128 s[28:31], s[0:1], 0x40
	s_load_b256 s[16:23], s[0:1], 0x20
	s_load_b128 s[36:39], s[0:1], 0x8
	s_load_b32 s14, s[0:1], 0x0
	v_cmp_gt_u32_e64 s0, 0x100, v0
	v_lshlrev_b32_e32 v17, 3, v0
	v_or_b32_e32 v15, 0xffffff80, v0
	v_lshl_add_u32 v16, v0, 2, 0
	s_delay_alu instid0(VALU_DEP_4)
	s_and_saveexec_b32 s1, s0
	s_cbranch_execz .LBB23_7
; %bb.5:
	s_waitcnt lgkmcnt(0)
	v_dual_mov_b32 v5, 0 :: v_dual_mov_b32 v10, s14
	v_add3_u32 v7, v17, 0, 0x400
	v_or_b32_e32 v8, 0xffffff80, v0
	v_lshl_add_u32 v9, v0, 2, 0
	s_delay_alu instid0(VALU_DEP_4)
	v_mov_b32_e32 v6, v5
	s_mov_b32 s12, 0
.LBB23_6:                               ; =>This Inner Loop Header: Depth=1
	s_delay_alu instid0(VALU_DEP_3) | instskip(NEXT) | instid1(VALU_DEP_1)
	v_add_co_u32 v8, s34, 0x80, v8
	s_xor_b32 s34, s34, -1
	ds_store_b32 v9, v10
	ds_store_b64 v7, v[5:6]
	v_add_nc_u32_e32 v7, 0x400, v7
	v_add_nc_u32_e32 v9, 0x200, v9
	s_and_b32 s34, exec_lo, s34
	s_delay_alu instid0(SALU_CYCLE_1) | instskip(NEXT) | instid1(SALU_CYCLE_1)
	s_or_b32 s12, s34, s12
	s_and_not1_b32 exec_lo, exec_lo, s12
	s_cbranch_execnz .LBB23_6
.LBB23_7:
	s_or_b32 exec_lo, exec_lo, s1
	s_waitcnt vmcnt(0) lgkmcnt(0)
	s_barrier
	buffer_gl0_inv
	s_load_b32 s1, s[36:37], 0x0
	s_mov_b32 s35, 0
	v_lshrrev_b32_e32 v18, 4, v0
	s_waitcnt lgkmcnt(0)
	s_add_i32 s34, s1, s15
	s_delay_alu instid0(SALU_CYCLE_1) | instskip(NEXT) | instid1(SALU_CYCLE_1)
	s_lshl_b64 s[34:35], s[34:35], 2
	s_add_u32 s34, s38, s34
	s_addc_u32 s35, s39, s35
	s_and_b32 vcc_lo, exec_lo, s13
	s_load_b32 s12, s[34:35], 0x0
	s_cbranch_vccz .LBB23_31
; %bb.8:
	s_waitcnt lgkmcnt(0)
	s_ashr_i32 s13, s12, 31
	v_subrev_nc_u32_e32 v5, s24, v18
	s_lshl_b64 s[34:35], s[12:13], 2
	s_mov_b32 s13, exec_lo
	s_add_u32 s16, s16, s34
	s_addc_u32 s17, s17, s35
	s_load_b64 s[16:17], s[16:17], 0x0
	s_waitcnt lgkmcnt(0)
	v_add_nc_u32_e32 v5, s16, v5
	s_sub_i32 s1, s17, s24
	s_delay_alu instid0(VALU_DEP_1) | instid1(SALU_CYCLE_1)
	v_cmpx_gt_i32_e64 s1, v5
	s_cbranch_execz .LBB23_30
; %bb.9:
	v_and_b32_e32 v6, 15, v0
	s_mov_b32 s15, 0
	s_delay_alu instid0(VALU_DEP_1)
	v_subrev_nc_u32_e32 v19, s25, v6
	s_branch .LBB23_11
.LBB23_10:                              ;   in Loop: Header=BB23_11 Depth=1
	s_or_b32 exec_lo, exec_lo, s16
	v_add_nc_u32_e32 v5, 8, v5
	s_delay_alu instid0(VALU_DEP_1) | instskip(SKIP_1) | instid1(SALU_CYCLE_1)
	v_cmp_le_i32_e32 vcc_lo, s1, v5
	s_or_b32 s15, vcc_lo, s15
	s_and_not1_b32 exec_lo, exec_lo, s15
	s_cbranch_execz .LBB23_30
.LBB23_11:                              ; =>This Loop Header: Depth=1
                                        ;     Child Loop BB23_14 Depth 2
                                        ;       Child Loop BB23_16 Depth 3
                                        ;         Child Loop BB23_22 Depth 4
                                        ;         Child Loop BB23_28 Depth 4
	v_ashrrev_i32_e32 v6, 31, v5
	s_mov_b32 s16, exec_lo
	s_delay_alu instid0(VALU_DEP_1) | instskip(NEXT) | instid1(VALU_DEP_1)
	v_lshlrev_b64 v[7:8], 2, v[5:6]
	v_add_co_u32 v7, vcc_lo, s18, v7
	s_delay_alu instid0(VALU_DEP_2) | instskip(SKIP_3) | instid1(VALU_DEP_1)
	v_add_co_ci_u32_e32 v8, vcc_lo, s19, v8, vcc_lo
	global_load_b32 v7, v[7:8], off
	s_waitcnt vmcnt(0)
	v_subrev_nc_u32_e32 v7, s24, v7
	v_ashrrev_i32_e32 v8, 31, v7
	s_delay_alu instid0(VALU_DEP_1) | instskip(NEXT) | instid1(VALU_DEP_1)
	v_lshlrev_b64 v[7:8], 2, v[7:8]
	v_add_co_u32 v7, vcc_lo, s22, v7
	s_delay_alu instid0(VALU_DEP_2) | instskip(SKIP_4) | instid1(VALU_DEP_1)
	v_add_co_ci_u32_e32 v8, vcc_lo, s23, v8, vcc_lo
	global_load_b64 v[7:8], v[7:8], off
	s_waitcnt vmcnt(0)
	v_subrev_nc_u32_e32 v20, s25, v8
	v_add_nc_u32_e32 v7, v7, v19
	v_cmpx_lt_i32_e64 v7, v20
	s_cbranch_execz .LBB23_10
; %bb.12:                               ;   in Loop: Header=BB23_11 Depth=1
	v_lshlrev_b64 v[8:9], 3, v[5:6]
	s_mov_b32 s17, 0
	s_delay_alu instid0(VALU_DEP_1) | instskip(NEXT) | instid1(VALU_DEP_2)
	v_add_co_u32 v8, vcc_lo, s20, v8
	v_add_co_ci_u32_e32 v9, vcc_lo, s21, v9, vcc_lo
	global_load_b64 v[8:9], v[8:9], off
	s_waitcnt vmcnt(0)
	v_mul_f64 v[9:10], v[3:4], v[8:9]
	s_branch .LBB23_14
.LBB23_13:                              ;   in Loop: Header=BB23_14 Depth=2
	s_or_b32 exec_lo, exec_lo, s34
	v_add_nc_u32_e32 v7, 16, v7
	s_delay_alu instid0(VALU_DEP_1) | instskip(SKIP_1) | instid1(SALU_CYCLE_1)
	v_cmp_ge_i32_e32 vcc_lo, v7, v20
	s_or_b32 s17, vcc_lo, s17
	s_and_not1_b32 exec_lo, exec_lo, s17
	s_cbranch_execz .LBB23_10
.LBB23_14:                              ;   Parent Loop BB23_11 Depth=1
                                        ; =>  This Loop Header: Depth=2
                                        ;       Child Loop BB23_16 Depth 3
                                        ;         Child Loop BB23_22 Depth 4
                                        ;         Child Loop BB23_28 Depth 4
	v_ashrrev_i32_e32 v8, 31, v7
	s_mov_b32 s34, 0
	s_delay_alu instid0(VALU_DEP_1) | instskip(SKIP_1) | instid1(VALU_DEP_2)
	v_lshlrev_b64 v[11:12], 3, v[7:8]
	v_lshlrev_b64 v[13:14], 2, v[7:8]
	v_add_co_u32 v11, vcc_lo, s30, v11
	s_delay_alu instid0(VALU_DEP_3) | instskip(NEXT) | instid1(VALU_DEP_3)
	v_add_co_ci_u32_e32 v12, vcc_lo, s31, v12, vcc_lo
	v_add_co_u32 v13, vcc_lo, s28, v13
	s_delay_alu instid0(VALU_DEP_4)
	v_add_co_ci_u32_e32 v14, vcc_lo, s29, v14, vcc_lo
	global_load_b64 v[11:12], v[11:12], off
	global_load_b32 v6, v[13:14], off
	s_waitcnt vmcnt(1)
	v_mul_f64 v[11:12], v[9:10], v[11:12]
	s_waitcnt vmcnt(0)
	v_subrev_nc_u32_e32 v6, s25, v6
	s_delay_alu instid0(VALU_DEP_1) | instskip(NEXT) | instid1(VALU_DEP_1)
	v_mul_lo_u32 v8, 0x89, v6
	v_and_b32_e32 v8, 0xff, v8
	s_branch .LBB23_16
.LBB23_15:                              ;   in Loop: Header=BB23_16 Depth=3
	s_or_b32 exec_lo, exec_lo, s35
	s_xor_b32 s35, s36, -1
	s_delay_alu instid0(SALU_CYCLE_1) | instskip(NEXT) | instid1(SALU_CYCLE_1)
	s_and_b32 s35, exec_lo, s35
	s_or_b32 s34, s35, s34
	s_delay_alu instid0(SALU_CYCLE_1)
	s_and_not1_b32 exec_lo, exec_lo, s34
	s_cbranch_execz .LBB23_13
.LBB23_16:                              ;   Parent Loop BB23_11 Depth=1
                                        ;     Parent Loop BB23_14 Depth=2
                                        ; =>    This Loop Header: Depth=3
                                        ;         Child Loop BB23_22 Depth 4
                                        ;         Child Loop BB23_28 Depth 4
	s_delay_alu instid0(VALU_DEP_1)
	v_lshl_add_u32 v13, v8, 2, 0
	s_mov_b32 s35, exec_lo
                                        ; implicit-def: $sgpr36
	ds_load_b32 v14, v13
	s_waitcnt lgkmcnt(0)
	v_cmpx_ne_u32_e64 v14, v6
	s_xor_b32 s35, exec_lo, s35
	s_cbranch_execz .LBB23_26
; %bb.17:                               ;   in Loop: Header=BB23_16 Depth=3
	s_mov_b32 s37, exec_lo
                                        ; implicit-def: $sgpr36
	v_cmpx_ne_u32_e64 s14, v14
	s_xor_b32 s37, exec_lo, s37
; %bb.18:                               ;   in Loop: Header=BB23_16 Depth=3
	v_add_nc_u32_e32 v8, 1, v8
	s_mov_b32 s36, -1
                                        ; implicit-def: $vgpr13
	s_delay_alu instid0(VALU_DEP_1)
	v_and_b32_e32 v8, 0xff, v8
; %bb.19:                               ;   in Loop: Header=BB23_16 Depth=3
	s_and_not1_saveexec_b32 s37, s37
	s_cbranch_execz .LBB23_25
; %bb.20:                               ;   in Loop: Header=BB23_16 Depth=3
	v_mov_b32_e32 v14, s14
	s_mov_b32 s39, -1
	s_mov_b32 s38, exec_lo
	ds_cmpstore_rtn_b32 v14, v13, v6, v14
	s_waitcnt lgkmcnt(0)
	v_cmpx_eq_u32_e64 s14, v14
	s_cbranch_execz .LBB23_24
; %bb.21:                               ;   in Loop: Header=BB23_16 Depth=3
	v_lshlrev_b32_e32 v14, 2, v8
	s_mov_b32 s39, 0
	s_delay_alu instid0(VALU_DEP_1)
	v_add_nc_u32_e32 v21, v13, v14
	ds_load_b64 v[13:14], v21 offset:1024
.LBB23_22:                              ;   Parent Loop BB23_11 Depth=1
                                        ;     Parent Loop BB23_14 Depth=2
                                        ;       Parent Loop BB23_16 Depth=3
                                        ; =>      This Inner Loop Header: Depth=4
	s_waitcnt lgkmcnt(0)
	v_add_f64 v[22:23], v[13:14], v[11:12]
	ds_cmpstore_rtn_b64 v[22:23], v21, v[22:23], v[13:14] offset:1024
	s_waitcnt lgkmcnt(0)
	v_cmp_eq_u64_e32 vcc_lo, v[22:23], v[13:14]
	v_dual_mov_b32 v13, v22 :: v_dual_mov_b32 v14, v23
	s_or_b32 s39, vcc_lo, s39
	s_delay_alu instid0(SALU_CYCLE_1)
	s_and_not1_b32 exec_lo, exec_lo, s39
	s_cbranch_execnz .LBB23_22
; %bb.23:                               ;   in Loop: Header=BB23_16 Depth=3
	s_or_b32 exec_lo, exec_lo, s39
	s_delay_alu instid0(SALU_CYCLE_1)
	s_xor_b32 s39, exec_lo, -1
.LBB23_24:                              ;   in Loop: Header=BB23_16 Depth=3
	s_or_b32 exec_lo, exec_lo, s38
	s_delay_alu instid0(SALU_CYCLE_1) | instskip(SKIP_1) | instid1(SALU_CYCLE_1)
	s_and_not1_b32 s36, s36, exec_lo
	s_and_b32 s38, s39, exec_lo
	s_or_b32 s36, s36, s38
.LBB23_25:                              ;   in Loop: Header=BB23_16 Depth=3
	s_or_b32 exec_lo, exec_lo, s37
	s_delay_alu instid0(SALU_CYCLE_1)
	s_and_b32 s36, s36, exec_lo
                                        ; implicit-def: $vgpr13
.LBB23_26:                              ;   in Loop: Header=BB23_16 Depth=3
	s_and_not1_saveexec_b32 s35, s35
	s_cbranch_execz .LBB23_15
; %bb.27:                               ;   in Loop: Header=BB23_16 Depth=3
	v_lshlrev_b32_e32 v14, 2, v8
	s_mov_b32 s37, 0
	s_delay_alu instid0(VALU_DEP_1)
	v_add_nc_u32_e32 v21, v13, v14
	ds_load_b64 v[13:14], v21 offset:1024
.LBB23_28:                              ;   Parent Loop BB23_11 Depth=1
                                        ;     Parent Loop BB23_14 Depth=2
                                        ;       Parent Loop BB23_16 Depth=3
                                        ; =>      This Inner Loop Header: Depth=4
	s_waitcnt lgkmcnt(0)
	v_add_f64 v[22:23], v[13:14], v[11:12]
	ds_cmpstore_rtn_b64 v[22:23], v21, v[22:23], v[13:14] offset:1024
	s_waitcnt lgkmcnt(0)
	v_cmp_eq_u64_e32 vcc_lo, v[22:23], v[13:14]
	v_dual_mov_b32 v13, v22 :: v_dual_mov_b32 v14, v23
	s_or_b32 s37, vcc_lo, s37
	s_delay_alu instid0(SALU_CYCLE_1)
	s_and_not1_b32 exec_lo, exec_lo, s37
	s_cbranch_execnz .LBB23_28
; %bb.29:                               ;   in Loop: Header=BB23_16 Depth=3
	s_or_b32 exec_lo, exec_lo, s37
	s_delay_alu instid0(SALU_CYCLE_1)
	s_and_not1_b32 s36, s36, exec_lo
	s_branch .LBB23_15
.LBB23_30:
	s_or_b32 exec_lo, exec_lo, s13
.LBB23_31:
	s_delay_alu instid0(SALU_CYCLE_1)
	s_and_not1_b32 vcc_lo, exec_lo, s33
	s_cbranch_vccnz .LBB23_52
; %bb.32:
	s_waitcnt lgkmcnt(0)
	s_ashr_i32 s13, s12, 31
	v_subrev_nc_u32_e32 v3, s27, v0
	s_lshl_b64 s[16:17], s[12:13], 2
	s_delay_alu instid0(SALU_CYCLE_1)
	s_add_u32 s4, s4, s16
	s_addc_u32 s5, s5, s17
	s_load_b64 s[4:5], s[4:5], 0x0
	s_waitcnt lgkmcnt(0)
	v_add_nc_u32_e32 v3, s4, v3
	s_sub_i32 s1, s5, s27
	s_mov_b32 s4, exec_lo
	s_delay_alu instid0(VALU_DEP_1)
	v_cmpx_gt_i32_e64 s1, v3
	s_cbranch_execz .LBB23_51
; %bb.33:
	s_mov_b32 s5, 0
	s_branch .LBB23_35
.LBB23_34:                              ;   in Loop: Header=BB23_35 Depth=1
	s_or_b32 exec_lo, exec_lo, s13
	v_add_nc_u32_e32 v3, 0x80, v3
	s_delay_alu instid0(VALU_DEP_1) | instskip(SKIP_1) | instid1(SALU_CYCLE_1)
	v_cmp_le_i32_e32 vcc_lo, s1, v3
	s_or_b32 s5, vcc_lo, s5
	s_and_not1_b32 exec_lo, exec_lo, s5
	s_cbranch_execz .LBB23_51
.LBB23_35:                              ; =>This Loop Header: Depth=1
                                        ;     Child Loop BB23_37 Depth 2
                                        ;       Child Loop BB23_43 Depth 3
                                        ;       Child Loop BB23_49 Depth 3
	v_ashrrev_i32_e32 v4, 31, v3
	s_mov_b32 s13, 0
	s_delay_alu instid0(VALU_DEP_1) | instskip(SKIP_1) | instid1(VALU_DEP_2)
	v_lshlrev_b64 v[5:6], 3, v[3:4]
	v_lshlrev_b64 v[7:8], 2, v[3:4]
	v_add_co_u32 v5, vcc_lo, s8, v5
	s_delay_alu instid0(VALU_DEP_3) | instskip(NEXT) | instid1(VALU_DEP_3)
	v_add_co_ci_u32_e32 v6, vcc_lo, s9, v6, vcc_lo
	v_add_co_u32 v7, vcc_lo, s6, v7
	s_delay_alu instid0(VALU_DEP_4)
	v_add_co_ci_u32_e32 v8, vcc_lo, s7, v8, vcc_lo
	global_load_b64 v[5:6], v[5:6], off
	global_load_b32 v7, v[7:8], off
	s_waitcnt vmcnt(1)
	v_mul_f64 v[4:5], v[1:2], v[5:6]
	s_waitcnt vmcnt(0)
	v_subrev_nc_u32_e32 v8, s27, v7
	s_delay_alu instid0(VALU_DEP_1) | instskip(NEXT) | instid1(VALU_DEP_1)
	v_mul_lo_u32 v6, 0x89, v8
	v_and_b32_e32 v9, 0xff, v6
	s_branch .LBB23_37
.LBB23_36:                              ;   in Loop: Header=BB23_37 Depth=2
	s_or_b32 exec_lo, exec_lo, s15
	s_xor_b32 s15, s16, -1
	s_delay_alu instid0(SALU_CYCLE_1) | instskip(NEXT) | instid1(SALU_CYCLE_1)
	s_and_b32 s15, exec_lo, s15
	s_or_b32 s13, s15, s13
	s_delay_alu instid0(SALU_CYCLE_1)
	s_and_not1_b32 exec_lo, exec_lo, s13
	s_cbranch_execz .LBB23_34
.LBB23_37:                              ;   Parent Loop BB23_35 Depth=1
                                        ; =>  This Loop Header: Depth=2
                                        ;       Child Loop BB23_43 Depth 3
                                        ;       Child Loop BB23_49 Depth 3
	s_delay_alu instid0(VALU_DEP_1)
	v_lshl_add_u32 v6, v9, 2, 0
	s_mov_b32 s15, exec_lo
                                        ; implicit-def: $sgpr16
	ds_load_b32 v7, v6
	s_waitcnt lgkmcnt(0)
	v_cmpx_ne_u32_e64 v7, v8
	s_xor_b32 s15, exec_lo, s15
	s_cbranch_execz .LBB23_47
; %bb.38:                               ;   in Loop: Header=BB23_37 Depth=2
	s_mov_b32 s17, exec_lo
                                        ; implicit-def: $sgpr16
	v_cmpx_ne_u32_e64 s14, v7
	s_xor_b32 s17, exec_lo, s17
; %bb.39:                               ;   in Loop: Header=BB23_37 Depth=2
	v_add_nc_u32_e32 v6, 1, v9
	s_mov_b32 s16, -1
	s_delay_alu instid0(VALU_DEP_1)
	v_and_b32_e32 v9, 0xff, v6
                                        ; implicit-def: $vgpr6
; %bb.40:                               ;   in Loop: Header=BB23_37 Depth=2
	s_and_not1_saveexec_b32 s17, s17
	s_cbranch_execz .LBB23_46
; %bb.41:                               ;   in Loop: Header=BB23_37 Depth=2
	v_mov_b32_e32 v7, s14
	s_mov_b32 s19, -1
	s_mov_b32 s18, exec_lo
	ds_cmpstore_rtn_b32 v7, v6, v8, v7
	s_waitcnt lgkmcnt(0)
	v_cmpx_eq_u32_e64 s14, v7
	s_cbranch_execz .LBB23_45
; %bb.42:                               ;   in Loop: Header=BB23_37 Depth=2
	v_lshlrev_b32_e32 v7, 2, v9
	s_mov_b32 s19, 0
	s_delay_alu instid0(VALU_DEP_1)
	v_add_nc_u32_e32 v10, v6, v7
	ds_load_b64 v[6:7], v10 offset:1024
.LBB23_43:                              ;   Parent Loop BB23_35 Depth=1
                                        ;     Parent Loop BB23_37 Depth=2
                                        ; =>    This Inner Loop Header: Depth=3
	s_waitcnt lgkmcnt(0)
	v_add_f64 v[11:12], v[6:7], v[4:5]
	ds_cmpstore_rtn_b64 v[11:12], v10, v[11:12], v[6:7] offset:1024
	s_waitcnt lgkmcnt(0)
	v_cmp_eq_u64_e32 vcc_lo, v[11:12], v[6:7]
	v_dual_mov_b32 v6, v11 :: v_dual_mov_b32 v7, v12
	s_or_b32 s19, vcc_lo, s19
	s_delay_alu instid0(SALU_CYCLE_1)
	s_and_not1_b32 exec_lo, exec_lo, s19
	s_cbranch_execnz .LBB23_43
; %bb.44:                               ;   in Loop: Header=BB23_37 Depth=2
	s_or_b32 exec_lo, exec_lo, s19
	s_delay_alu instid0(SALU_CYCLE_1)
	s_xor_b32 s19, exec_lo, -1
.LBB23_45:                              ;   in Loop: Header=BB23_37 Depth=2
	s_or_b32 exec_lo, exec_lo, s18
	s_delay_alu instid0(SALU_CYCLE_1) | instskip(SKIP_1) | instid1(SALU_CYCLE_1)
	s_and_not1_b32 s16, s16, exec_lo
	s_and_b32 s18, s19, exec_lo
	s_or_b32 s16, s16, s18
.LBB23_46:                              ;   in Loop: Header=BB23_37 Depth=2
	s_or_b32 exec_lo, exec_lo, s17
	s_delay_alu instid0(SALU_CYCLE_1)
	s_and_b32 s16, s16, exec_lo
                                        ; implicit-def: $vgpr6
.LBB23_47:                              ;   in Loop: Header=BB23_37 Depth=2
	s_and_not1_saveexec_b32 s15, s15
	s_cbranch_execz .LBB23_36
; %bb.48:                               ;   in Loop: Header=BB23_37 Depth=2
	v_lshlrev_b32_e32 v7, 2, v9
	s_mov_b32 s17, 0
	s_delay_alu instid0(VALU_DEP_1)
	v_add_nc_u32_e32 v10, v6, v7
	ds_load_b64 v[6:7], v10 offset:1024
.LBB23_49:                              ;   Parent Loop BB23_35 Depth=1
                                        ;     Parent Loop BB23_37 Depth=2
                                        ; =>    This Inner Loop Header: Depth=3
	s_waitcnt lgkmcnt(0)
	v_add_f64 v[11:12], v[6:7], v[4:5]
	ds_cmpstore_rtn_b64 v[11:12], v10, v[11:12], v[6:7] offset:1024
	s_waitcnt lgkmcnt(0)
	v_cmp_eq_u64_e32 vcc_lo, v[11:12], v[6:7]
	v_dual_mov_b32 v6, v11 :: v_dual_mov_b32 v7, v12
	s_or_b32 s17, vcc_lo, s17
	s_delay_alu instid0(SALU_CYCLE_1)
	s_and_not1_b32 exec_lo, exec_lo, s17
	s_cbranch_execnz .LBB23_49
; %bb.50:                               ;   in Loop: Header=BB23_37 Depth=2
	s_or_b32 exec_lo, exec_lo, s17
	s_delay_alu instid0(SALU_CYCLE_1)
	s_and_not1_b32 s16, s16, exec_lo
	s_branch .LBB23_36
.LBB23_51:
	s_or_b32 exec_lo, exec_lo, s4
.LBB23_52:
	s_waitcnt lgkmcnt(0)
	s_barrier
	buffer_gl0_inv
	s_and_saveexec_b32 s4, s0
	s_cbranch_execz .LBB23_61
; %bb.53:
	v_mbcnt_lo_u32_b32 v1, -1, 0
	v_dual_mov_b32 v7, 0 :: v_dual_and_b32 v2, 4, v18
	v_cmp_lt_u32_e32 vcc_lo, 63, v0
	v_cmp_eq_u32_e64 s0, 0x7f, v0
	s_delay_alu instid0(VALU_DEP_4) | instskip(NEXT) | instid1(VALU_DEP_4)
	v_xor_b32_e32 v1, 63, v1
	v_dual_mov_b32 v6, 0 :: v_dual_add_nc_u32 v5, 0, v2
	v_add3_u32 v4, v17, 0, 0x400
	s_mov_b32 s5, 0
	s_delay_alu instid0(VALU_DEP_3)
	v_lshrrev_b64 v[1:2], v1, -1
	s_branch .LBB23_55
.LBB23_54:                              ;   in Loop: Header=BB23_55 Depth=1
	s_or_b32 exec_lo, exec_lo, s1
	s_waitcnt lgkmcnt(0)
	s_barrier
	buffer_gl0_inv
	ds_load_b32 v2, v6 offset:3076
	v_add_co_u32 v15, s1, 0x80, v15
	s_delay_alu instid0(VALU_DEP_1) | instskip(SKIP_3) | instid1(SALU_CYCLE_1)
	s_xor_b32 s1, s1, -1
	v_add_nc_u32_e32 v4, 0x400, v4
	v_add_nc_u32_e32 v16, 0x200, v16
	s_and_b32 s1, exec_lo, s1
	s_or_b32 s5, s1, s5
	s_waitcnt lgkmcnt(0)
	v_add_nc_u32_e32 v7, v2, v7
	s_and_not1_b32 exec_lo, exec_lo, s5
	s_cbranch_execz .LBB23_61
.LBB23_55:                              ; =>This Inner Loop Header: Depth=1
	ds_load_b32 v8, v16
	ds_load_b64 v[2:3], v4
	s_waitcnt lgkmcnt(0)
	s_barrier
	buffer_gl0_inv
	v_cmp_gt_i32_e64 s1, s14, v8
	s_delay_alu instid0(VALU_DEP_1) | instskip(NEXT) | instid1(SALU_CYCLE_1)
	s_bcnt1_i32_b32 s6, s1
	v_dual_mov_b32 v10, s6 :: v_dual_and_b32 v9, s1, v1
	s_delay_alu instid0(VALU_DEP_1)
	v_bcnt_u32_b32 v9, v9, 0
	ds_store_b32 v5, v10 offset:3072
	s_waitcnt lgkmcnt(0)
	s_barrier
	buffer_gl0_inv
	s_and_saveexec_b32 s6, vcc_lo
	s_cbranch_execnz .LBB23_58
; %bb.56:                               ;   in Loop: Header=BB23_55 Depth=1
	s_or_b32 exec_lo, exec_lo, s6
	s_and_saveexec_b32 s6, s1
	s_cbranch_execnz .LBB23_59
.LBB23_57:                              ;   in Loop: Header=BB23_55 Depth=1
	s_or_b32 exec_lo, exec_lo, s6
	s_and_saveexec_b32 s1, s0
	s_cbranch_execz .LBB23_54
	s_branch .LBB23_60
.LBB23_58:                              ;   in Loop: Header=BB23_55 Depth=1
	ds_load_b32 v10, v6 offset:3072
	s_waitcnt lgkmcnt(0)
	v_add_nc_u32_e32 v9, v10, v9
	s_or_b32 exec_lo, exec_lo, s6
	s_and_saveexec_b32 s6, s1
	s_cbranch_execz .LBB23_57
.LBB23_59:                              ;   in Loop: Header=BB23_55 Depth=1
	s_delay_alu instid0(VALU_DEP_1) | instskip(NEXT) | instid1(VALU_DEP_1)
	v_add3_u32 v10, v7, -1, v9
	v_lshl_add_u32 v11, v10, 2, 0
	v_lshl_add_u32 v10, v10, 3, 0
	ds_store_b32 v11, v8
	ds_store_b64 v10, v[2:3] offset:1024
	s_or_b32 exec_lo, exec_lo, s6
	s_and_saveexec_b32 s1, s0
	s_cbranch_execz .LBB23_54
.LBB23_60:                              ;   in Loop: Header=BB23_55 Depth=1
	ds_store_b32 v6, v9 offset:3076
	s_branch .LBB23_54
.LBB23_61:
	s_or_b32 exec_lo, exec_lo, s4
	s_ashr_i32 s13, s12, 31
	s_mov_b32 s5, exec_lo
	s_lshl_b64 s[0:1], s[12:13], 2
	s_delay_alu instid0(SALU_CYCLE_1) | instskip(SKIP_4) | instid1(SALU_CYCLE_1)
	s_add_u32 s0, s10, s0
	s_addc_u32 s1, s11, s1
	s_load_b64 s[0:1], s[0:1], 0x0
	s_waitcnt lgkmcnt(0)
	s_sub_i32 s4, s1, s0
	v_cmpx_gt_i32_e64 s4, v0
	s_cbranch_execz .LBB23_71
; %bb.62:
	s_sub_i32 s5, s0, s26
	s_sub_i32 s0, s0, s1
	s_and_b32 s1, s4, 7
	s_cmp_lt_u32 s0, -7
	s_mov_b32 s9, 0
	s_cselect_b32 s6, -1, 0
	s_and_b32 s7, s4, -8
	s_cmp_lg_u32 s1, 0
	s_cselect_b32 s8, -1, 0
	s_branch .LBB23_64
.LBB23_63:                              ;   in Loop: Header=BB23_64 Depth=1
	s_waitcnt lgkmcnt(1)
	s_delay_alu instid0(VALU_DEP_1) | instskip(SKIP_1) | instid1(VALU_DEP_2)
	v_ashrrev_i32_e32 v4, 31, v3
	v_add_nc_u32_e32 v0, 0x80, v0
	v_lshlrev_b64 v[3:4], 3, v[3:4]
	s_delay_alu instid0(VALU_DEP_2) | instskip(SKIP_1) | instid1(VALU_DEP_2)
	v_cmp_le_i32_e32 vcc_lo, s4, v0
	s_or_b32 s9, vcc_lo, s9
	v_add_co_u32 v3, s0, s2, v3
	s_delay_alu instid0(VALU_DEP_1)
	v_add_co_ci_u32_e64 v4, s0, s3, v4, s0
	s_waitcnt lgkmcnt(0)
	global_store_b64 v[3:4], v[1:2], off
	s_and_not1_b32 exec_lo, exec_lo, s9
	s_cbranch_execz .LBB23_71
.LBB23_64:                              ; =>This Loop Header: Depth=1
                                        ;     Child Loop BB23_66 Depth 2
                                        ;     Child Loop BB23_70 Depth 2
	v_lshlrev_b32_e32 v1, 2, v0
	s_and_not1_b32 vcc_lo, exec_lo, s6
	s_mov_b32 s0, 0
	s_delay_alu instid0(VALU_DEP_1) | instskip(NEXT) | instid1(VALU_DEP_1)
	v_dual_mov_b32 v3, s5 :: v_dual_add_nc_u32 v2, 0, v1
	v_add_nc_u32_e32 v1, v2, v1
	ds_load_b32 v4, v2
	ds_load_b64 v[1:2], v1 offset:1024
	s_cbranch_vccnz .LBB23_68
; %bb.65:                               ;   in Loop: Header=BB23_64 Depth=1
	v_mov_b32_e32 v3, s5
	s_mov_b32 s10, 0
	s_set_inst_prefetch_distance 0x1
	.p2align	6
.LBB23_66:                              ;   Parent Loop BB23_64 Depth=1
                                        ; =>  This Inner Loop Header: Depth=2
	v_mov_b32_e32 v11, s10
	s_add_i32 s0, s0, 8
	s_add_i32 s10, s10, 32
	s_cmp_eq_u32 s7, s0
	ds_load_2addr_b32 v[5:6], v11 offset1:1
	ds_load_2addr_b32 v[7:8], v11 offset0:2 offset1:3
	ds_load_2addr_b32 v[9:10], v11 offset0:4 offset1:5
	ds_load_2addr_b32 v[11:12], v11 offset0:6 offset1:7
	s_waitcnt lgkmcnt(3)
	v_cmp_gt_i32_e32 vcc_lo, v4, v5
	v_cndmask_b32_e64 v5, 0, 1, vcc_lo
	s_waitcnt lgkmcnt(2)
	v_cmp_gt_i32_e32 vcc_lo, v4, v7
	v_cndmask_b32_e64 v7, 0, 1, vcc_lo
	v_cmp_gt_i32_e32 vcc_lo, v4, v6
	v_add_co_ci_u32_e32 v3, vcc_lo, v3, v5, vcc_lo
	s_waitcnt lgkmcnt(1)
	v_cmp_gt_i32_e32 vcc_lo, v4, v9
	v_cndmask_b32_e64 v5, 0, 1, vcc_lo
	v_cmp_gt_i32_e32 vcc_lo, v4, v8
	v_add_co_ci_u32_e32 v3, vcc_lo, v3, v7, vcc_lo
	;; [unrolled: 5-line block ×3, first 2 shown]
	v_cmp_gt_i32_e32 vcc_lo, v4, v12
	s_delay_alu instid0(VALU_DEP_2)
	v_add_co_ci_u32_e32 v3, vcc_lo, v3, v6, vcc_lo
	s_cbranch_scc0 .LBB23_66
; %bb.67:                               ;   in Loop: Header=BB23_64 Depth=1
	s_set_inst_prefetch_distance 0x2
	s_mov_b32 s0, s7
.LBB23_68:                              ;   in Loop: Header=BB23_64 Depth=1
	s_and_not1_b32 vcc_lo, exec_lo, s8
	s_cbranch_vccnz .LBB23_63
; %bb.69:                               ;   in Loop: Header=BB23_64 Depth=1
	s_lshl_b32 s0, s0, 2
	s_mov_b32 s10, s1
	s_add_i32 s0, s0, 0
.LBB23_70:                              ;   Parent Loop BB23_64 Depth=1
                                        ; =>  This Inner Loop Header: Depth=2
	s_delay_alu instid0(SALU_CYCLE_1)
	v_mov_b32_e32 v5, s0
	s_add_i32 s10, s10, -1
	s_add_i32 s0, s0, 4
	s_cmp_lg_u32 s10, 0
	ds_load_b32 v5, v5
	s_waitcnt lgkmcnt(0)
	v_cmp_gt_i32_e32 vcc_lo, v4, v5
	v_add_co_ci_u32_e32 v3, vcc_lo, 0, v3, vcc_lo
	s_cbranch_scc1 .LBB23_70
	s_branch .LBB23_63
.LBB23_71:
	s_nop 0
	s_sendmsg sendmsg(MSG_DEALLOC_VGPRS)
	s_endpgm
	.section	.rodata,"a",@progbits
	.p2align	6, 0x0
	.amdhsa_kernel _ZN9rocsparseL41csrgemm_numeric_fill_block_per_row_kernelILj128ELj16ELj256ELj137ELj64EiidEEvT5_PKS1_S3_NS_24const_host_device_scalarIT6_EEPKT4_S3_PKS5_S9_S3_SB_S6_S9_S3_SB_S9_S3_PS5_21rocsparse_index_base_SD_SD_SD_bbb
		.amdhsa_group_segment_fixed_size 0
		.amdhsa_private_segment_fixed_size 0
		.amdhsa_kernarg_size 156
		.amdhsa_user_sgpr_count 15
		.amdhsa_user_sgpr_dispatch_ptr 0
		.amdhsa_user_sgpr_queue_ptr 0
		.amdhsa_user_sgpr_kernarg_segment_ptr 1
		.amdhsa_user_sgpr_dispatch_id 0
		.amdhsa_user_sgpr_private_segment_size 0
		.amdhsa_wavefront_size32 1
		.amdhsa_uses_dynamic_stack 0
		.amdhsa_enable_private_segment 0
		.amdhsa_system_sgpr_workgroup_id_x 1
		.amdhsa_system_sgpr_workgroup_id_y 0
		.amdhsa_system_sgpr_workgroup_id_z 0
		.amdhsa_system_sgpr_workgroup_info 0
		.amdhsa_system_vgpr_workitem_id 0
		.amdhsa_next_free_vgpr 24
		.amdhsa_next_free_sgpr 40
		.amdhsa_reserve_vcc 1
		.amdhsa_float_round_mode_32 0
		.amdhsa_float_round_mode_16_64 0
		.amdhsa_float_denorm_mode_32 3
		.amdhsa_float_denorm_mode_16_64 3
		.amdhsa_dx10_clamp 1
		.amdhsa_ieee_mode 1
		.amdhsa_fp16_overflow 0
		.amdhsa_workgroup_processor_mode 1
		.amdhsa_memory_ordered 1
		.amdhsa_forward_progress 0
		.amdhsa_shared_vgpr_count 0
		.amdhsa_exception_fp_ieee_invalid_op 0
		.amdhsa_exception_fp_denorm_src 0
		.amdhsa_exception_fp_ieee_div_zero 0
		.amdhsa_exception_fp_ieee_overflow 0
		.amdhsa_exception_fp_ieee_underflow 0
		.amdhsa_exception_fp_ieee_inexact 0
		.amdhsa_exception_int_div_zero 0
	.end_amdhsa_kernel
	.section	.text._ZN9rocsparseL41csrgemm_numeric_fill_block_per_row_kernelILj128ELj16ELj256ELj137ELj64EiidEEvT5_PKS1_S3_NS_24const_host_device_scalarIT6_EEPKT4_S3_PKS5_S9_S3_SB_S6_S9_S3_SB_S9_S3_PS5_21rocsparse_index_base_SD_SD_SD_bbb,"axG",@progbits,_ZN9rocsparseL41csrgemm_numeric_fill_block_per_row_kernelILj128ELj16ELj256ELj137ELj64EiidEEvT5_PKS1_S3_NS_24const_host_device_scalarIT6_EEPKT4_S3_PKS5_S9_S3_SB_S6_S9_S3_SB_S9_S3_PS5_21rocsparse_index_base_SD_SD_SD_bbb,comdat
.Lfunc_end23:
	.size	_ZN9rocsparseL41csrgemm_numeric_fill_block_per_row_kernelILj128ELj16ELj256ELj137ELj64EiidEEvT5_PKS1_S3_NS_24const_host_device_scalarIT6_EEPKT4_S3_PKS5_S9_S3_SB_S6_S9_S3_SB_S9_S3_PS5_21rocsparse_index_base_SD_SD_SD_bbb, .Lfunc_end23-_ZN9rocsparseL41csrgemm_numeric_fill_block_per_row_kernelILj128ELj16ELj256ELj137ELj64EiidEEvT5_PKS1_S3_NS_24const_host_device_scalarIT6_EEPKT4_S3_PKS5_S9_S3_SB_S6_S9_S3_SB_S9_S3_PS5_21rocsparse_index_base_SD_SD_SD_bbb
                                        ; -- End function
	.section	.AMDGPU.csdata,"",@progbits
; Kernel info:
; codeLenInByte = 2812
; NumSgprs: 42
; NumVgprs: 24
; ScratchSize: 0
; MemoryBound: 0
; FloatMode: 240
; IeeeMode: 1
; LDSByteSize: 0 bytes/workgroup (compile time only)
; SGPRBlocks: 5
; VGPRBlocks: 2
; NumSGPRsForWavesPerEU: 42
; NumVGPRsForWavesPerEU: 24
; Occupancy: 16
; WaveLimiterHint : 1
; COMPUTE_PGM_RSRC2:SCRATCH_EN: 0
; COMPUTE_PGM_RSRC2:USER_SGPR: 15
; COMPUTE_PGM_RSRC2:TRAP_HANDLER: 0
; COMPUTE_PGM_RSRC2:TGID_X_EN: 1
; COMPUTE_PGM_RSRC2:TGID_Y_EN: 0
; COMPUTE_PGM_RSRC2:TGID_Z_EN: 0
; COMPUTE_PGM_RSRC2:TIDIG_COMP_CNT: 0
	.section	.text._ZN9rocsparseL41csrgemm_numeric_fill_block_per_row_kernelILj256ELj32ELj512ELj137ELj32EiidEEvT5_PKS1_S3_NS_24const_host_device_scalarIT6_EEPKT4_S3_PKS5_S9_S3_SB_S6_S9_S3_SB_S9_S3_PS5_21rocsparse_index_base_SD_SD_SD_bbb,"axG",@progbits,_ZN9rocsparseL41csrgemm_numeric_fill_block_per_row_kernelILj256ELj32ELj512ELj137ELj32EiidEEvT5_PKS1_S3_NS_24const_host_device_scalarIT6_EEPKT4_S3_PKS5_S9_S3_SB_S6_S9_S3_SB_S9_S3_PS5_21rocsparse_index_base_SD_SD_SD_bbb,comdat
	.globl	_ZN9rocsparseL41csrgemm_numeric_fill_block_per_row_kernelILj256ELj32ELj512ELj137ELj32EiidEEvT5_PKS1_S3_NS_24const_host_device_scalarIT6_EEPKT4_S3_PKS5_S9_S3_SB_S6_S9_S3_SB_S9_S3_PS5_21rocsparse_index_base_SD_SD_SD_bbb ; -- Begin function _ZN9rocsparseL41csrgemm_numeric_fill_block_per_row_kernelILj256ELj32ELj512ELj137ELj32EiidEEvT5_PKS1_S3_NS_24const_host_device_scalarIT6_EEPKT4_S3_PKS5_S9_S3_SB_S6_S9_S3_SB_S9_S3_PS5_21rocsparse_index_base_SD_SD_SD_bbb
	.p2align	8
	.type	_ZN9rocsparseL41csrgemm_numeric_fill_block_per_row_kernelILj256ELj32ELj512ELj137ELj32EiidEEvT5_PKS1_S3_NS_24const_host_device_scalarIT6_EEPKT4_S3_PKS5_S9_S3_SB_S6_S9_S3_SB_S9_S3_PS5_21rocsparse_index_base_SD_SD_SD_bbb,@function
_ZN9rocsparseL41csrgemm_numeric_fill_block_per_row_kernelILj256ELj32ELj512ELj137ELj32EiidEEvT5_PKS1_S3_NS_24const_host_device_scalarIT6_EEPKT4_S3_PKS5_S9_S3_SB_S6_S9_S3_SB_S9_S3_PS5_21rocsparse_index_base_SD_SD_SD_bbb: ; @_ZN9rocsparseL41csrgemm_numeric_fill_block_per_row_kernelILj256ELj32ELj512ELj137ELj32EiidEEvT5_PKS1_S3_NS_24const_host_device_scalarIT6_EEPKT4_S3_PKS5_S9_S3_SB_S6_S9_S3_SB_S9_S3_PS5_21rocsparse_index_base_SD_SD_SD_bbb
; %bb.0:
	s_clause 0x2
	s_load_b32 s6, s[0:1], 0x98
	s_load_b64 s[4:5], s[0:1], 0x18
	s_load_b64 s[2:3], s[0:1], 0x50
	s_waitcnt lgkmcnt(0)
	s_and_b32 s8, 1, s6
	s_bitcmp1_b32 s6, 16
	s_cselect_b32 s7, -1, 0
	s_cmp_eq_u32 s8, 1
	s_cselect_b32 s35, -1, 0
	s_delay_alu instid0(SALU_CYCLE_1)
	s_and_b32 s8, s35, exec_lo
	s_cselect_b32 s9, s5, 0
	s_cselect_b32 s8, s4, 0
	s_xor_b32 s10, s35, -1
	v_dual_mov_b32 v3, s8 :: v_dual_mov_b32 v4, s9
	s_or_b32 s10, s10, s7
	s_delay_alu instid0(SALU_CYCLE_1)
	s_and_b32 vcc_lo, exec_lo, s10
	s_cbranch_vccnz .LBB24_2
; %bb.1:
	v_dual_mov_b32 v1, s4 :: v_dual_mov_b32 v2, s5
	flat_load_b64 v[3:4], v[1:2]
.LBB24_2:
	s_load_b128 s[24:27], s[0:1], 0x88
	s_bitcmp1_b32 s6, 8
	s_cselect_b32 s34, -1, 0
	s_delay_alu instid0(SALU_CYCLE_1)
	s_and_b32 s4, s34, exec_lo
	s_cselect_b32 s5, s3, 0
	s_cselect_b32 s4, s2, 0
	s_xor_b32 s6, s34, -1
	v_dual_mov_b32 v1, s4 :: v_dual_mov_b32 v2, s5
	s_or_b32 s6, s6, s7
	s_delay_alu instid0(SALU_CYCLE_1)
	s_and_b32 vcc_lo, exec_lo, s6
	s_cbranch_vccnz .LBB24_4
; %bb.3:
	v_dual_mov_b32 v1, s2 :: v_dual_mov_b32 v2, s3
	flat_load_b64 v[1:2], v[1:2]
.LBB24_4:
	s_clause 0x5
	s_load_b64 s[12:13], s[0:1], 0x80
	s_load_b256 s[4:11], s[0:1], 0x58
	s_load_b128 s[28:31], s[0:1], 0x40
	s_load_b256 s[16:23], s[0:1], 0x20
	s_load_b128 s[36:39], s[0:1], 0x8
	s_load_b32 s33, s[0:1], 0x0
	v_cmp_gt_u32_e64 s0, 0x200, v0
	v_lshlrev_b32_e32 v17, 3, v0
	v_or_b32_e32 v15, 0xffffff00, v0
	v_lshl_add_u32 v16, v0, 2, 0
	s_delay_alu instid0(VALU_DEP_4)
	s_and_saveexec_b32 s1, s0
	s_cbranch_execz .LBB24_7
; %bb.5:
	s_waitcnt lgkmcnt(0)
	v_dual_mov_b32 v5, 0 :: v_dual_mov_b32 v10, s33
	v_add3_u32 v7, v17, 0, 0x800
	v_or_b32_e32 v8, 0xffffff00, v0
	v_lshl_add_u32 v9, v0, 2, 0
	s_delay_alu instid0(VALU_DEP_4)
	v_mov_b32_e32 v6, v5
	s_mov_b32 s2, 0
.LBB24_6:                               ; =>This Inner Loop Header: Depth=1
	s_delay_alu instid0(VALU_DEP_3) | instskip(NEXT) | instid1(VALU_DEP_1)
	v_add_co_u32 v8, s3, 0x100, v8
	s_xor_b32 s3, s3, -1
	ds_store_b32 v9, v10
	ds_store_b64 v7, v[5:6]
	v_add_nc_u32_e32 v7, 0x800, v7
	v_add_nc_u32_e32 v9, 0x400, v9
	s_and_b32 s3, exec_lo, s3
	s_delay_alu instid0(SALU_CYCLE_1) | instskip(NEXT) | instid1(SALU_CYCLE_1)
	s_or_b32 s2, s3, s2
	s_and_not1_b32 exec_lo, exec_lo, s2
	s_cbranch_execnz .LBB24_6
.LBB24_7:
	s_or_b32 exec_lo, exec_lo, s1
	s_waitcnt vmcnt(0) lgkmcnt(0)
	s_barrier
	buffer_gl0_inv
	s_load_b32 s1, s[36:37], 0x0
	s_mov_b32 s3, 0
	v_lshrrev_b32_e32 v18, 5, v0
	s_waitcnt lgkmcnt(0)
	s_add_i32 s2, s1, s15
	s_delay_alu instid0(SALU_CYCLE_1) | instskip(NEXT) | instid1(SALU_CYCLE_1)
	s_lshl_b64 s[2:3], s[2:3], 2
	s_add_u32 s2, s38, s2
	s_addc_u32 s3, s39, s3
	s_and_b32 vcc_lo, exec_lo, s35
	s_load_b32 s14, s[2:3], 0x0
	s_cbranch_vccz .LBB24_31
; %bb.8:
	s_waitcnt lgkmcnt(0)
	s_ashr_i32 s15, s14, 31
	v_subrev_nc_u32_e32 v5, s24, v18
	s_lshl_b64 s[2:3], s[14:15], 2
	s_delay_alu instid0(SALU_CYCLE_1)
	s_add_u32 s2, s16, s2
	s_addc_u32 s3, s17, s3
	s_load_b64 s[2:3], s[2:3], 0x0
	s_waitcnt lgkmcnt(0)
	v_add_nc_u32_e32 v5, s2, v5
	s_sub_i32 s1, s3, s24
	s_mov_b32 s2, exec_lo
	s_delay_alu instid0(VALU_DEP_1)
	v_cmpx_gt_i32_e64 s1, v5
	s_cbranch_execz .LBB24_30
; %bb.9:
	v_and_b32_e32 v6, 31, v0
	s_mov_b32 s3, 0
	s_delay_alu instid0(VALU_DEP_1)
	v_subrev_nc_u32_e32 v19, s25, v6
	s_branch .LBB24_11
.LBB24_10:                              ;   in Loop: Header=BB24_11 Depth=1
	s_or_b32 exec_lo, exec_lo, s15
	v_add_nc_u32_e32 v5, 8, v5
	s_delay_alu instid0(VALU_DEP_1) | instskip(SKIP_1) | instid1(SALU_CYCLE_1)
	v_cmp_le_i32_e32 vcc_lo, s1, v5
	s_or_b32 s3, vcc_lo, s3
	s_and_not1_b32 exec_lo, exec_lo, s3
	s_cbranch_execz .LBB24_30
.LBB24_11:                              ; =>This Loop Header: Depth=1
                                        ;     Child Loop BB24_14 Depth 2
                                        ;       Child Loop BB24_16 Depth 3
                                        ;         Child Loop BB24_22 Depth 4
                                        ;         Child Loop BB24_28 Depth 4
	v_ashrrev_i32_e32 v6, 31, v5
	s_mov_b32 s15, exec_lo
	s_delay_alu instid0(VALU_DEP_1) | instskip(NEXT) | instid1(VALU_DEP_1)
	v_lshlrev_b64 v[7:8], 2, v[5:6]
	v_add_co_u32 v7, vcc_lo, s18, v7
	s_delay_alu instid0(VALU_DEP_2) | instskip(SKIP_3) | instid1(VALU_DEP_1)
	v_add_co_ci_u32_e32 v8, vcc_lo, s19, v8, vcc_lo
	global_load_b32 v7, v[7:8], off
	s_waitcnt vmcnt(0)
	v_subrev_nc_u32_e32 v7, s24, v7
	v_ashrrev_i32_e32 v8, 31, v7
	s_delay_alu instid0(VALU_DEP_1) | instskip(NEXT) | instid1(VALU_DEP_1)
	v_lshlrev_b64 v[7:8], 2, v[7:8]
	v_add_co_u32 v7, vcc_lo, s22, v7
	s_delay_alu instid0(VALU_DEP_2) | instskip(SKIP_4) | instid1(VALU_DEP_1)
	v_add_co_ci_u32_e32 v8, vcc_lo, s23, v8, vcc_lo
	global_load_b64 v[7:8], v[7:8], off
	s_waitcnt vmcnt(0)
	v_subrev_nc_u32_e32 v20, s25, v8
	v_add_nc_u32_e32 v7, v7, v19
	v_cmpx_lt_i32_e64 v7, v20
	s_cbranch_execz .LBB24_10
; %bb.12:                               ;   in Loop: Header=BB24_11 Depth=1
	v_lshlrev_b64 v[8:9], 3, v[5:6]
	s_mov_b32 s16, 0
	s_delay_alu instid0(VALU_DEP_1) | instskip(NEXT) | instid1(VALU_DEP_2)
	v_add_co_u32 v8, vcc_lo, s20, v8
	v_add_co_ci_u32_e32 v9, vcc_lo, s21, v9, vcc_lo
	global_load_b64 v[8:9], v[8:9], off
	s_waitcnt vmcnt(0)
	v_mul_f64 v[9:10], v[3:4], v[8:9]
	s_branch .LBB24_14
.LBB24_13:                              ;   in Loop: Header=BB24_14 Depth=2
	s_or_b32 exec_lo, exec_lo, s17
	v_add_nc_u32_e32 v7, 32, v7
	s_delay_alu instid0(VALU_DEP_1) | instskip(SKIP_1) | instid1(SALU_CYCLE_1)
	v_cmp_ge_i32_e32 vcc_lo, v7, v20
	s_or_b32 s16, vcc_lo, s16
	s_and_not1_b32 exec_lo, exec_lo, s16
	s_cbranch_execz .LBB24_10
.LBB24_14:                              ;   Parent Loop BB24_11 Depth=1
                                        ; =>  This Loop Header: Depth=2
                                        ;       Child Loop BB24_16 Depth 3
                                        ;         Child Loop BB24_22 Depth 4
                                        ;         Child Loop BB24_28 Depth 4
	v_ashrrev_i32_e32 v8, 31, v7
	s_mov_b32 s17, 0
	s_delay_alu instid0(VALU_DEP_1) | instskip(SKIP_1) | instid1(VALU_DEP_2)
	v_lshlrev_b64 v[11:12], 3, v[7:8]
	v_lshlrev_b64 v[13:14], 2, v[7:8]
	v_add_co_u32 v11, vcc_lo, s30, v11
	s_delay_alu instid0(VALU_DEP_3) | instskip(NEXT) | instid1(VALU_DEP_3)
	v_add_co_ci_u32_e32 v12, vcc_lo, s31, v12, vcc_lo
	v_add_co_u32 v13, vcc_lo, s28, v13
	s_delay_alu instid0(VALU_DEP_4)
	v_add_co_ci_u32_e32 v14, vcc_lo, s29, v14, vcc_lo
	global_load_b64 v[11:12], v[11:12], off
	global_load_b32 v6, v[13:14], off
	s_waitcnt vmcnt(1)
	v_mul_f64 v[11:12], v[9:10], v[11:12]
	s_waitcnt vmcnt(0)
	v_subrev_nc_u32_e32 v6, s25, v6
	s_delay_alu instid0(VALU_DEP_1) | instskip(NEXT) | instid1(VALU_DEP_1)
	v_mul_lo_u32 v8, 0x89, v6
	v_and_b32_e32 v8, 0x1ff, v8
	s_branch .LBB24_16
.LBB24_15:                              ;   in Loop: Header=BB24_16 Depth=3
	s_or_b32 exec_lo, exec_lo, s35
	s_xor_b32 s35, s36, -1
	s_delay_alu instid0(SALU_CYCLE_1) | instskip(NEXT) | instid1(SALU_CYCLE_1)
	s_and_b32 s35, exec_lo, s35
	s_or_b32 s17, s35, s17
	s_delay_alu instid0(SALU_CYCLE_1)
	s_and_not1_b32 exec_lo, exec_lo, s17
	s_cbranch_execz .LBB24_13
.LBB24_16:                              ;   Parent Loop BB24_11 Depth=1
                                        ;     Parent Loop BB24_14 Depth=2
                                        ; =>    This Loop Header: Depth=3
                                        ;         Child Loop BB24_22 Depth 4
                                        ;         Child Loop BB24_28 Depth 4
	s_delay_alu instid0(VALU_DEP_1)
	v_lshl_add_u32 v13, v8, 2, 0
	s_mov_b32 s35, exec_lo
                                        ; implicit-def: $sgpr36
	ds_load_b32 v14, v13
	s_waitcnt lgkmcnt(0)
	v_cmpx_ne_u32_e64 v14, v6
	s_xor_b32 s35, exec_lo, s35
	s_cbranch_execz .LBB24_26
; %bb.17:                               ;   in Loop: Header=BB24_16 Depth=3
	s_mov_b32 s37, exec_lo
                                        ; implicit-def: $sgpr36
	v_cmpx_ne_u32_e64 s33, v14
	s_xor_b32 s37, exec_lo, s37
; %bb.18:                               ;   in Loop: Header=BB24_16 Depth=3
	v_add_nc_u32_e32 v8, 1, v8
	s_mov_b32 s36, -1
                                        ; implicit-def: $vgpr13
	s_delay_alu instid0(VALU_DEP_1)
	v_and_b32_e32 v8, 0x1ff, v8
; %bb.19:                               ;   in Loop: Header=BB24_16 Depth=3
	s_and_not1_saveexec_b32 s37, s37
	s_cbranch_execz .LBB24_25
; %bb.20:                               ;   in Loop: Header=BB24_16 Depth=3
	v_mov_b32_e32 v14, s33
	s_mov_b32 s39, -1
	s_mov_b32 s38, exec_lo
	ds_cmpstore_rtn_b32 v14, v13, v6, v14
	s_waitcnt lgkmcnt(0)
	v_cmpx_eq_u32_e64 s33, v14
	s_cbranch_execz .LBB24_24
; %bb.21:                               ;   in Loop: Header=BB24_16 Depth=3
	v_lshlrev_b32_e32 v14, 2, v8
	s_mov_b32 s39, 0
	s_delay_alu instid0(VALU_DEP_1)
	v_add_nc_u32_e32 v21, v13, v14
	ds_load_b64 v[13:14], v21 offset:2048
.LBB24_22:                              ;   Parent Loop BB24_11 Depth=1
                                        ;     Parent Loop BB24_14 Depth=2
                                        ;       Parent Loop BB24_16 Depth=3
                                        ; =>      This Inner Loop Header: Depth=4
	s_waitcnt lgkmcnt(0)
	v_add_f64 v[22:23], v[13:14], v[11:12]
	ds_cmpstore_rtn_b64 v[22:23], v21, v[22:23], v[13:14] offset:2048
	s_waitcnt lgkmcnt(0)
	v_cmp_eq_u64_e32 vcc_lo, v[22:23], v[13:14]
	v_dual_mov_b32 v13, v22 :: v_dual_mov_b32 v14, v23
	s_or_b32 s39, vcc_lo, s39
	s_delay_alu instid0(SALU_CYCLE_1)
	s_and_not1_b32 exec_lo, exec_lo, s39
	s_cbranch_execnz .LBB24_22
; %bb.23:                               ;   in Loop: Header=BB24_16 Depth=3
	s_or_b32 exec_lo, exec_lo, s39
	s_delay_alu instid0(SALU_CYCLE_1)
	s_xor_b32 s39, exec_lo, -1
.LBB24_24:                              ;   in Loop: Header=BB24_16 Depth=3
	s_or_b32 exec_lo, exec_lo, s38
	s_delay_alu instid0(SALU_CYCLE_1) | instskip(SKIP_1) | instid1(SALU_CYCLE_1)
	s_and_not1_b32 s36, s36, exec_lo
	s_and_b32 s38, s39, exec_lo
	s_or_b32 s36, s36, s38
.LBB24_25:                              ;   in Loop: Header=BB24_16 Depth=3
	s_or_b32 exec_lo, exec_lo, s37
	s_delay_alu instid0(SALU_CYCLE_1)
	s_and_b32 s36, s36, exec_lo
                                        ; implicit-def: $vgpr13
.LBB24_26:                              ;   in Loop: Header=BB24_16 Depth=3
	s_and_not1_saveexec_b32 s35, s35
	s_cbranch_execz .LBB24_15
; %bb.27:                               ;   in Loop: Header=BB24_16 Depth=3
	v_lshlrev_b32_e32 v14, 2, v8
	s_mov_b32 s37, 0
	s_delay_alu instid0(VALU_DEP_1)
	v_add_nc_u32_e32 v21, v13, v14
	ds_load_b64 v[13:14], v21 offset:2048
.LBB24_28:                              ;   Parent Loop BB24_11 Depth=1
                                        ;     Parent Loop BB24_14 Depth=2
                                        ;       Parent Loop BB24_16 Depth=3
                                        ; =>      This Inner Loop Header: Depth=4
	s_waitcnt lgkmcnt(0)
	v_add_f64 v[22:23], v[13:14], v[11:12]
	ds_cmpstore_rtn_b64 v[22:23], v21, v[22:23], v[13:14] offset:2048
	s_waitcnt lgkmcnt(0)
	v_cmp_eq_u64_e32 vcc_lo, v[22:23], v[13:14]
	v_dual_mov_b32 v13, v22 :: v_dual_mov_b32 v14, v23
	s_or_b32 s37, vcc_lo, s37
	s_delay_alu instid0(SALU_CYCLE_1)
	s_and_not1_b32 exec_lo, exec_lo, s37
	s_cbranch_execnz .LBB24_28
; %bb.29:                               ;   in Loop: Header=BB24_16 Depth=3
	s_or_b32 exec_lo, exec_lo, s37
	s_delay_alu instid0(SALU_CYCLE_1)
	s_and_not1_b32 s36, s36, exec_lo
	s_branch .LBB24_15
.LBB24_30:
	s_or_b32 exec_lo, exec_lo, s2
.LBB24_31:
	s_delay_alu instid0(SALU_CYCLE_1)
	s_and_not1_b32 vcc_lo, exec_lo, s34
	s_cbranch_vccnz .LBB24_52
; %bb.32:
	s_waitcnt lgkmcnt(0)
	s_ashr_i32 s15, s14, 31
	v_subrev_nc_u32_e32 v3, s27, v0
	s_lshl_b64 s[2:3], s[14:15], 2
	s_delay_alu instid0(SALU_CYCLE_1)
	s_add_u32 s2, s4, s2
	s_addc_u32 s3, s5, s3
	s_load_b64 s[2:3], s[2:3], 0x0
	s_waitcnt lgkmcnt(0)
	v_add_nc_u32_e32 v3, s2, v3
	s_sub_i32 s1, s3, s27
	s_mov_b32 s2, exec_lo
	s_delay_alu instid0(VALU_DEP_1)
	v_cmpx_gt_i32_e64 s1, v3
	s_cbranch_execz .LBB24_51
; %bb.33:
	s_mov_b32 s3, 0
	s_branch .LBB24_35
.LBB24_34:                              ;   in Loop: Header=BB24_35 Depth=1
	s_or_b32 exec_lo, exec_lo, s4
	v_add_nc_u32_e32 v3, 0x100, v3
	s_delay_alu instid0(VALU_DEP_1) | instskip(SKIP_1) | instid1(SALU_CYCLE_1)
	v_cmp_le_i32_e32 vcc_lo, s1, v3
	s_or_b32 s3, vcc_lo, s3
	s_and_not1_b32 exec_lo, exec_lo, s3
	s_cbranch_execz .LBB24_51
.LBB24_35:                              ; =>This Loop Header: Depth=1
                                        ;     Child Loop BB24_37 Depth 2
                                        ;       Child Loop BB24_43 Depth 3
                                        ;       Child Loop BB24_49 Depth 3
	v_ashrrev_i32_e32 v4, 31, v3
	s_mov_b32 s4, 0
	s_delay_alu instid0(VALU_DEP_1) | instskip(SKIP_1) | instid1(VALU_DEP_2)
	v_lshlrev_b64 v[5:6], 3, v[3:4]
	v_lshlrev_b64 v[7:8], 2, v[3:4]
	v_add_co_u32 v5, vcc_lo, s8, v5
	s_delay_alu instid0(VALU_DEP_3) | instskip(NEXT) | instid1(VALU_DEP_3)
	v_add_co_ci_u32_e32 v6, vcc_lo, s9, v6, vcc_lo
	v_add_co_u32 v7, vcc_lo, s6, v7
	s_delay_alu instid0(VALU_DEP_4)
	v_add_co_ci_u32_e32 v8, vcc_lo, s7, v8, vcc_lo
	global_load_b64 v[5:6], v[5:6], off
	global_load_b32 v7, v[7:8], off
	s_waitcnt vmcnt(1)
	v_mul_f64 v[4:5], v[1:2], v[5:6]
	s_waitcnt vmcnt(0)
	v_subrev_nc_u32_e32 v8, s27, v7
	s_delay_alu instid0(VALU_DEP_1) | instskip(NEXT) | instid1(VALU_DEP_1)
	v_mul_lo_u32 v6, 0x89, v8
	v_and_b32_e32 v9, 0x1ff, v6
	s_branch .LBB24_37
.LBB24_36:                              ;   in Loop: Header=BB24_37 Depth=2
	s_or_b32 exec_lo, exec_lo, s5
	s_xor_b32 s5, s15, -1
	s_delay_alu instid0(SALU_CYCLE_1) | instskip(NEXT) | instid1(SALU_CYCLE_1)
	s_and_b32 s5, exec_lo, s5
	s_or_b32 s4, s5, s4
	s_delay_alu instid0(SALU_CYCLE_1)
	s_and_not1_b32 exec_lo, exec_lo, s4
	s_cbranch_execz .LBB24_34
.LBB24_37:                              ;   Parent Loop BB24_35 Depth=1
                                        ; =>  This Loop Header: Depth=2
                                        ;       Child Loop BB24_43 Depth 3
                                        ;       Child Loop BB24_49 Depth 3
	s_delay_alu instid0(VALU_DEP_1)
	v_lshl_add_u32 v6, v9, 2, 0
	s_mov_b32 s5, exec_lo
                                        ; implicit-def: $sgpr15
	ds_load_b32 v7, v6
	s_waitcnt lgkmcnt(0)
	v_cmpx_ne_u32_e64 v7, v8
	s_xor_b32 s5, exec_lo, s5
	s_cbranch_execz .LBB24_47
; %bb.38:                               ;   in Loop: Header=BB24_37 Depth=2
	s_mov_b32 s16, exec_lo
                                        ; implicit-def: $sgpr15
	v_cmpx_ne_u32_e64 s33, v7
	s_xor_b32 s16, exec_lo, s16
; %bb.39:                               ;   in Loop: Header=BB24_37 Depth=2
	v_add_nc_u32_e32 v6, 1, v9
	s_mov_b32 s15, -1
	s_delay_alu instid0(VALU_DEP_1)
	v_and_b32_e32 v9, 0x1ff, v6
                                        ; implicit-def: $vgpr6
; %bb.40:                               ;   in Loop: Header=BB24_37 Depth=2
	s_and_not1_saveexec_b32 s16, s16
	s_cbranch_execz .LBB24_46
; %bb.41:                               ;   in Loop: Header=BB24_37 Depth=2
	v_mov_b32_e32 v7, s33
	s_mov_b32 s18, -1
	s_mov_b32 s17, exec_lo
	ds_cmpstore_rtn_b32 v7, v6, v8, v7
	s_waitcnt lgkmcnt(0)
	v_cmpx_eq_u32_e64 s33, v7
	s_cbranch_execz .LBB24_45
; %bb.42:                               ;   in Loop: Header=BB24_37 Depth=2
	v_lshlrev_b32_e32 v7, 2, v9
	s_mov_b32 s18, 0
	s_delay_alu instid0(VALU_DEP_1)
	v_add_nc_u32_e32 v10, v6, v7
	ds_load_b64 v[6:7], v10 offset:2048
.LBB24_43:                              ;   Parent Loop BB24_35 Depth=1
                                        ;     Parent Loop BB24_37 Depth=2
                                        ; =>    This Inner Loop Header: Depth=3
	s_waitcnt lgkmcnt(0)
	v_add_f64 v[11:12], v[6:7], v[4:5]
	ds_cmpstore_rtn_b64 v[11:12], v10, v[11:12], v[6:7] offset:2048
	s_waitcnt lgkmcnt(0)
	v_cmp_eq_u64_e32 vcc_lo, v[11:12], v[6:7]
	v_dual_mov_b32 v6, v11 :: v_dual_mov_b32 v7, v12
	s_or_b32 s18, vcc_lo, s18
	s_delay_alu instid0(SALU_CYCLE_1)
	s_and_not1_b32 exec_lo, exec_lo, s18
	s_cbranch_execnz .LBB24_43
; %bb.44:                               ;   in Loop: Header=BB24_37 Depth=2
	s_or_b32 exec_lo, exec_lo, s18
	s_delay_alu instid0(SALU_CYCLE_1)
	s_xor_b32 s18, exec_lo, -1
.LBB24_45:                              ;   in Loop: Header=BB24_37 Depth=2
	s_or_b32 exec_lo, exec_lo, s17
	s_delay_alu instid0(SALU_CYCLE_1) | instskip(SKIP_1) | instid1(SALU_CYCLE_1)
	s_and_not1_b32 s15, s15, exec_lo
	s_and_b32 s17, s18, exec_lo
	s_or_b32 s15, s15, s17
.LBB24_46:                              ;   in Loop: Header=BB24_37 Depth=2
	s_or_b32 exec_lo, exec_lo, s16
	s_delay_alu instid0(SALU_CYCLE_1)
	s_and_b32 s15, s15, exec_lo
                                        ; implicit-def: $vgpr6
.LBB24_47:                              ;   in Loop: Header=BB24_37 Depth=2
	s_and_not1_saveexec_b32 s5, s5
	s_cbranch_execz .LBB24_36
; %bb.48:                               ;   in Loop: Header=BB24_37 Depth=2
	v_lshlrev_b32_e32 v7, 2, v9
	s_mov_b32 s16, 0
	s_delay_alu instid0(VALU_DEP_1)
	v_add_nc_u32_e32 v10, v6, v7
	ds_load_b64 v[6:7], v10 offset:2048
.LBB24_49:                              ;   Parent Loop BB24_35 Depth=1
                                        ;     Parent Loop BB24_37 Depth=2
                                        ; =>    This Inner Loop Header: Depth=3
	s_waitcnt lgkmcnt(0)
	v_add_f64 v[11:12], v[6:7], v[4:5]
	ds_cmpstore_rtn_b64 v[11:12], v10, v[11:12], v[6:7] offset:2048
	s_waitcnt lgkmcnt(0)
	v_cmp_eq_u64_e32 vcc_lo, v[11:12], v[6:7]
	v_dual_mov_b32 v6, v11 :: v_dual_mov_b32 v7, v12
	s_or_b32 s16, vcc_lo, s16
	s_delay_alu instid0(SALU_CYCLE_1)
	s_and_not1_b32 exec_lo, exec_lo, s16
	s_cbranch_execnz .LBB24_49
; %bb.50:                               ;   in Loop: Header=BB24_37 Depth=2
	s_or_b32 exec_lo, exec_lo, s16
	s_delay_alu instid0(SALU_CYCLE_1)
	s_and_not1_b32 s15, s15, exec_lo
	s_branch .LBB24_36
.LBB24_51:
	s_or_b32 exec_lo, exec_lo, s2
.LBB24_52:
	s_waitcnt lgkmcnt(0)
	s_barrier
	buffer_gl0_inv
	s_and_saveexec_b32 s8, s0
	s_cbranch_execz .LBB24_73
; %bb.53:
	v_mbcnt_lo_u32_b32 v1, -1, 0
	v_lshl_add_u32 v4, v18, 2, 0
	v_cmp_eq_u32_e32 vcc_lo, 0xff, v0
	v_cmp_lt_u32_e64 s0, 31, v0
	v_cmp_lt_u32_e64 s1, 63, v0
	v_xor_b32_e32 v1, 63, v1
	v_cmp_lt_u32_e64 s2, 0x5f, v0
	v_cmp_lt_u32_e64 s3, 0x7f, v0
	;; [unrolled: 1-line block ×4, first 2 shown]
	v_lshrrev_b64 v[1:2], v1, -1
	v_cmp_lt_u32_e64 s6, 0xdf, v0
	v_add3_u32 v5, v17, 0, 0x800
	v_dual_mov_b32 v6, 0 :: v_dual_mov_b32 v7, 0
	s_mov_b32 s9, 0
	s_branch .LBB24_55
.LBB24_54:                              ;   in Loop: Header=BB24_55 Depth=1
	s_or_b32 exec_lo, exec_lo, s7
	s_waitcnt lgkmcnt(0)
	s_barrier
	buffer_gl0_inv
	ds_load_b32 v2, v6 offset:6172
	v_add_co_u32 v15, s7, 0x100, v15
	s_delay_alu instid0(VALU_DEP_1) | instskip(SKIP_3) | instid1(SALU_CYCLE_1)
	s_xor_b32 s7, s7, -1
	v_add_nc_u32_e32 v5, 0x800, v5
	v_add_nc_u32_e32 v16, 0x400, v16
	s_and_b32 s7, exec_lo, s7
	s_or_b32 s9, s7, s9
	s_waitcnt lgkmcnt(0)
	v_add_nc_u32_e32 v7, v2, v7
	s_and_not1_b32 exec_lo, exec_lo, s9
	s_cbranch_execz .LBB24_73
.LBB24_55:                              ; =>This Inner Loop Header: Depth=1
	ds_load_b32 v8, v16
	ds_load_b64 v[2:3], v5
	s_waitcnt lgkmcnt(0)
	s_barrier
	buffer_gl0_inv
	v_cmp_gt_i32_e64 s7, s33, v8
	s_delay_alu instid0(VALU_DEP_1) | instskip(NEXT) | instid1(SALU_CYCLE_1)
	s_bcnt1_i32_b32 s15, s7
	v_dual_mov_b32 v10, s15 :: v_dual_and_b32 v9, s7, v1
	s_delay_alu instid0(VALU_DEP_1)
	v_bcnt_u32_b32 v9, v9, 0
	ds_store_b32 v4, v10 offset:6144
	s_waitcnt lgkmcnt(0)
	s_barrier
	buffer_gl0_inv
	s_and_saveexec_b32 s15, s0
	s_cbranch_execnz .LBB24_64
; %bb.56:                               ;   in Loop: Header=BB24_55 Depth=1
	s_or_b32 exec_lo, exec_lo, s15
	s_and_saveexec_b32 s15, s1
	s_cbranch_execnz .LBB24_65
.LBB24_57:                              ;   in Loop: Header=BB24_55 Depth=1
	s_or_b32 exec_lo, exec_lo, s15
	s_and_saveexec_b32 s15, s2
	s_cbranch_execnz .LBB24_66
.LBB24_58:                              ;   in Loop: Header=BB24_55 Depth=1
	s_or_b32 exec_lo, exec_lo, s15
	s_and_saveexec_b32 s15, s3
	s_cbranch_execnz .LBB24_67
.LBB24_59:                              ;   in Loop: Header=BB24_55 Depth=1
	s_or_b32 exec_lo, exec_lo, s15
	s_and_saveexec_b32 s15, s4
	s_cbranch_execnz .LBB24_68
.LBB24_60:                              ;   in Loop: Header=BB24_55 Depth=1
	s_or_b32 exec_lo, exec_lo, s15
	s_and_saveexec_b32 s15, s5
	s_cbranch_execnz .LBB24_69
.LBB24_61:                              ;   in Loop: Header=BB24_55 Depth=1
	s_or_b32 exec_lo, exec_lo, s15
	s_and_saveexec_b32 s15, s6
	s_cbranch_execnz .LBB24_70
.LBB24_62:                              ;   in Loop: Header=BB24_55 Depth=1
	s_or_b32 exec_lo, exec_lo, s15
	s_and_saveexec_b32 s15, s7
	s_cbranch_execnz .LBB24_71
.LBB24_63:                              ;   in Loop: Header=BB24_55 Depth=1
	s_or_b32 exec_lo, exec_lo, s15
	s_and_saveexec_b32 s7, vcc_lo
	s_cbranch_execz .LBB24_54
	s_branch .LBB24_72
.LBB24_64:                              ;   in Loop: Header=BB24_55 Depth=1
	ds_load_b32 v10, v6 offset:6144
	s_waitcnt lgkmcnt(0)
	v_add_nc_u32_e32 v9, v10, v9
	s_or_b32 exec_lo, exec_lo, s15
	s_and_saveexec_b32 s15, s1
	s_cbranch_execz .LBB24_57
.LBB24_65:                              ;   in Loop: Header=BB24_55 Depth=1
	ds_load_b32 v10, v6 offset:6148
	s_waitcnt lgkmcnt(0)
	v_add_nc_u32_e32 v9, v10, v9
	s_or_b32 exec_lo, exec_lo, s15
	s_and_saveexec_b32 s15, s2
	s_cbranch_execz .LBB24_58
.LBB24_66:                              ;   in Loop: Header=BB24_55 Depth=1
	ds_load_b32 v10, v6 offset:6152
	s_waitcnt lgkmcnt(0)
	v_add_nc_u32_e32 v9, v10, v9
	s_or_b32 exec_lo, exec_lo, s15
	s_and_saveexec_b32 s15, s3
	s_cbranch_execz .LBB24_59
.LBB24_67:                              ;   in Loop: Header=BB24_55 Depth=1
	ds_load_b32 v10, v6 offset:6156
	s_waitcnt lgkmcnt(0)
	v_add_nc_u32_e32 v9, v10, v9
	s_or_b32 exec_lo, exec_lo, s15
	s_and_saveexec_b32 s15, s4
	s_cbranch_execz .LBB24_60
.LBB24_68:                              ;   in Loop: Header=BB24_55 Depth=1
	ds_load_b32 v10, v6 offset:6160
	s_waitcnt lgkmcnt(0)
	v_add_nc_u32_e32 v9, v10, v9
	s_or_b32 exec_lo, exec_lo, s15
	s_and_saveexec_b32 s15, s5
	s_cbranch_execz .LBB24_61
.LBB24_69:                              ;   in Loop: Header=BB24_55 Depth=1
	ds_load_b32 v10, v6 offset:6164
	s_waitcnt lgkmcnt(0)
	v_add_nc_u32_e32 v9, v10, v9
	s_or_b32 exec_lo, exec_lo, s15
	s_and_saveexec_b32 s15, s6
	s_cbranch_execz .LBB24_62
.LBB24_70:                              ;   in Loop: Header=BB24_55 Depth=1
	ds_load_b32 v10, v6 offset:6168
	s_waitcnt lgkmcnt(0)
	v_add_nc_u32_e32 v9, v10, v9
	s_or_b32 exec_lo, exec_lo, s15
	s_and_saveexec_b32 s15, s7
	s_cbranch_execz .LBB24_63
.LBB24_71:                              ;   in Loop: Header=BB24_55 Depth=1
	s_delay_alu instid0(VALU_DEP_1) | instskip(NEXT) | instid1(VALU_DEP_1)
	v_add3_u32 v10, v7, -1, v9
	v_lshl_add_u32 v11, v10, 2, 0
	v_lshl_add_u32 v10, v10, 3, 0
	ds_store_b32 v11, v8
	ds_store_b64 v10, v[2:3] offset:2048
	s_or_b32 exec_lo, exec_lo, s15
	s_and_saveexec_b32 s7, vcc_lo
	s_cbranch_execz .LBB24_54
.LBB24_72:                              ;   in Loop: Header=BB24_55 Depth=1
	ds_store_b32 v6, v9 offset:6172
	s_branch .LBB24_54
.LBB24_73:
	s_or_b32 exec_lo, exec_lo, s8
	s_ashr_i32 s15, s14, 31
	s_mov_b32 s3, exec_lo
	s_lshl_b64 s[0:1], s[14:15], 2
	s_delay_alu instid0(SALU_CYCLE_1) | instskip(SKIP_4) | instid1(SALU_CYCLE_1)
	s_add_u32 s0, s10, s0
	s_addc_u32 s1, s11, s1
	s_load_b64 s[0:1], s[0:1], 0x0
	s_waitcnt lgkmcnt(0)
	s_sub_i32 s2, s1, s0
	v_cmpx_gt_i32_e64 s2, v0
	s_cbranch_execz .LBB24_83
; %bb.74:
	s_sub_i32 s3, s0, s26
	s_sub_i32 s0, s0, s1
	s_and_b32 s1, s2, 7
	s_cmp_lt_u32 s0, -7
	s_mov_b32 s7, 0
	s_cselect_b32 s4, -1, 0
	s_and_b32 s5, s2, -8
	s_cmp_lg_u32 s1, 0
	s_cselect_b32 s6, -1, 0
	s_branch .LBB24_76
.LBB24_75:                              ;   in Loop: Header=BB24_76 Depth=1
	s_waitcnt lgkmcnt(1)
	s_delay_alu instid0(VALU_DEP_1) | instskip(SKIP_1) | instid1(VALU_DEP_2)
	v_ashrrev_i32_e32 v4, 31, v3
	v_add_nc_u32_e32 v0, 0x100, v0
	v_lshlrev_b64 v[3:4], 3, v[3:4]
	s_delay_alu instid0(VALU_DEP_2) | instskip(SKIP_1) | instid1(VALU_DEP_2)
	v_cmp_le_i32_e32 vcc_lo, s2, v0
	s_or_b32 s7, vcc_lo, s7
	v_add_co_u32 v3, s0, s12, v3
	s_delay_alu instid0(VALU_DEP_1)
	v_add_co_ci_u32_e64 v4, s0, s13, v4, s0
	s_waitcnt lgkmcnt(0)
	global_store_b64 v[3:4], v[1:2], off
	s_and_not1_b32 exec_lo, exec_lo, s7
	s_cbranch_execz .LBB24_83
.LBB24_76:                              ; =>This Loop Header: Depth=1
                                        ;     Child Loop BB24_78 Depth 2
                                        ;     Child Loop BB24_82 Depth 2
	v_lshlrev_b32_e32 v1, 2, v0
	s_and_not1_b32 vcc_lo, exec_lo, s4
	s_mov_b32 s0, 0
	s_delay_alu instid0(VALU_DEP_1) | instskip(NEXT) | instid1(VALU_DEP_1)
	v_dual_mov_b32 v3, s3 :: v_dual_add_nc_u32 v2, 0, v1
	v_add_nc_u32_e32 v1, v2, v1
	ds_load_b32 v4, v2
	ds_load_b64 v[1:2], v1 offset:2048
	s_cbranch_vccnz .LBB24_80
; %bb.77:                               ;   in Loop: Header=BB24_76 Depth=1
	v_mov_b32_e32 v3, s3
	s_mov_b32 s8, 0
	s_set_inst_prefetch_distance 0x1
	.p2align	6
.LBB24_78:                              ;   Parent Loop BB24_76 Depth=1
                                        ; =>  This Inner Loop Header: Depth=2
	v_mov_b32_e32 v11, s8
	s_add_i32 s0, s0, 8
	s_add_i32 s8, s8, 32
	s_cmp_eq_u32 s5, s0
	ds_load_2addr_b32 v[5:6], v11 offset1:1
	ds_load_2addr_b32 v[7:8], v11 offset0:2 offset1:3
	ds_load_2addr_b32 v[9:10], v11 offset0:4 offset1:5
	;; [unrolled: 1-line block ×3, first 2 shown]
	s_waitcnt lgkmcnt(3)
	v_cmp_gt_i32_e32 vcc_lo, v4, v5
	v_cndmask_b32_e64 v5, 0, 1, vcc_lo
	s_waitcnt lgkmcnt(2)
	v_cmp_gt_i32_e32 vcc_lo, v4, v7
	v_cndmask_b32_e64 v7, 0, 1, vcc_lo
	v_cmp_gt_i32_e32 vcc_lo, v4, v6
	v_add_co_ci_u32_e32 v3, vcc_lo, v3, v5, vcc_lo
	s_waitcnt lgkmcnt(1)
	v_cmp_gt_i32_e32 vcc_lo, v4, v9
	v_cndmask_b32_e64 v5, 0, 1, vcc_lo
	v_cmp_gt_i32_e32 vcc_lo, v4, v8
	v_add_co_ci_u32_e32 v3, vcc_lo, v3, v7, vcc_lo
	;; [unrolled: 5-line block ×3, first 2 shown]
	v_cmp_gt_i32_e32 vcc_lo, v4, v12
	s_delay_alu instid0(VALU_DEP_2)
	v_add_co_ci_u32_e32 v3, vcc_lo, v3, v6, vcc_lo
	s_cbranch_scc0 .LBB24_78
; %bb.79:                               ;   in Loop: Header=BB24_76 Depth=1
	s_set_inst_prefetch_distance 0x2
	s_mov_b32 s0, s5
.LBB24_80:                              ;   in Loop: Header=BB24_76 Depth=1
	s_and_not1_b32 vcc_lo, exec_lo, s6
	s_cbranch_vccnz .LBB24_75
; %bb.81:                               ;   in Loop: Header=BB24_76 Depth=1
	s_lshl_b32 s0, s0, 2
	s_mov_b32 s8, s1
	s_add_i32 s0, s0, 0
.LBB24_82:                              ;   Parent Loop BB24_76 Depth=1
                                        ; =>  This Inner Loop Header: Depth=2
	s_delay_alu instid0(SALU_CYCLE_1)
	v_mov_b32_e32 v5, s0
	s_add_i32 s8, s8, -1
	s_add_i32 s0, s0, 4
	s_cmp_lg_u32 s8, 0
	ds_load_b32 v5, v5
	s_waitcnt lgkmcnt(0)
	v_cmp_gt_i32_e32 vcc_lo, v4, v5
	v_add_co_ci_u32_e32 v3, vcc_lo, 0, v3, vcc_lo
	s_cbranch_scc1 .LBB24_82
	s_branch .LBB24_75
.LBB24_83:
	s_nop 0
	s_sendmsg sendmsg(MSG_DEALLOC_VGPRS)
	s_endpgm
	.section	.rodata,"a",@progbits
	.p2align	6, 0x0
	.amdhsa_kernel _ZN9rocsparseL41csrgemm_numeric_fill_block_per_row_kernelILj256ELj32ELj512ELj137ELj32EiidEEvT5_PKS1_S3_NS_24const_host_device_scalarIT6_EEPKT4_S3_PKS5_S9_S3_SB_S6_S9_S3_SB_S9_S3_PS5_21rocsparse_index_base_SD_SD_SD_bbb
		.amdhsa_group_segment_fixed_size 0
		.amdhsa_private_segment_fixed_size 0
		.amdhsa_kernarg_size 156
		.amdhsa_user_sgpr_count 15
		.amdhsa_user_sgpr_dispatch_ptr 0
		.amdhsa_user_sgpr_queue_ptr 0
		.amdhsa_user_sgpr_kernarg_segment_ptr 1
		.amdhsa_user_sgpr_dispatch_id 0
		.amdhsa_user_sgpr_private_segment_size 0
		.amdhsa_wavefront_size32 1
		.amdhsa_uses_dynamic_stack 0
		.amdhsa_enable_private_segment 0
		.amdhsa_system_sgpr_workgroup_id_x 1
		.amdhsa_system_sgpr_workgroup_id_y 0
		.amdhsa_system_sgpr_workgroup_id_z 0
		.amdhsa_system_sgpr_workgroup_info 0
		.amdhsa_system_vgpr_workitem_id 0
		.amdhsa_next_free_vgpr 24
		.amdhsa_next_free_sgpr 40
		.amdhsa_reserve_vcc 1
		.amdhsa_float_round_mode_32 0
		.amdhsa_float_round_mode_16_64 0
		.amdhsa_float_denorm_mode_32 3
		.amdhsa_float_denorm_mode_16_64 3
		.amdhsa_dx10_clamp 1
		.amdhsa_ieee_mode 1
		.amdhsa_fp16_overflow 0
		.amdhsa_workgroup_processor_mode 1
		.amdhsa_memory_ordered 1
		.amdhsa_forward_progress 0
		.amdhsa_shared_vgpr_count 0
		.amdhsa_exception_fp_ieee_invalid_op 0
		.amdhsa_exception_fp_denorm_src 0
		.amdhsa_exception_fp_ieee_div_zero 0
		.amdhsa_exception_fp_ieee_overflow 0
		.amdhsa_exception_fp_ieee_underflow 0
		.amdhsa_exception_fp_ieee_inexact 0
		.amdhsa_exception_int_div_zero 0
	.end_amdhsa_kernel
	.section	.text._ZN9rocsparseL41csrgemm_numeric_fill_block_per_row_kernelILj256ELj32ELj512ELj137ELj32EiidEEvT5_PKS1_S3_NS_24const_host_device_scalarIT6_EEPKT4_S3_PKS5_S9_S3_SB_S6_S9_S3_SB_S9_S3_PS5_21rocsparse_index_base_SD_SD_SD_bbb,"axG",@progbits,_ZN9rocsparseL41csrgemm_numeric_fill_block_per_row_kernelILj256ELj32ELj512ELj137ELj32EiidEEvT5_PKS1_S3_NS_24const_host_device_scalarIT6_EEPKT4_S3_PKS5_S9_S3_SB_S6_S9_S3_SB_S9_S3_PS5_21rocsparse_index_base_SD_SD_SD_bbb,comdat
.Lfunc_end24:
	.size	_ZN9rocsparseL41csrgemm_numeric_fill_block_per_row_kernelILj256ELj32ELj512ELj137ELj32EiidEEvT5_PKS1_S3_NS_24const_host_device_scalarIT6_EEPKT4_S3_PKS5_S9_S3_SB_S6_S9_S3_SB_S9_S3_PS5_21rocsparse_index_base_SD_SD_SD_bbb, .Lfunc_end24-_ZN9rocsparseL41csrgemm_numeric_fill_block_per_row_kernelILj256ELj32ELj512ELj137ELj32EiidEEvT5_PKS1_S3_NS_24const_host_device_scalarIT6_EEPKT4_S3_PKS5_S9_S3_SB_S6_S9_S3_SB_S9_S3_PS5_21rocsparse_index_base_SD_SD_SD_bbb
                                        ; -- End function
	.section	.AMDGPU.csdata,"",@progbits
; Kernel info:
; codeLenInByte = 3116
; NumSgprs: 42
; NumVgprs: 24
; ScratchSize: 0
; MemoryBound: 0
; FloatMode: 240
; IeeeMode: 1
; LDSByteSize: 0 bytes/workgroup (compile time only)
; SGPRBlocks: 5
; VGPRBlocks: 2
; NumSGPRsForWavesPerEU: 42
; NumVGPRsForWavesPerEU: 24
; Occupancy: 16
; WaveLimiterHint : 1
; COMPUTE_PGM_RSRC2:SCRATCH_EN: 0
; COMPUTE_PGM_RSRC2:USER_SGPR: 15
; COMPUTE_PGM_RSRC2:TRAP_HANDLER: 0
; COMPUTE_PGM_RSRC2:TGID_X_EN: 1
; COMPUTE_PGM_RSRC2:TGID_Y_EN: 0
; COMPUTE_PGM_RSRC2:TGID_Z_EN: 0
; COMPUTE_PGM_RSRC2:TIDIG_COMP_CNT: 0
	.section	.text._ZN9rocsparseL41csrgemm_numeric_fill_block_per_row_kernelILj256ELj32ELj512ELj137ELj64EiidEEvT5_PKS1_S3_NS_24const_host_device_scalarIT6_EEPKT4_S3_PKS5_S9_S3_SB_S6_S9_S3_SB_S9_S3_PS5_21rocsparse_index_base_SD_SD_SD_bbb,"axG",@progbits,_ZN9rocsparseL41csrgemm_numeric_fill_block_per_row_kernelILj256ELj32ELj512ELj137ELj64EiidEEvT5_PKS1_S3_NS_24const_host_device_scalarIT6_EEPKT4_S3_PKS5_S9_S3_SB_S6_S9_S3_SB_S9_S3_PS5_21rocsparse_index_base_SD_SD_SD_bbb,comdat
	.globl	_ZN9rocsparseL41csrgemm_numeric_fill_block_per_row_kernelILj256ELj32ELj512ELj137ELj64EiidEEvT5_PKS1_S3_NS_24const_host_device_scalarIT6_EEPKT4_S3_PKS5_S9_S3_SB_S6_S9_S3_SB_S9_S3_PS5_21rocsparse_index_base_SD_SD_SD_bbb ; -- Begin function _ZN9rocsparseL41csrgemm_numeric_fill_block_per_row_kernelILj256ELj32ELj512ELj137ELj64EiidEEvT5_PKS1_S3_NS_24const_host_device_scalarIT6_EEPKT4_S3_PKS5_S9_S3_SB_S6_S9_S3_SB_S9_S3_PS5_21rocsparse_index_base_SD_SD_SD_bbb
	.p2align	8
	.type	_ZN9rocsparseL41csrgemm_numeric_fill_block_per_row_kernelILj256ELj32ELj512ELj137ELj64EiidEEvT5_PKS1_S3_NS_24const_host_device_scalarIT6_EEPKT4_S3_PKS5_S9_S3_SB_S6_S9_S3_SB_S9_S3_PS5_21rocsparse_index_base_SD_SD_SD_bbb,@function
_ZN9rocsparseL41csrgemm_numeric_fill_block_per_row_kernelILj256ELj32ELj512ELj137ELj64EiidEEvT5_PKS1_S3_NS_24const_host_device_scalarIT6_EEPKT4_S3_PKS5_S9_S3_SB_S6_S9_S3_SB_S9_S3_PS5_21rocsparse_index_base_SD_SD_SD_bbb: ; @_ZN9rocsparseL41csrgemm_numeric_fill_block_per_row_kernelILj256ELj32ELj512ELj137ELj64EiidEEvT5_PKS1_S3_NS_24const_host_device_scalarIT6_EEPKT4_S3_PKS5_S9_S3_SB_S6_S9_S3_SB_S9_S3_PS5_21rocsparse_index_base_SD_SD_SD_bbb
; %bb.0:
	s_clause 0x2
	s_load_b32 s6, s[0:1], 0x98
	s_load_b64 s[4:5], s[0:1], 0x18
	s_load_b64 s[2:3], s[0:1], 0x50
	s_waitcnt lgkmcnt(0)
	s_and_b32 s8, 1, s6
	s_bitcmp1_b32 s6, 16
	s_cselect_b32 s7, -1, 0
	s_cmp_eq_u32 s8, 1
	s_cselect_b32 s35, -1, 0
	s_delay_alu instid0(SALU_CYCLE_1)
	s_and_b32 s8, s35, exec_lo
	s_cselect_b32 s9, s5, 0
	s_cselect_b32 s8, s4, 0
	s_xor_b32 s10, s35, -1
	v_dual_mov_b32 v3, s8 :: v_dual_mov_b32 v4, s9
	s_or_b32 s10, s10, s7
	s_delay_alu instid0(SALU_CYCLE_1)
	s_and_b32 vcc_lo, exec_lo, s10
	s_cbranch_vccnz .LBB25_2
; %bb.1:
	v_dual_mov_b32 v1, s4 :: v_dual_mov_b32 v2, s5
	flat_load_b64 v[3:4], v[1:2]
.LBB25_2:
	s_load_b128 s[24:27], s[0:1], 0x88
	s_bitcmp1_b32 s6, 8
	s_cselect_b32 s34, -1, 0
	s_delay_alu instid0(SALU_CYCLE_1)
	s_and_b32 s4, s34, exec_lo
	s_cselect_b32 s5, s3, 0
	s_cselect_b32 s4, s2, 0
	s_xor_b32 s6, s34, -1
	v_dual_mov_b32 v1, s4 :: v_dual_mov_b32 v2, s5
	s_or_b32 s6, s6, s7
	s_delay_alu instid0(SALU_CYCLE_1)
	s_and_b32 vcc_lo, exec_lo, s6
	s_cbranch_vccnz .LBB25_4
; %bb.3:
	v_dual_mov_b32 v1, s2 :: v_dual_mov_b32 v2, s3
	flat_load_b64 v[1:2], v[1:2]
.LBB25_4:
	s_clause 0x5
	s_load_b64 s[12:13], s[0:1], 0x80
	s_load_b256 s[4:11], s[0:1], 0x58
	s_load_b128 s[28:31], s[0:1], 0x40
	s_load_b256 s[16:23], s[0:1], 0x20
	s_load_b128 s[36:39], s[0:1], 0x8
	s_load_b32 s33, s[0:1], 0x0
	v_cmp_gt_u32_e64 s0, 0x200, v0
	v_lshlrev_b32_e32 v17, 3, v0
	v_or_b32_e32 v15, 0xffffff00, v0
	v_lshl_add_u32 v16, v0, 2, 0
	s_delay_alu instid0(VALU_DEP_4)
	s_and_saveexec_b32 s1, s0
	s_cbranch_execz .LBB25_7
; %bb.5:
	s_waitcnt lgkmcnt(0)
	v_dual_mov_b32 v5, 0 :: v_dual_mov_b32 v10, s33
	v_add3_u32 v7, v17, 0, 0x800
	v_or_b32_e32 v8, 0xffffff00, v0
	v_lshl_add_u32 v9, v0, 2, 0
	s_delay_alu instid0(VALU_DEP_4)
	v_mov_b32_e32 v6, v5
	s_mov_b32 s2, 0
.LBB25_6:                               ; =>This Inner Loop Header: Depth=1
	s_delay_alu instid0(VALU_DEP_3) | instskip(NEXT) | instid1(VALU_DEP_1)
	v_add_co_u32 v8, s3, 0x100, v8
	s_xor_b32 s3, s3, -1
	ds_store_b32 v9, v10
	ds_store_b64 v7, v[5:6]
	v_add_nc_u32_e32 v7, 0x800, v7
	v_add_nc_u32_e32 v9, 0x400, v9
	s_and_b32 s3, exec_lo, s3
	s_delay_alu instid0(SALU_CYCLE_1) | instskip(NEXT) | instid1(SALU_CYCLE_1)
	s_or_b32 s2, s3, s2
	s_and_not1_b32 exec_lo, exec_lo, s2
	s_cbranch_execnz .LBB25_6
.LBB25_7:
	s_or_b32 exec_lo, exec_lo, s1
	s_waitcnt vmcnt(0) lgkmcnt(0)
	s_barrier
	buffer_gl0_inv
	s_load_b32 s1, s[36:37], 0x0
	s_mov_b32 s3, 0
	s_waitcnt lgkmcnt(0)
	s_add_i32 s2, s1, s15
	s_delay_alu instid0(SALU_CYCLE_1) | instskip(NEXT) | instid1(SALU_CYCLE_1)
	s_lshl_b64 s[2:3], s[2:3], 2
	s_add_u32 s2, s38, s2
	s_addc_u32 s3, s39, s3
	s_and_b32 vcc_lo, exec_lo, s35
	s_load_b32 s14, s[2:3], 0x0
	s_cbranch_vccz .LBB25_31
; %bb.8:
	s_waitcnt lgkmcnt(0)
	s_ashr_i32 s15, s14, 31
	v_lshrrev_b32_e32 v5, 5, v0
	s_lshl_b64 s[2:3], s[14:15], 2
	s_delay_alu instid0(SALU_CYCLE_1) | instskip(SKIP_1) | instid1(VALU_DEP_1)
	s_add_u32 s2, s16, s2
	s_addc_u32 s3, s17, s3
	v_subrev_nc_u32_e32 v5, s24, v5
	s_load_b64 s[2:3], s[2:3], 0x0
	s_waitcnt lgkmcnt(0)
	s_delay_alu instid0(VALU_DEP_1) | instskip(SKIP_2) | instid1(VALU_DEP_1)
	v_add_nc_u32_e32 v5, s2, v5
	s_sub_i32 s1, s3, s24
	s_mov_b32 s2, exec_lo
	v_cmpx_gt_i32_e64 s1, v5
	s_cbranch_execz .LBB25_30
; %bb.9:
	v_and_b32_e32 v6, 31, v0
	s_mov_b32 s3, 0
	s_delay_alu instid0(VALU_DEP_1)
	v_subrev_nc_u32_e32 v18, s25, v6
	s_branch .LBB25_11
.LBB25_10:                              ;   in Loop: Header=BB25_11 Depth=1
	s_or_b32 exec_lo, exec_lo, s15
	v_add_nc_u32_e32 v5, 8, v5
	s_delay_alu instid0(VALU_DEP_1) | instskip(SKIP_1) | instid1(SALU_CYCLE_1)
	v_cmp_le_i32_e32 vcc_lo, s1, v5
	s_or_b32 s3, vcc_lo, s3
	s_and_not1_b32 exec_lo, exec_lo, s3
	s_cbranch_execz .LBB25_30
.LBB25_11:                              ; =>This Loop Header: Depth=1
                                        ;     Child Loop BB25_14 Depth 2
                                        ;       Child Loop BB25_16 Depth 3
                                        ;         Child Loop BB25_22 Depth 4
                                        ;         Child Loop BB25_28 Depth 4
	v_ashrrev_i32_e32 v6, 31, v5
	s_mov_b32 s15, exec_lo
	s_delay_alu instid0(VALU_DEP_1) | instskip(NEXT) | instid1(VALU_DEP_1)
	v_lshlrev_b64 v[7:8], 2, v[5:6]
	v_add_co_u32 v7, vcc_lo, s18, v7
	s_delay_alu instid0(VALU_DEP_2) | instskip(SKIP_3) | instid1(VALU_DEP_1)
	v_add_co_ci_u32_e32 v8, vcc_lo, s19, v8, vcc_lo
	global_load_b32 v7, v[7:8], off
	s_waitcnt vmcnt(0)
	v_subrev_nc_u32_e32 v7, s24, v7
	v_ashrrev_i32_e32 v8, 31, v7
	s_delay_alu instid0(VALU_DEP_1) | instskip(NEXT) | instid1(VALU_DEP_1)
	v_lshlrev_b64 v[7:8], 2, v[7:8]
	v_add_co_u32 v7, vcc_lo, s22, v7
	s_delay_alu instid0(VALU_DEP_2) | instskip(SKIP_4) | instid1(VALU_DEP_1)
	v_add_co_ci_u32_e32 v8, vcc_lo, s23, v8, vcc_lo
	global_load_b64 v[7:8], v[7:8], off
	s_waitcnt vmcnt(0)
	v_subrev_nc_u32_e32 v19, s25, v8
	v_add_nc_u32_e32 v7, v7, v18
	v_cmpx_lt_i32_e64 v7, v19
	s_cbranch_execz .LBB25_10
; %bb.12:                               ;   in Loop: Header=BB25_11 Depth=1
	v_lshlrev_b64 v[8:9], 3, v[5:6]
	s_mov_b32 s16, 0
	s_delay_alu instid0(VALU_DEP_1) | instskip(NEXT) | instid1(VALU_DEP_2)
	v_add_co_u32 v8, vcc_lo, s20, v8
	v_add_co_ci_u32_e32 v9, vcc_lo, s21, v9, vcc_lo
	global_load_b64 v[8:9], v[8:9], off
	s_waitcnt vmcnt(0)
	v_mul_f64 v[9:10], v[3:4], v[8:9]
	s_branch .LBB25_14
.LBB25_13:                              ;   in Loop: Header=BB25_14 Depth=2
	s_or_b32 exec_lo, exec_lo, s17
	v_add_nc_u32_e32 v7, 32, v7
	s_delay_alu instid0(VALU_DEP_1) | instskip(SKIP_1) | instid1(SALU_CYCLE_1)
	v_cmp_ge_i32_e32 vcc_lo, v7, v19
	s_or_b32 s16, vcc_lo, s16
	s_and_not1_b32 exec_lo, exec_lo, s16
	s_cbranch_execz .LBB25_10
.LBB25_14:                              ;   Parent Loop BB25_11 Depth=1
                                        ; =>  This Loop Header: Depth=2
                                        ;       Child Loop BB25_16 Depth 3
                                        ;         Child Loop BB25_22 Depth 4
                                        ;         Child Loop BB25_28 Depth 4
	v_ashrrev_i32_e32 v8, 31, v7
	s_mov_b32 s17, 0
	s_delay_alu instid0(VALU_DEP_1) | instskip(SKIP_1) | instid1(VALU_DEP_2)
	v_lshlrev_b64 v[11:12], 3, v[7:8]
	v_lshlrev_b64 v[13:14], 2, v[7:8]
	v_add_co_u32 v11, vcc_lo, s30, v11
	s_delay_alu instid0(VALU_DEP_3) | instskip(NEXT) | instid1(VALU_DEP_3)
	v_add_co_ci_u32_e32 v12, vcc_lo, s31, v12, vcc_lo
	v_add_co_u32 v13, vcc_lo, s28, v13
	s_delay_alu instid0(VALU_DEP_4)
	v_add_co_ci_u32_e32 v14, vcc_lo, s29, v14, vcc_lo
	global_load_b64 v[11:12], v[11:12], off
	global_load_b32 v6, v[13:14], off
	s_waitcnt vmcnt(1)
	v_mul_f64 v[11:12], v[9:10], v[11:12]
	s_waitcnt vmcnt(0)
	v_subrev_nc_u32_e32 v6, s25, v6
	s_delay_alu instid0(VALU_DEP_1) | instskip(NEXT) | instid1(VALU_DEP_1)
	v_mul_lo_u32 v8, 0x89, v6
	v_and_b32_e32 v8, 0x1ff, v8
	s_branch .LBB25_16
.LBB25_15:                              ;   in Loop: Header=BB25_16 Depth=3
	s_or_b32 exec_lo, exec_lo, s35
	s_xor_b32 s35, s36, -1
	s_delay_alu instid0(SALU_CYCLE_1) | instskip(NEXT) | instid1(SALU_CYCLE_1)
	s_and_b32 s35, exec_lo, s35
	s_or_b32 s17, s35, s17
	s_delay_alu instid0(SALU_CYCLE_1)
	s_and_not1_b32 exec_lo, exec_lo, s17
	s_cbranch_execz .LBB25_13
.LBB25_16:                              ;   Parent Loop BB25_11 Depth=1
                                        ;     Parent Loop BB25_14 Depth=2
                                        ; =>    This Loop Header: Depth=3
                                        ;         Child Loop BB25_22 Depth 4
                                        ;         Child Loop BB25_28 Depth 4
	s_delay_alu instid0(VALU_DEP_1)
	v_lshl_add_u32 v13, v8, 2, 0
	s_mov_b32 s35, exec_lo
                                        ; implicit-def: $sgpr36
	ds_load_b32 v14, v13
	s_waitcnt lgkmcnt(0)
	v_cmpx_ne_u32_e64 v14, v6
	s_xor_b32 s35, exec_lo, s35
	s_cbranch_execz .LBB25_26
; %bb.17:                               ;   in Loop: Header=BB25_16 Depth=3
	s_mov_b32 s37, exec_lo
                                        ; implicit-def: $sgpr36
	v_cmpx_ne_u32_e64 s33, v14
	s_xor_b32 s37, exec_lo, s37
; %bb.18:                               ;   in Loop: Header=BB25_16 Depth=3
	v_add_nc_u32_e32 v8, 1, v8
	s_mov_b32 s36, -1
                                        ; implicit-def: $vgpr13
	s_delay_alu instid0(VALU_DEP_1)
	v_and_b32_e32 v8, 0x1ff, v8
; %bb.19:                               ;   in Loop: Header=BB25_16 Depth=3
	s_and_not1_saveexec_b32 s37, s37
	s_cbranch_execz .LBB25_25
; %bb.20:                               ;   in Loop: Header=BB25_16 Depth=3
	v_mov_b32_e32 v14, s33
	s_mov_b32 s39, -1
	s_mov_b32 s38, exec_lo
	ds_cmpstore_rtn_b32 v14, v13, v6, v14
	s_waitcnt lgkmcnt(0)
	v_cmpx_eq_u32_e64 s33, v14
	s_cbranch_execz .LBB25_24
; %bb.21:                               ;   in Loop: Header=BB25_16 Depth=3
	v_lshlrev_b32_e32 v14, 2, v8
	s_mov_b32 s39, 0
	s_delay_alu instid0(VALU_DEP_1)
	v_add_nc_u32_e32 v20, v13, v14
	ds_load_b64 v[13:14], v20 offset:2048
.LBB25_22:                              ;   Parent Loop BB25_11 Depth=1
                                        ;     Parent Loop BB25_14 Depth=2
                                        ;       Parent Loop BB25_16 Depth=3
                                        ; =>      This Inner Loop Header: Depth=4
	s_waitcnt lgkmcnt(0)
	v_add_f64 v[21:22], v[13:14], v[11:12]
	ds_cmpstore_rtn_b64 v[21:22], v20, v[21:22], v[13:14] offset:2048
	s_waitcnt lgkmcnt(0)
	v_cmp_eq_u64_e32 vcc_lo, v[21:22], v[13:14]
	v_dual_mov_b32 v13, v21 :: v_dual_mov_b32 v14, v22
	s_or_b32 s39, vcc_lo, s39
	s_delay_alu instid0(SALU_CYCLE_1)
	s_and_not1_b32 exec_lo, exec_lo, s39
	s_cbranch_execnz .LBB25_22
; %bb.23:                               ;   in Loop: Header=BB25_16 Depth=3
	s_or_b32 exec_lo, exec_lo, s39
	s_delay_alu instid0(SALU_CYCLE_1)
	s_xor_b32 s39, exec_lo, -1
.LBB25_24:                              ;   in Loop: Header=BB25_16 Depth=3
	s_or_b32 exec_lo, exec_lo, s38
	s_delay_alu instid0(SALU_CYCLE_1) | instskip(SKIP_1) | instid1(SALU_CYCLE_1)
	s_and_not1_b32 s36, s36, exec_lo
	s_and_b32 s38, s39, exec_lo
	s_or_b32 s36, s36, s38
.LBB25_25:                              ;   in Loop: Header=BB25_16 Depth=3
	s_or_b32 exec_lo, exec_lo, s37
	s_delay_alu instid0(SALU_CYCLE_1)
	s_and_b32 s36, s36, exec_lo
                                        ; implicit-def: $vgpr13
.LBB25_26:                              ;   in Loop: Header=BB25_16 Depth=3
	s_and_not1_saveexec_b32 s35, s35
	s_cbranch_execz .LBB25_15
; %bb.27:                               ;   in Loop: Header=BB25_16 Depth=3
	v_lshlrev_b32_e32 v14, 2, v8
	s_mov_b32 s37, 0
	s_delay_alu instid0(VALU_DEP_1)
	v_add_nc_u32_e32 v20, v13, v14
	ds_load_b64 v[13:14], v20 offset:2048
.LBB25_28:                              ;   Parent Loop BB25_11 Depth=1
                                        ;     Parent Loop BB25_14 Depth=2
                                        ;       Parent Loop BB25_16 Depth=3
                                        ; =>      This Inner Loop Header: Depth=4
	s_waitcnt lgkmcnt(0)
	v_add_f64 v[21:22], v[13:14], v[11:12]
	ds_cmpstore_rtn_b64 v[21:22], v20, v[21:22], v[13:14] offset:2048
	s_waitcnt lgkmcnt(0)
	v_cmp_eq_u64_e32 vcc_lo, v[21:22], v[13:14]
	v_dual_mov_b32 v13, v21 :: v_dual_mov_b32 v14, v22
	s_or_b32 s37, vcc_lo, s37
	s_delay_alu instid0(SALU_CYCLE_1)
	s_and_not1_b32 exec_lo, exec_lo, s37
	s_cbranch_execnz .LBB25_28
; %bb.29:                               ;   in Loop: Header=BB25_16 Depth=3
	s_or_b32 exec_lo, exec_lo, s37
	s_delay_alu instid0(SALU_CYCLE_1)
	s_and_not1_b32 s36, s36, exec_lo
	s_branch .LBB25_15
.LBB25_30:
	s_or_b32 exec_lo, exec_lo, s2
.LBB25_31:
	s_delay_alu instid0(SALU_CYCLE_1)
	s_and_not1_b32 vcc_lo, exec_lo, s34
	s_cbranch_vccnz .LBB25_52
; %bb.32:
	s_waitcnt lgkmcnt(0)
	s_ashr_i32 s15, s14, 31
	v_subrev_nc_u32_e32 v3, s27, v0
	s_lshl_b64 s[2:3], s[14:15], 2
	s_delay_alu instid0(SALU_CYCLE_1)
	s_add_u32 s2, s4, s2
	s_addc_u32 s3, s5, s3
	s_load_b64 s[2:3], s[2:3], 0x0
	s_waitcnt lgkmcnt(0)
	v_add_nc_u32_e32 v3, s2, v3
	s_sub_i32 s1, s3, s27
	s_mov_b32 s2, exec_lo
	s_delay_alu instid0(VALU_DEP_1)
	v_cmpx_gt_i32_e64 s1, v3
	s_cbranch_execz .LBB25_51
; %bb.33:
	s_mov_b32 s3, 0
	s_branch .LBB25_35
.LBB25_34:                              ;   in Loop: Header=BB25_35 Depth=1
	s_or_b32 exec_lo, exec_lo, s4
	v_add_nc_u32_e32 v3, 0x100, v3
	s_delay_alu instid0(VALU_DEP_1) | instskip(SKIP_1) | instid1(SALU_CYCLE_1)
	v_cmp_le_i32_e32 vcc_lo, s1, v3
	s_or_b32 s3, vcc_lo, s3
	s_and_not1_b32 exec_lo, exec_lo, s3
	s_cbranch_execz .LBB25_51
.LBB25_35:                              ; =>This Loop Header: Depth=1
                                        ;     Child Loop BB25_37 Depth 2
                                        ;       Child Loop BB25_43 Depth 3
                                        ;       Child Loop BB25_49 Depth 3
	v_ashrrev_i32_e32 v4, 31, v3
	s_mov_b32 s4, 0
	s_delay_alu instid0(VALU_DEP_1) | instskip(SKIP_1) | instid1(VALU_DEP_2)
	v_lshlrev_b64 v[5:6], 3, v[3:4]
	v_lshlrev_b64 v[7:8], 2, v[3:4]
	v_add_co_u32 v5, vcc_lo, s8, v5
	s_delay_alu instid0(VALU_DEP_3) | instskip(NEXT) | instid1(VALU_DEP_3)
	v_add_co_ci_u32_e32 v6, vcc_lo, s9, v6, vcc_lo
	v_add_co_u32 v7, vcc_lo, s6, v7
	s_delay_alu instid0(VALU_DEP_4)
	v_add_co_ci_u32_e32 v8, vcc_lo, s7, v8, vcc_lo
	global_load_b64 v[5:6], v[5:6], off
	global_load_b32 v7, v[7:8], off
	s_waitcnt vmcnt(1)
	v_mul_f64 v[4:5], v[1:2], v[5:6]
	s_waitcnt vmcnt(0)
	v_subrev_nc_u32_e32 v8, s27, v7
	s_delay_alu instid0(VALU_DEP_1) | instskip(NEXT) | instid1(VALU_DEP_1)
	v_mul_lo_u32 v6, 0x89, v8
	v_and_b32_e32 v9, 0x1ff, v6
	s_branch .LBB25_37
.LBB25_36:                              ;   in Loop: Header=BB25_37 Depth=2
	s_or_b32 exec_lo, exec_lo, s5
	s_xor_b32 s5, s15, -1
	s_delay_alu instid0(SALU_CYCLE_1) | instskip(NEXT) | instid1(SALU_CYCLE_1)
	s_and_b32 s5, exec_lo, s5
	s_or_b32 s4, s5, s4
	s_delay_alu instid0(SALU_CYCLE_1)
	s_and_not1_b32 exec_lo, exec_lo, s4
	s_cbranch_execz .LBB25_34
.LBB25_37:                              ;   Parent Loop BB25_35 Depth=1
                                        ; =>  This Loop Header: Depth=2
                                        ;       Child Loop BB25_43 Depth 3
                                        ;       Child Loop BB25_49 Depth 3
	s_delay_alu instid0(VALU_DEP_1)
	v_lshl_add_u32 v6, v9, 2, 0
	s_mov_b32 s5, exec_lo
                                        ; implicit-def: $sgpr15
	ds_load_b32 v7, v6
	s_waitcnt lgkmcnt(0)
	v_cmpx_ne_u32_e64 v7, v8
	s_xor_b32 s5, exec_lo, s5
	s_cbranch_execz .LBB25_47
; %bb.38:                               ;   in Loop: Header=BB25_37 Depth=2
	s_mov_b32 s16, exec_lo
                                        ; implicit-def: $sgpr15
	v_cmpx_ne_u32_e64 s33, v7
	s_xor_b32 s16, exec_lo, s16
; %bb.39:                               ;   in Loop: Header=BB25_37 Depth=2
	v_add_nc_u32_e32 v6, 1, v9
	s_mov_b32 s15, -1
	s_delay_alu instid0(VALU_DEP_1)
	v_and_b32_e32 v9, 0x1ff, v6
                                        ; implicit-def: $vgpr6
; %bb.40:                               ;   in Loop: Header=BB25_37 Depth=2
	s_and_not1_saveexec_b32 s16, s16
	s_cbranch_execz .LBB25_46
; %bb.41:                               ;   in Loop: Header=BB25_37 Depth=2
	v_mov_b32_e32 v7, s33
	s_mov_b32 s18, -1
	s_mov_b32 s17, exec_lo
	ds_cmpstore_rtn_b32 v7, v6, v8, v7
	s_waitcnt lgkmcnt(0)
	v_cmpx_eq_u32_e64 s33, v7
	s_cbranch_execz .LBB25_45
; %bb.42:                               ;   in Loop: Header=BB25_37 Depth=2
	v_lshlrev_b32_e32 v7, 2, v9
	s_mov_b32 s18, 0
	s_delay_alu instid0(VALU_DEP_1)
	v_add_nc_u32_e32 v10, v6, v7
	ds_load_b64 v[6:7], v10 offset:2048
.LBB25_43:                              ;   Parent Loop BB25_35 Depth=1
                                        ;     Parent Loop BB25_37 Depth=2
                                        ; =>    This Inner Loop Header: Depth=3
	s_waitcnt lgkmcnt(0)
	v_add_f64 v[11:12], v[6:7], v[4:5]
	ds_cmpstore_rtn_b64 v[11:12], v10, v[11:12], v[6:7] offset:2048
	s_waitcnt lgkmcnt(0)
	v_cmp_eq_u64_e32 vcc_lo, v[11:12], v[6:7]
	v_dual_mov_b32 v6, v11 :: v_dual_mov_b32 v7, v12
	s_or_b32 s18, vcc_lo, s18
	s_delay_alu instid0(SALU_CYCLE_1)
	s_and_not1_b32 exec_lo, exec_lo, s18
	s_cbranch_execnz .LBB25_43
; %bb.44:                               ;   in Loop: Header=BB25_37 Depth=2
	s_or_b32 exec_lo, exec_lo, s18
	s_delay_alu instid0(SALU_CYCLE_1)
	s_xor_b32 s18, exec_lo, -1
.LBB25_45:                              ;   in Loop: Header=BB25_37 Depth=2
	s_or_b32 exec_lo, exec_lo, s17
	s_delay_alu instid0(SALU_CYCLE_1) | instskip(SKIP_1) | instid1(SALU_CYCLE_1)
	s_and_not1_b32 s15, s15, exec_lo
	s_and_b32 s17, s18, exec_lo
	s_or_b32 s15, s15, s17
.LBB25_46:                              ;   in Loop: Header=BB25_37 Depth=2
	s_or_b32 exec_lo, exec_lo, s16
	s_delay_alu instid0(SALU_CYCLE_1)
	s_and_b32 s15, s15, exec_lo
                                        ; implicit-def: $vgpr6
.LBB25_47:                              ;   in Loop: Header=BB25_37 Depth=2
	s_and_not1_saveexec_b32 s5, s5
	s_cbranch_execz .LBB25_36
; %bb.48:                               ;   in Loop: Header=BB25_37 Depth=2
	v_lshlrev_b32_e32 v7, 2, v9
	s_mov_b32 s16, 0
	s_delay_alu instid0(VALU_DEP_1)
	v_add_nc_u32_e32 v10, v6, v7
	ds_load_b64 v[6:7], v10 offset:2048
.LBB25_49:                              ;   Parent Loop BB25_35 Depth=1
                                        ;     Parent Loop BB25_37 Depth=2
                                        ; =>    This Inner Loop Header: Depth=3
	s_waitcnt lgkmcnt(0)
	v_add_f64 v[11:12], v[6:7], v[4:5]
	ds_cmpstore_rtn_b64 v[11:12], v10, v[11:12], v[6:7] offset:2048
	s_waitcnt lgkmcnt(0)
	v_cmp_eq_u64_e32 vcc_lo, v[11:12], v[6:7]
	v_dual_mov_b32 v6, v11 :: v_dual_mov_b32 v7, v12
	s_or_b32 s16, vcc_lo, s16
	s_delay_alu instid0(SALU_CYCLE_1)
	s_and_not1_b32 exec_lo, exec_lo, s16
	s_cbranch_execnz .LBB25_49
; %bb.50:                               ;   in Loop: Header=BB25_37 Depth=2
	s_or_b32 exec_lo, exec_lo, s16
	s_delay_alu instid0(SALU_CYCLE_1)
	s_and_not1_b32 s15, s15, exec_lo
	s_branch .LBB25_36
.LBB25_51:
	s_or_b32 exec_lo, exec_lo, s2
.LBB25_52:
	s_waitcnt lgkmcnt(0)
	s_barrier
	buffer_gl0_inv
	s_and_saveexec_b32 s4, s0
	s_cbranch_execz .LBB25_65
; %bb.53:
	v_mbcnt_lo_u32_b32 v1, -1, 0
	v_lshrrev_b32_e32 v2, 4, v0
	v_cmp_eq_u32_e32 vcc_lo, 0xff, v0
	v_cmp_lt_u32_e64 s0, 63, v0
	v_cmp_lt_u32_e64 s1, 0x7f, v0
	v_xor_b32_e32 v1, 63, v1
	v_dual_mov_b32 v6, 0 :: v_dual_and_b32 v3, 12, v2
	v_cmp_lt_u32_e64 s2, 0xbf, v0
	v_add3_u32 v4, v17, 0, 0x800
	s_delay_alu instid0(VALU_DEP_4) | instskip(NEXT) | instid1(VALU_DEP_4)
	v_lshrrev_b64 v[1:2], v1, -1
	v_add_nc_u32_e32 v5, 0, v3
	v_mov_b32_e32 v7, 0
	s_mov_b32 s5, 0
	s_branch .LBB25_55
.LBB25_54:                              ;   in Loop: Header=BB25_55 Depth=1
	s_or_b32 exec_lo, exec_lo, s3
	s_waitcnt lgkmcnt(0)
	s_barrier
	buffer_gl0_inv
	ds_load_b32 v2, v6 offset:6156
	v_add_co_u32 v15, s3, 0x100, v15
	s_delay_alu instid0(VALU_DEP_1) | instskip(SKIP_3) | instid1(SALU_CYCLE_1)
	s_xor_b32 s3, s3, -1
	v_add_nc_u32_e32 v4, 0x800, v4
	v_add_nc_u32_e32 v16, 0x400, v16
	s_and_b32 s3, exec_lo, s3
	s_or_b32 s5, s3, s5
	s_waitcnt lgkmcnt(0)
	v_add_nc_u32_e32 v7, v2, v7
	s_and_not1_b32 exec_lo, exec_lo, s5
	s_cbranch_execz .LBB25_65
.LBB25_55:                              ; =>This Inner Loop Header: Depth=1
	ds_load_b32 v8, v16
	ds_load_b64 v[2:3], v4
	s_waitcnt lgkmcnt(0)
	s_barrier
	buffer_gl0_inv
	v_cmp_gt_i32_e64 s3, s33, v8
	s_delay_alu instid0(VALU_DEP_1) | instskip(NEXT) | instid1(SALU_CYCLE_1)
	s_bcnt1_i32_b32 s6, s3
	v_dual_mov_b32 v10, s6 :: v_dual_and_b32 v9, s3, v1
	s_delay_alu instid0(VALU_DEP_1)
	v_bcnt_u32_b32 v9, v9, 0
	ds_store_b32 v5, v10 offset:6144
	s_waitcnt lgkmcnt(0)
	s_barrier
	buffer_gl0_inv
	s_and_saveexec_b32 s6, s0
	s_cbranch_execnz .LBB25_60
; %bb.56:                               ;   in Loop: Header=BB25_55 Depth=1
	s_or_b32 exec_lo, exec_lo, s6
	s_and_saveexec_b32 s6, s1
	s_cbranch_execnz .LBB25_61
.LBB25_57:                              ;   in Loop: Header=BB25_55 Depth=1
	s_or_b32 exec_lo, exec_lo, s6
	s_and_saveexec_b32 s6, s2
	s_cbranch_execnz .LBB25_62
.LBB25_58:                              ;   in Loop: Header=BB25_55 Depth=1
	s_or_b32 exec_lo, exec_lo, s6
	s_and_saveexec_b32 s6, s3
	s_cbranch_execnz .LBB25_63
.LBB25_59:                              ;   in Loop: Header=BB25_55 Depth=1
	s_or_b32 exec_lo, exec_lo, s6
	s_and_saveexec_b32 s3, vcc_lo
	s_cbranch_execz .LBB25_54
	s_branch .LBB25_64
.LBB25_60:                              ;   in Loop: Header=BB25_55 Depth=1
	ds_load_b32 v10, v6 offset:6144
	s_waitcnt lgkmcnt(0)
	v_add_nc_u32_e32 v9, v10, v9
	s_or_b32 exec_lo, exec_lo, s6
	s_and_saveexec_b32 s6, s1
	s_cbranch_execz .LBB25_57
.LBB25_61:                              ;   in Loop: Header=BB25_55 Depth=1
	ds_load_b32 v10, v6 offset:6148
	s_waitcnt lgkmcnt(0)
	v_add_nc_u32_e32 v9, v10, v9
	s_or_b32 exec_lo, exec_lo, s6
	s_and_saveexec_b32 s6, s2
	s_cbranch_execz .LBB25_58
.LBB25_62:                              ;   in Loop: Header=BB25_55 Depth=1
	ds_load_b32 v10, v6 offset:6152
	s_waitcnt lgkmcnt(0)
	v_add_nc_u32_e32 v9, v10, v9
	s_or_b32 exec_lo, exec_lo, s6
	s_and_saveexec_b32 s6, s3
	s_cbranch_execz .LBB25_59
.LBB25_63:                              ;   in Loop: Header=BB25_55 Depth=1
	s_delay_alu instid0(VALU_DEP_1) | instskip(NEXT) | instid1(VALU_DEP_1)
	v_add3_u32 v10, v7, -1, v9
	v_lshl_add_u32 v11, v10, 2, 0
	v_lshl_add_u32 v10, v10, 3, 0
	ds_store_b32 v11, v8
	ds_store_b64 v10, v[2:3] offset:2048
	s_or_b32 exec_lo, exec_lo, s6
	s_and_saveexec_b32 s3, vcc_lo
	s_cbranch_execz .LBB25_54
.LBB25_64:                              ;   in Loop: Header=BB25_55 Depth=1
	ds_store_b32 v6, v9 offset:6156
	s_branch .LBB25_54
.LBB25_65:
	s_or_b32 exec_lo, exec_lo, s4
	s_ashr_i32 s15, s14, 31
	s_mov_b32 s3, exec_lo
	s_lshl_b64 s[0:1], s[14:15], 2
	s_delay_alu instid0(SALU_CYCLE_1) | instskip(SKIP_4) | instid1(SALU_CYCLE_1)
	s_add_u32 s0, s10, s0
	s_addc_u32 s1, s11, s1
	s_load_b64 s[0:1], s[0:1], 0x0
	s_waitcnt lgkmcnt(0)
	s_sub_i32 s2, s1, s0
	v_cmpx_gt_i32_e64 s2, v0
	s_cbranch_execz .LBB25_75
; %bb.66:
	s_sub_i32 s3, s0, s26
	s_sub_i32 s0, s0, s1
	s_and_b32 s1, s2, 7
	s_cmp_lt_u32 s0, -7
	s_mov_b32 s7, 0
	s_cselect_b32 s4, -1, 0
	s_and_b32 s5, s2, -8
	s_cmp_lg_u32 s1, 0
	s_cselect_b32 s6, -1, 0
	s_branch .LBB25_68
.LBB25_67:                              ;   in Loop: Header=BB25_68 Depth=1
	s_waitcnt lgkmcnt(1)
	s_delay_alu instid0(VALU_DEP_1) | instskip(SKIP_1) | instid1(VALU_DEP_2)
	v_ashrrev_i32_e32 v4, 31, v3
	v_add_nc_u32_e32 v0, 0x100, v0
	v_lshlrev_b64 v[3:4], 3, v[3:4]
	s_delay_alu instid0(VALU_DEP_2) | instskip(SKIP_1) | instid1(VALU_DEP_2)
	v_cmp_le_i32_e32 vcc_lo, s2, v0
	s_or_b32 s7, vcc_lo, s7
	v_add_co_u32 v3, s0, s12, v3
	s_delay_alu instid0(VALU_DEP_1)
	v_add_co_ci_u32_e64 v4, s0, s13, v4, s0
	s_waitcnt lgkmcnt(0)
	global_store_b64 v[3:4], v[1:2], off
	s_and_not1_b32 exec_lo, exec_lo, s7
	s_cbranch_execz .LBB25_75
.LBB25_68:                              ; =>This Loop Header: Depth=1
                                        ;     Child Loop BB25_70 Depth 2
                                        ;     Child Loop BB25_74 Depth 2
	v_lshlrev_b32_e32 v1, 2, v0
	s_and_not1_b32 vcc_lo, exec_lo, s4
	s_mov_b32 s0, 0
	s_delay_alu instid0(VALU_DEP_1) | instskip(NEXT) | instid1(VALU_DEP_1)
	v_dual_mov_b32 v3, s3 :: v_dual_add_nc_u32 v2, 0, v1
	v_add_nc_u32_e32 v1, v2, v1
	ds_load_b32 v4, v2
	ds_load_b64 v[1:2], v1 offset:2048
	s_cbranch_vccnz .LBB25_72
; %bb.69:                               ;   in Loop: Header=BB25_68 Depth=1
	v_mov_b32_e32 v3, s3
	s_mov_b32 s8, 0
	s_set_inst_prefetch_distance 0x1
	.p2align	6
.LBB25_70:                              ;   Parent Loop BB25_68 Depth=1
                                        ; =>  This Inner Loop Header: Depth=2
	v_mov_b32_e32 v11, s8
	s_add_i32 s0, s0, 8
	s_add_i32 s8, s8, 32
	s_cmp_eq_u32 s5, s0
	ds_load_2addr_b32 v[5:6], v11 offset1:1
	ds_load_2addr_b32 v[7:8], v11 offset0:2 offset1:3
	ds_load_2addr_b32 v[9:10], v11 offset0:4 offset1:5
	;; [unrolled: 1-line block ×3, first 2 shown]
	s_waitcnt lgkmcnt(3)
	v_cmp_gt_i32_e32 vcc_lo, v4, v5
	v_cndmask_b32_e64 v5, 0, 1, vcc_lo
	s_waitcnt lgkmcnt(2)
	v_cmp_gt_i32_e32 vcc_lo, v4, v7
	v_cndmask_b32_e64 v7, 0, 1, vcc_lo
	v_cmp_gt_i32_e32 vcc_lo, v4, v6
	v_add_co_ci_u32_e32 v3, vcc_lo, v3, v5, vcc_lo
	s_waitcnt lgkmcnt(1)
	v_cmp_gt_i32_e32 vcc_lo, v4, v9
	v_cndmask_b32_e64 v5, 0, 1, vcc_lo
	v_cmp_gt_i32_e32 vcc_lo, v4, v8
	v_add_co_ci_u32_e32 v3, vcc_lo, v3, v7, vcc_lo
	;; [unrolled: 5-line block ×3, first 2 shown]
	v_cmp_gt_i32_e32 vcc_lo, v4, v12
	s_delay_alu instid0(VALU_DEP_2)
	v_add_co_ci_u32_e32 v3, vcc_lo, v3, v6, vcc_lo
	s_cbranch_scc0 .LBB25_70
; %bb.71:                               ;   in Loop: Header=BB25_68 Depth=1
	s_set_inst_prefetch_distance 0x2
	s_mov_b32 s0, s5
.LBB25_72:                              ;   in Loop: Header=BB25_68 Depth=1
	s_and_not1_b32 vcc_lo, exec_lo, s6
	s_cbranch_vccnz .LBB25_67
; %bb.73:                               ;   in Loop: Header=BB25_68 Depth=1
	s_lshl_b32 s0, s0, 2
	s_mov_b32 s8, s1
	s_add_i32 s0, s0, 0
.LBB25_74:                              ;   Parent Loop BB25_68 Depth=1
                                        ; =>  This Inner Loop Header: Depth=2
	s_delay_alu instid0(SALU_CYCLE_1)
	v_mov_b32_e32 v5, s0
	s_add_i32 s8, s8, -1
	s_add_i32 s0, s0, 4
	s_cmp_lg_u32 s8, 0
	ds_load_b32 v5, v5
	s_waitcnt lgkmcnt(0)
	v_cmp_gt_i32_e32 vcc_lo, v4, v5
	v_add_co_ci_u32_e32 v3, vcc_lo, 0, v3, vcc_lo
	s_cbranch_scc1 .LBB25_74
	s_branch .LBB25_67
.LBB25_75:
	s_nop 0
	s_sendmsg sendmsg(MSG_DEALLOC_VGPRS)
	s_endpgm
	.section	.rodata,"a",@progbits
	.p2align	6, 0x0
	.amdhsa_kernel _ZN9rocsparseL41csrgemm_numeric_fill_block_per_row_kernelILj256ELj32ELj512ELj137ELj64EiidEEvT5_PKS1_S3_NS_24const_host_device_scalarIT6_EEPKT4_S3_PKS5_S9_S3_SB_S6_S9_S3_SB_S9_S3_PS5_21rocsparse_index_base_SD_SD_SD_bbb
		.amdhsa_group_segment_fixed_size 0
		.amdhsa_private_segment_fixed_size 0
		.amdhsa_kernarg_size 156
		.amdhsa_user_sgpr_count 15
		.amdhsa_user_sgpr_dispatch_ptr 0
		.amdhsa_user_sgpr_queue_ptr 0
		.amdhsa_user_sgpr_kernarg_segment_ptr 1
		.amdhsa_user_sgpr_dispatch_id 0
		.amdhsa_user_sgpr_private_segment_size 0
		.amdhsa_wavefront_size32 1
		.amdhsa_uses_dynamic_stack 0
		.amdhsa_enable_private_segment 0
		.amdhsa_system_sgpr_workgroup_id_x 1
		.amdhsa_system_sgpr_workgroup_id_y 0
		.amdhsa_system_sgpr_workgroup_id_z 0
		.amdhsa_system_sgpr_workgroup_info 0
		.amdhsa_system_vgpr_workitem_id 0
		.amdhsa_next_free_vgpr 23
		.amdhsa_next_free_sgpr 40
		.amdhsa_reserve_vcc 1
		.amdhsa_float_round_mode_32 0
		.amdhsa_float_round_mode_16_64 0
		.amdhsa_float_denorm_mode_32 3
		.amdhsa_float_denorm_mode_16_64 3
		.amdhsa_dx10_clamp 1
		.amdhsa_ieee_mode 1
		.amdhsa_fp16_overflow 0
		.amdhsa_workgroup_processor_mode 1
		.amdhsa_memory_ordered 1
		.amdhsa_forward_progress 0
		.amdhsa_shared_vgpr_count 0
		.amdhsa_exception_fp_ieee_invalid_op 0
		.amdhsa_exception_fp_denorm_src 0
		.amdhsa_exception_fp_ieee_div_zero 0
		.amdhsa_exception_fp_ieee_overflow 0
		.amdhsa_exception_fp_ieee_underflow 0
		.amdhsa_exception_fp_ieee_inexact 0
		.amdhsa_exception_int_div_zero 0
	.end_amdhsa_kernel
	.section	.text._ZN9rocsparseL41csrgemm_numeric_fill_block_per_row_kernelILj256ELj32ELj512ELj137ELj64EiidEEvT5_PKS1_S3_NS_24const_host_device_scalarIT6_EEPKT4_S3_PKS5_S9_S3_SB_S6_S9_S3_SB_S9_S3_PS5_21rocsparse_index_base_SD_SD_SD_bbb,"axG",@progbits,_ZN9rocsparseL41csrgemm_numeric_fill_block_per_row_kernelILj256ELj32ELj512ELj137ELj64EiidEEvT5_PKS1_S3_NS_24const_host_device_scalarIT6_EEPKT4_S3_PKS5_S9_S3_SB_S6_S9_S3_SB_S9_S3_PS5_21rocsparse_index_base_SD_SD_SD_bbb,comdat
.Lfunc_end25:
	.size	_ZN9rocsparseL41csrgemm_numeric_fill_block_per_row_kernelILj256ELj32ELj512ELj137ELj64EiidEEvT5_PKS1_S3_NS_24const_host_device_scalarIT6_EEPKT4_S3_PKS5_S9_S3_SB_S6_S9_S3_SB_S9_S3_PS5_21rocsparse_index_base_SD_SD_SD_bbb, .Lfunc_end25-_ZN9rocsparseL41csrgemm_numeric_fill_block_per_row_kernelILj256ELj32ELj512ELj137ELj64EiidEEvT5_PKS1_S3_NS_24const_host_device_scalarIT6_EEPKT4_S3_PKS5_S9_S3_SB_S6_S9_S3_SB_S9_S3_PS5_21rocsparse_index_base_SD_SD_SD_bbb
                                        ; -- End function
	.section	.AMDGPU.csdata,"",@progbits
; Kernel info:
; codeLenInByte = 2920
; NumSgprs: 42
; NumVgprs: 23
; ScratchSize: 0
; MemoryBound: 0
; FloatMode: 240
; IeeeMode: 1
; LDSByteSize: 0 bytes/workgroup (compile time only)
; SGPRBlocks: 5
; VGPRBlocks: 2
; NumSGPRsForWavesPerEU: 42
; NumVGPRsForWavesPerEU: 23
; Occupancy: 16
; WaveLimiterHint : 1
; COMPUTE_PGM_RSRC2:SCRATCH_EN: 0
; COMPUTE_PGM_RSRC2:USER_SGPR: 15
; COMPUTE_PGM_RSRC2:TRAP_HANDLER: 0
; COMPUTE_PGM_RSRC2:TGID_X_EN: 1
; COMPUTE_PGM_RSRC2:TGID_Y_EN: 0
; COMPUTE_PGM_RSRC2:TGID_Z_EN: 0
; COMPUTE_PGM_RSRC2:TIDIG_COMP_CNT: 0
	.section	.text._ZN9rocsparseL41csrgemm_numeric_fill_block_per_row_kernelILj512ELj32ELj1024ELj137ELj32EiidEEvT5_PKS1_S3_NS_24const_host_device_scalarIT6_EEPKT4_S3_PKS5_S9_S3_SB_S6_S9_S3_SB_S9_S3_PS5_21rocsparse_index_base_SD_SD_SD_bbb,"axG",@progbits,_ZN9rocsparseL41csrgemm_numeric_fill_block_per_row_kernelILj512ELj32ELj1024ELj137ELj32EiidEEvT5_PKS1_S3_NS_24const_host_device_scalarIT6_EEPKT4_S3_PKS5_S9_S3_SB_S6_S9_S3_SB_S9_S3_PS5_21rocsparse_index_base_SD_SD_SD_bbb,comdat
	.globl	_ZN9rocsparseL41csrgemm_numeric_fill_block_per_row_kernelILj512ELj32ELj1024ELj137ELj32EiidEEvT5_PKS1_S3_NS_24const_host_device_scalarIT6_EEPKT4_S3_PKS5_S9_S3_SB_S6_S9_S3_SB_S9_S3_PS5_21rocsparse_index_base_SD_SD_SD_bbb ; -- Begin function _ZN9rocsparseL41csrgemm_numeric_fill_block_per_row_kernelILj512ELj32ELj1024ELj137ELj32EiidEEvT5_PKS1_S3_NS_24const_host_device_scalarIT6_EEPKT4_S3_PKS5_S9_S3_SB_S6_S9_S3_SB_S9_S3_PS5_21rocsparse_index_base_SD_SD_SD_bbb
	.p2align	8
	.type	_ZN9rocsparseL41csrgemm_numeric_fill_block_per_row_kernelILj512ELj32ELj1024ELj137ELj32EiidEEvT5_PKS1_S3_NS_24const_host_device_scalarIT6_EEPKT4_S3_PKS5_S9_S3_SB_S6_S9_S3_SB_S9_S3_PS5_21rocsparse_index_base_SD_SD_SD_bbb,@function
_ZN9rocsparseL41csrgemm_numeric_fill_block_per_row_kernelILj512ELj32ELj1024ELj137ELj32EiidEEvT5_PKS1_S3_NS_24const_host_device_scalarIT6_EEPKT4_S3_PKS5_S9_S3_SB_S6_S9_S3_SB_S9_S3_PS5_21rocsparse_index_base_SD_SD_SD_bbb: ; @_ZN9rocsparseL41csrgemm_numeric_fill_block_per_row_kernelILj512ELj32ELj1024ELj137ELj32EiidEEvT5_PKS1_S3_NS_24const_host_device_scalarIT6_EEPKT4_S3_PKS5_S9_S3_SB_S6_S9_S3_SB_S9_S3_PS5_21rocsparse_index_base_SD_SD_SD_bbb
; %bb.0:
	s_clause 0x3
	s_load_b32 s12, s[0:1], 0x98
	s_load_b64 s[4:5], s[0:1], 0x18
	s_load_b128 s[24:27], s[0:1], 0x88
	s_load_b64 s[2:3], s[0:1], 0x50
	s_waitcnt lgkmcnt(0)
	s_and_b32 s6, 1, s12
	s_bitcmp1_b32 s12, 16
	s_cselect_b32 s14, -1, 0
	s_cmp_eq_u32 s6, 1
	s_cselect_b32 s13, -1, 0
	s_delay_alu instid0(SALU_CYCLE_1)
	s_and_b32 s6, s13, exec_lo
	s_cselect_b32 s7, s5, 0
	s_cselect_b32 s6, s4, 0
	s_xor_b32 s8, s13, -1
	v_dual_mov_b32 v3, s6 :: v_dual_mov_b32 v4, s7
	s_or_b32 s8, s8, s14
	s_delay_alu instid0(SALU_CYCLE_1)
	s_and_b32 vcc_lo, exec_lo, s8
	s_cbranch_vccnz .LBB26_2
; %bb.1:
	v_dual_mov_b32 v1, s4 :: v_dual_mov_b32 v2, s5
	flat_load_b64 v[3:4], v[1:2]
.LBB26_2:
	s_clause 0x4
	s_load_b64 s[34:35], s[0:1], 0x80
	s_load_b256 s[16:23], s[0:1], 0x58
	s_load_b128 s[28:31], s[0:1], 0x40
	s_load_b128 s[36:39], s[0:1], 0x8
	s_load_b256 s[4:11], s[0:1], 0x20
	s_bitcmp1_b32 s12, 8
	s_cselect_b32 s12, -1, 0
	s_delay_alu instid0(SALU_CYCLE_1)
	s_and_b32 s33, s12, exec_lo
	s_cselect_b32 s41, s3, 0
	s_cselect_b32 s40, s2, 0
	s_xor_b32 s33, s12, -1
	v_dual_mov_b32 v1, s40 :: v_dual_mov_b32 v2, s41
	s_or_b32 s14, s33, s14
	s_delay_alu instid0(SALU_CYCLE_1)
	s_and_b32 vcc_lo, exec_lo, s14
	s_cbranch_vccnz .LBB26_4
; %bb.3:
	v_dual_mov_b32 v1, s2 :: v_dual_mov_b32 v2, s3
	flat_load_b64 v[1:2], v[1:2]
.LBB26_4:
	s_load_b32 s33, s[0:1], 0x0
	v_dual_mov_b32 v5, 0 :: v_dual_lshlrev_b32 v6, 3, v0
	v_lshl_add_u32 v15, v0, 2, 0
	v_or_b32_e32 v16, 0xfffffe00, v0
	s_mov_b32 s0, 0
	s_delay_alu instid0(VALU_DEP_3) | instskip(NEXT) | instid1(VALU_DEP_3)
	v_add3_u32 v17, v6, 0, 0x1000
	v_dual_mov_b32 v6, v5 :: v_dual_mov_b32 v7, v15
	s_delay_alu instid0(VALU_DEP_3) | instskip(SKIP_1) | instid1(VALU_DEP_3)
	v_mov_b32_e32 v8, v16
	s_waitcnt lgkmcnt(0)
	v_dual_mov_b32 v10, v17 :: v_dual_mov_b32 v9, s33
.LBB26_5:                               ; =>This Inner Loop Header: Depth=1
	s_delay_alu instid0(VALU_DEP_2) | instskip(NEXT) | instid1(VALU_DEP_1)
	v_add_co_u32 v8, s1, 0x200, v8
	s_xor_b32 s1, s1, -1
	ds_store_b32 v7, v9
	ds_store_b64 v10, v[5:6]
	v_add_nc_u32_e32 v10, 0x1000, v10
	v_add_nc_u32_e32 v7, 0x800, v7
	s_and_b32 s1, exec_lo, s1
	s_delay_alu instid0(SALU_CYCLE_1) | instskip(NEXT) | instid1(SALU_CYCLE_1)
	s_or_b32 s0, s1, s0
	s_and_not1_b32 exec_lo, exec_lo, s0
	s_cbranch_execnz .LBB26_5
; %bb.6:
	s_or_b32 exec_lo, exec_lo, s0
	s_waitcnt vmcnt(0) lgkmcnt(0)
	s_barrier
	buffer_gl0_inv
	s_load_b32 s0, s[36:37], 0x0
	s_mov_b32 s1, 0
	v_lshrrev_b32_e32 v18, 5, v0
	s_waitcnt lgkmcnt(0)
	s_add_i32 s0, s0, s15
	s_delay_alu instid0(SALU_CYCLE_1) | instskip(NEXT) | instid1(SALU_CYCLE_1)
	s_lshl_b64 s[0:1], s[0:1], 2
	s_add_u32 s0, s38, s0
	s_addc_u32 s1, s39, s1
	s_and_b32 vcc_lo, exec_lo, s13
	s_load_b32 s36, s[0:1], 0x0
	s_cbranch_vccz .LBB26_30
; %bb.7:
	s_waitcnt lgkmcnt(0)
	s_ashr_i32 s37, s36, 31
	v_subrev_nc_u32_e32 v5, s24, v18
	s_lshl_b64 s[0:1], s[36:37], 2
	s_delay_alu instid0(SALU_CYCLE_1)
	s_add_u32 s0, s4, s0
	s_addc_u32 s1, s5, s1
	s_load_b64 s[0:1], s[0:1], 0x0
	s_waitcnt lgkmcnt(0)
	v_add_nc_u32_e32 v5, s0, v5
	s_sub_i32 s0, s1, s24
	s_mov_b32 s1, exec_lo
	s_delay_alu instid0(VALU_DEP_1)
	v_cmpx_gt_i32_e64 s0, v5
	s_cbranch_execz .LBB26_29
; %bb.8:
	v_and_b32_e32 v6, 31, v0
	s_mov_b32 s2, 0
	s_delay_alu instid0(VALU_DEP_1)
	v_subrev_nc_u32_e32 v19, s25, v6
	s_branch .LBB26_10
.LBB26_9:                               ;   in Loop: Header=BB26_10 Depth=1
	s_or_b32 exec_lo, exec_lo, s3
	v_add_nc_u32_e32 v5, 16, v5
	s_delay_alu instid0(VALU_DEP_1) | instskip(SKIP_1) | instid1(SALU_CYCLE_1)
	v_cmp_le_i32_e32 vcc_lo, s0, v5
	s_or_b32 s2, vcc_lo, s2
	s_and_not1_b32 exec_lo, exec_lo, s2
	s_cbranch_execz .LBB26_29
.LBB26_10:                              ; =>This Loop Header: Depth=1
                                        ;     Child Loop BB26_13 Depth 2
                                        ;       Child Loop BB26_15 Depth 3
                                        ;         Child Loop BB26_21 Depth 4
                                        ;         Child Loop BB26_27 Depth 4
	v_ashrrev_i32_e32 v6, 31, v5
	s_mov_b32 s3, exec_lo
	s_delay_alu instid0(VALU_DEP_1) | instskip(NEXT) | instid1(VALU_DEP_1)
	v_lshlrev_b64 v[7:8], 2, v[5:6]
	v_add_co_u32 v7, vcc_lo, s6, v7
	s_delay_alu instid0(VALU_DEP_2) | instskip(SKIP_3) | instid1(VALU_DEP_1)
	v_add_co_ci_u32_e32 v8, vcc_lo, s7, v8, vcc_lo
	global_load_b32 v7, v[7:8], off
	s_waitcnt vmcnt(0)
	v_subrev_nc_u32_e32 v7, s24, v7
	v_ashrrev_i32_e32 v8, 31, v7
	s_delay_alu instid0(VALU_DEP_1) | instskip(NEXT) | instid1(VALU_DEP_1)
	v_lshlrev_b64 v[7:8], 2, v[7:8]
	v_add_co_u32 v7, vcc_lo, s10, v7
	s_delay_alu instid0(VALU_DEP_2) | instskip(SKIP_4) | instid1(VALU_DEP_1)
	v_add_co_ci_u32_e32 v8, vcc_lo, s11, v8, vcc_lo
	global_load_b64 v[7:8], v[7:8], off
	s_waitcnt vmcnt(0)
	v_subrev_nc_u32_e32 v20, s25, v8
	v_add_nc_u32_e32 v7, v7, v19
	v_cmpx_lt_i32_e64 v7, v20
	s_cbranch_execz .LBB26_9
; %bb.11:                               ;   in Loop: Header=BB26_10 Depth=1
	v_lshlrev_b64 v[8:9], 3, v[5:6]
	s_mov_b32 s4, 0
	s_delay_alu instid0(VALU_DEP_1) | instskip(NEXT) | instid1(VALU_DEP_2)
	v_add_co_u32 v8, vcc_lo, s8, v8
	v_add_co_ci_u32_e32 v9, vcc_lo, s9, v9, vcc_lo
	global_load_b64 v[8:9], v[8:9], off
	s_waitcnt vmcnt(0)
	v_mul_f64 v[9:10], v[3:4], v[8:9]
	s_branch .LBB26_13
.LBB26_12:                              ;   in Loop: Header=BB26_13 Depth=2
	s_or_b32 exec_lo, exec_lo, s5
	v_add_nc_u32_e32 v7, 32, v7
	s_delay_alu instid0(VALU_DEP_1) | instskip(SKIP_1) | instid1(SALU_CYCLE_1)
	v_cmp_ge_i32_e32 vcc_lo, v7, v20
	s_or_b32 s4, vcc_lo, s4
	s_and_not1_b32 exec_lo, exec_lo, s4
	s_cbranch_execz .LBB26_9
.LBB26_13:                              ;   Parent Loop BB26_10 Depth=1
                                        ; =>  This Loop Header: Depth=2
                                        ;       Child Loop BB26_15 Depth 3
                                        ;         Child Loop BB26_21 Depth 4
                                        ;         Child Loop BB26_27 Depth 4
	v_ashrrev_i32_e32 v8, 31, v7
	s_mov_b32 s5, 0
	s_delay_alu instid0(VALU_DEP_1) | instskip(SKIP_1) | instid1(VALU_DEP_2)
	v_lshlrev_b64 v[11:12], 3, v[7:8]
	v_lshlrev_b64 v[13:14], 2, v[7:8]
	v_add_co_u32 v11, vcc_lo, s30, v11
	s_delay_alu instid0(VALU_DEP_3) | instskip(NEXT) | instid1(VALU_DEP_3)
	v_add_co_ci_u32_e32 v12, vcc_lo, s31, v12, vcc_lo
	v_add_co_u32 v13, vcc_lo, s28, v13
	s_delay_alu instid0(VALU_DEP_4)
	v_add_co_ci_u32_e32 v14, vcc_lo, s29, v14, vcc_lo
	global_load_b64 v[11:12], v[11:12], off
	global_load_b32 v6, v[13:14], off
	s_waitcnt vmcnt(1)
	v_mul_f64 v[11:12], v[9:10], v[11:12]
	s_waitcnt vmcnt(0)
	v_subrev_nc_u32_e32 v6, s25, v6
	s_delay_alu instid0(VALU_DEP_1) | instskip(NEXT) | instid1(VALU_DEP_1)
	v_mul_lo_u32 v8, 0x89, v6
	v_and_b32_e32 v8, 0x3ff, v8
	s_branch .LBB26_15
.LBB26_14:                              ;   in Loop: Header=BB26_15 Depth=3
	s_or_b32 exec_lo, exec_lo, s13
	s_xor_b32 s13, s14, -1
	s_delay_alu instid0(SALU_CYCLE_1) | instskip(NEXT) | instid1(SALU_CYCLE_1)
	s_and_b32 s13, exec_lo, s13
	s_or_b32 s5, s13, s5
	s_delay_alu instid0(SALU_CYCLE_1)
	s_and_not1_b32 exec_lo, exec_lo, s5
	s_cbranch_execz .LBB26_12
.LBB26_15:                              ;   Parent Loop BB26_10 Depth=1
                                        ;     Parent Loop BB26_13 Depth=2
                                        ; =>    This Loop Header: Depth=3
                                        ;         Child Loop BB26_21 Depth 4
                                        ;         Child Loop BB26_27 Depth 4
	s_delay_alu instid0(VALU_DEP_1)
	v_lshl_add_u32 v13, v8, 2, 0
	s_mov_b32 s13, exec_lo
                                        ; implicit-def: $sgpr14
	ds_load_b32 v14, v13
	s_waitcnt lgkmcnt(0)
	v_cmpx_ne_u32_e64 v14, v6
	s_xor_b32 s13, exec_lo, s13
	s_cbranch_execz .LBB26_25
; %bb.16:                               ;   in Loop: Header=BB26_15 Depth=3
	s_mov_b32 s15, exec_lo
                                        ; implicit-def: $sgpr14
	v_cmpx_ne_u32_e64 s33, v14
	s_xor_b32 s15, exec_lo, s15
; %bb.17:                               ;   in Loop: Header=BB26_15 Depth=3
	v_add_nc_u32_e32 v8, 1, v8
	s_mov_b32 s14, -1
                                        ; implicit-def: $vgpr13
	s_delay_alu instid0(VALU_DEP_1)
	v_and_b32_e32 v8, 0x3ff, v8
; %bb.18:                               ;   in Loop: Header=BB26_15 Depth=3
	s_and_not1_saveexec_b32 s15, s15
	s_cbranch_execz .LBB26_24
; %bb.19:                               ;   in Loop: Header=BB26_15 Depth=3
	v_mov_b32_e32 v14, s33
	s_mov_b32 s38, -1
	s_mov_b32 s37, exec_lo
	ds_cmpstore_rtn_b32 v14, v13, v6, v14
	s_waitcnt lgkmcnt(0)
	v_cmpx_eq_u32_e64 s33, v14
	s_cbranch_execz .LBB26_23
; %bb.20:                               ;   in Loop: Header=BB26_15 Depth=3
	v_lshlrev_b32_e32 v14, 2, v8
	s_mov_b32 s38, 0
	s_delay_alu instid0(VALU_DEP_1)
	v_add_nc_u32_e32 v21, v13, v14
	ds_load_b64 v[13:14], v21 offset:4096
.LBB26_21:                              ;   Parent Loop BB26_10 Depth=1
                                        ;     Parent Loop BB26_13 Depth=2
                                        ;       Parent Loop BB26_15 Depth=3
                                        ; =>      This Inner Loop Header: Depth=4
	s_waitcnt lgkmcnt(0)
	v_add_f64 v[22:23], v[13:14], v[11:12]
	ds_cmpstore_rtn_b64 v[22:23], v21, v[22:23], v[13:14] offset:4096
	s_waitcnt lgkmcnt(0)
	v_cmp_eq_u64_e32 vcc_lo, v[22:23], v[13:14]
	v_dual_mov_b32 v13, v22 :: v_dual_mov_b32 v14, v23
	s_or_b32 s38, vcc_lo, s38
	s_delay_alu instid0(SALU_CYCLE_1)
	s_and_not1_b32 exec_lo, exec_lo, s38
	s_cbranch_execnz .LBB26_21
; %bb.22:                               ;   in Loop: Header=BB26_15 Depth=3
	s_or_b32 exec_lo, exec_lo, s38
	s_delay_alu instid0(SALU_CYCLE_1)
	s_xor_b32 s38, exec_lo, -1
.LBB26_23:                              ;   in Loop: Header=BB26_15 Depth=3
	s_or_b32 exec_lo, exec_lo, s37
	s_delay_alu instid0(SALU_CYCLE_1) | instskip(SKIP_1) | instid1(SALU_CYCLE_1)
	s_and_not1_b32 s14, s14, exec_lo
	s_and_b32 s37, s38, exec_lo
	s_or_b32 s14, s14, s37
.LBB26_24:                              ;   in Loop: Header=BB26_15 Depth=3
	s_or_b32 exec_lo, exec_lo, s15
	s_delay_alu instid0(SALU_CYCLE_1)
	s_and_b32 s14, s14, exec_lo
                                        ; implicit-def: $vgpr13
.LBB26_25:                              ;   in Loop: Header=BB26_15 Depth=3
	s_and_not1_saveexec_b32 s13, s13
	s_cbranch_execz .LBB26_14
; %bb.26:                               ;   in Loop: Header=BB26_15 Depth=3
	v_lshlrev_b32_e32 v14, 2, v8
	s_mov_b32 s15, 0
	s_delay_alu instid0(VALU_DEP_1)
	v_add_nc_u32_e32 v21, v13, v14
	ds_load_b64 v[13:14], v21 offset:4096
.LBB26_27:                              ;   Parent Loop BB26_10 Depth=1
                                        ;     Parent Loop BB26_13 Depth=2
                                        ;       Parent Loop BB26_15 Depth=3
                                        ; =>      This Inner Loop Header: Depth=4
	s_waitcnt lgkmcnt(0)
	v_add_f64 v[22:23], v[13:14], v[11:12]
	ds_cmpstore_rtn_b64 v[22:23], v21, v[22:23], v[13:14] offset:4096
	s_waitcnt lgkmcnt(0)
	v_cmp_eq_u64_e32 vcc_lo, v[22:23], v[13:14]
	v_dual_mov_b32 v13, v22 :: v_dual_mov_b32 v14, v23
	s_or_b32 s15, vcc_lo, s15
	s_delay_alu instid0(SALU_CYCLE_1)
	s_and_not1_b32 exec_lo, exec_lo, s15
	s_cbranch_execnz .LBB26_27
; %bb.28:                               ;   in Loop: Header=BB26_15 Depth=3
	s_or_b32 exec_lo, exec_lo, s15
	s_delay_alu instid0(SALU_CYCLE_1)
	s_and_not1_b32 s14, s14, exec_lo
	s_branch .LBB26_14
.LBB26_29:
	s_or_b32 exec_lo, exec_lo, s1
.LBB26_30:
	s_delay_alu instid0(SALU_CYCLE_1)
	s_and_not1_b32 vcc_lo, exec_lo, s12
	s_cbranch_vccnz .LBB26_51
; %bb.31:
	s_waitcnt lgkmcnt(0)
	s_ashr_i32 s37, s36, 31
	v_subrev_nc_u32_e32 v3, s27, v0
	s_lshl_b64 s[0:1], s[36:37], 2
	s_delay_alu instid0(SALU_CYCLE_1)
	s_add_u32 s0, s16, s0
	s_addc_u32 s1, s17, s1
	s_load_b64 s[0:1], s[0:1], 0x0
	s_waitcnt lgkmcnt(0)
	v_add_nc_u32_e32 v3, s0, v3
	s_sub_i32 s0, s1, s27
	s_mov_b32 s1, exec_lo
	s_delay_alu instid0(VALU_DEP_1)
	v_cmpx_gt_i32_e64 s0, v3
	s_cbranch_execz .LBB26_50
; %bb.32:
	s_mov_b32 s2, 0
	s_branch .LBB26_34
.LBB26_33:                              ;   in Loop: Header=BB26_34 Depth=1
	s_or_b32 exec_lo, exec_lo, s3
	v_add_nc_u32_e32 v3, 0x200, v3
	s_delay_alu instid0(VALU_DEP_1) | instskip(SKIP_1) | instid1(SALU_CYCLE_1)
	v_cmp_le_i32_e32 vcc_lo, s0, v3
	s_or_b32 s2, vcc_lo, s2
	s_and_not1_b32 exec_lo, exec_lo, s2
	s_cbranch_execz .LBB26_50
.LBB26_34:                              ; =>This Loop Header: Depth=1
                                        ;     Child Loop BB26_36 Depth 2
                                        ;       Child Loop BB26_42 Depth 3
                                        ;       Child Loop BB26_48 Depth 3
	v_ashrrev_i32_e32 v4, 31, v3
	s_mov_b32 s3, 0
	s_delay_alu instid0(VALU_DEP_1) | instskip(SKIP_1) | instid1(VALU_DEP_2)
	v_lshlrev_b64 v[5:6], 3, v[3:4]
	v_lshlrev_b64 v[7:8], 2, v[3:4]
	v_add_co_u32 v5, vcc_lo, s20, v5
	s_delay_alu instid0(VALU_DEP_3) | instskip(NEXT) | instid1(VALU_DEP_3)
	v_add_co_ci_u32_e32 v6, vcc_lo, s21, v6, vcc_lo
	v_add_co_u32 v7, vcc_lo, s18, v7
	s_delay_alu instid0(VALU_DEP_4)
	v_add_co_ci_u32_e32 v8, vcc_lo, s19, v8, vcc_lo
	global_load_b64 v[5:6], v[5:6], off
	global_load_b32 v7, v[7:8], off
	s_waitcnt vmcnt(1)
	v_mul_f64 v[4:5], v[1:2], v[5:6]
	s_waitcnt vmcnt(0)
	v_subrev_nc_u32_e32 v8, s27, v7
	s_delay_alu instid0(VALU_DEP_1) | instskip(NEXT) | instid1(VALU_DEP_1)
	v_mul_lo_u32 v6, 0x89, v8
	v_and_b32_e32 v9, 0x3ff, v6
	s_branch .LBB26_36
.LBB26_35:                              ;   in Loop: Header=BB26_36 Depth=2
	s_or_b32 exec_lo, exec_lo, s4
	s_xor_b32 s4, s5, -1
	s_delay_alu instid0(SALU_CYCLE_1) | instskip(NEXT) | instid1(SALU_CYCLE_1)
	s_and_b32 s4, exec_lo, s4
	s_or_b32 s3, s4, s3
	s_delay_alu instid0(SALU_CYCLE_1)
	s_and_not1_b32 exec_lo, exec_lo, s3
	s_cbranch_execz .LBB26_33
.LBB26_36:                              ;   Parent Loop BB26_34 Depth=1
                                        ; =>  This Loop Header: Depth=2
                                        ;       Child Loop BB26_42 Depth 3
                                        ;       Child Loop BB26_48 Depth 3
	s_delay_alu instid0(VALU_DEP_1)
	v_lshl_add_u32 v6, v9, 2, 0
	s_mov_b32 s4, exec_lo
                                        ; implicit-def: $sgpr5
	ds_load_b32 v7, v6
	s_waitcnt lgkmcnt(0)
	v_cmpx_ne_u32_e64 v7, v8
	s_xor_b32 s4, exec_lo, s4
	s_cbranch_execz .LBB26_46
; %bb.37:                               ;   in Loop: Header=BB26_36 Depth=2
	s_mov_b32 s6, exec_lo
                                        ; implicit-def: $sgpr5
	v_cmpx_ne_u32_e64 s33, v7
	s_xor_b32 s6, exec_lo, s6
; %bb.38:                               ;   in Loop: Header=BB26_36 Depth=2
	v_add_nc_u32_e32 v6, 1, v9
	s_mov_b32 s5, -1
	s_delay_alu instid0(VALU_DEP_1)
	v_and_b32_e32 v9, 0x3ff, v6
                                        ; implicit-def: $vgpr6
; %bb.39:                               ;   in Loop: Header=BB26_36 Depth=2
	s_and_not1_saveexec_b32 s6, s6
	s_cbranch_execz .LBB26_45
; %bb.40:                               ;   in Loop: Header=BB26_36 Depth=2
	v_mov_b32_e32 v7, s33
	s_mov_b32 s8, -1
	s_mov_b32 s7, exec_lo
	ds_cmpstore_rtn_b32 v7, v6, v8, v7
	s_waitcnt lgkmcnt(0)
	v_cmpx_eq_u32_e64 s33, v7
	s_cbranch_execz .LBB26_44
; %bb.41:                               ;   in Loop: Header=BB26_36 Depth=2
	v_lshlrev_b32_e32 v7, 2, v9
	s_mov_b32 s8, 0
	s_delay_alu instid0(VALU_DEP_1)
	v_add_nc_u32_e32 v10, v6, v7
	ds_load_b64 v[6:7], v10 offset:4096
.LBB26_42:                              ;   Parent Loop BB26_34 Depth=1
                                        ;     Parent Loop BB26_36 Depth=2
                                        ; =>    This Inner Loop Header: Depth=3
	s_waitcnt lgkmcnt(0)
	v_add_f64 v[11:12], v[6:7], v[4:5]
	ds_cmpstore_rtn_b64 v[11:12], v10, v[11:12], v[6:7] offset:4096
	s_waitcnt lgkmcnt(0)
	v_cmp_eq_u64_e32 vcc_lo, v[11:12], v[6:7]
	v_dual_mov_b32 v6, v11 :: v_dual_mov_b32 v7, v12
	s_or_b32 s8, vcc_lo, s8
	s_delay_alu instid0(SALU_CYCLE_1)
	s_and_not1_b32 exec_lo, exec_lo, s8
	s_cbranch_execnz .LBB26_42
; %bb.43:                               ;   in Loop: Header=BB26_36 Depth=2
	s_or_b32 exec_lo, exec_lo, s8
	s_delay_alu instid0(SALU_CYCLE_1)
	s_xor_b32 s8, exec_lo, -1
.LBB26_44:                              ;   in Loop: Header=BB26_36 Depth=2
	s_or_b32 exec_lo, exec_lo, s7
	s_delay_alu instid0(SALU_CYCLE_1) | instskip(SKIP_1) | instid1(SALU_CYCLE_1)
	s_and_not1_b32 s5, s5, exec_lo
	s_and_b32 s7, s8, exec_lo
	s_or_b32 s5, s5, s7
.LBB26_45:                              ;   in Loop: Header=BB26_36 Depth=2
	s_or_b32 exec_lo, exec_lo, s6
	s_delay_alu instid0(SALU_CYCLE_1)
	s_and_b32 s5, s5, exec_lo
                                        ; implicit-def: $vgpr6
.LBB26_46:                              ;   in Loop: Header=BB26_36 Depth=2
	s_and_not1_saveexec_b32 s4, s4
	s_cbranch_execz .LBB26_35
; %bb.47:                               ;   in Loop: Header=BB26_36 Depth=2
	v_lshlrev_b32_e32 v7, 2, v9
	s_mov_b32 s6, 0
	s_delay_alu instid0(VALU_DEP_1)
	v_add_nc_u32_e32 v10, v6, v7
	ds_load_b64 v[6:7], v10 offset:4096
.LBB26_48:                              ;   Parent Loop BB26_34 Depth=1
                                        ;     Parent Loop BB26_36 Depth=2
                                        ; =>    This Inner Loop Header: Depth=3
	s_waitcnt lgkmcnt(0)
	v_add_f64 v[11:12], v[6:7], v[4:5]
	ds_cmpstore_rtn_b64 v[11:12], v10, v[11:12], v[6:7] offset:4096
	s_waitcnt lgkmcnt(0)
	v_cmp_eq_u64_e32 vcc_lo, v[11:12], v[6:7]
	v_dual_mov_b32 v6, v11 :: v_dual_mov_b32 v7, v12
	s_or_b32 s6, vcc_lo, s6
	s_delay_alu instid0(SALU_CYCLE_1)
	s_and_not1_b32 exec_lo, exec_lo, s6
	s_cbranch_execnz .LBB26_48
; %bb.49:                               ;   in Loop: Header=BB26_36 Depth=2
	s_or_b32 exec_lo, exec_lo, s6
	s_delay_alu instid0(SALU_CYCLE_1)
	s_and_not1_b32 s5, s5, exec_lo
	s_branch .LBB26_35
.LBB26_50:
	s_or_b32 exec_lo, exec_lo, s1
.LBB26_51:
	v_mbcnt_lo_u32_b32 v1, -1, 0
	v_lshl_add_u32 v4, v18, 2, 0
	v_cmp_eq_u32_e32 vcc_lo, 0x1ff, v0
	v_cmp_lt_u32_e64 s0, 31, v0
	v_cmp_lt_u32_e64 s1, 63, v0
	v_xor_b32_e32 v1, 63, v1
	v_cmp_lt_u32_e64 s2, 0x5f, v0
	v_cmp_lt_u32_e64 s3, 0x7f, v0
	v_cmp_lt_u32_e64 s4, 0x9f, v0
	v_cmp_lt_u32_e64 s5, 0xbf, v0
	v_lshrrev_b64 v[1:2], v1, -1
	v_cmp_lt_u32_e64 s6, 0xdf, v0
	v_cmp_lt_u32_e64 s7, 0xff, v0
	;; [unrolled: 1-line block ×9, first 2 shown]
	v_dual_mov_b32 v5, 0 :: v_dual_mov_b32 v6, 0
	s_mov_b32 s16, 0
	s_waitcnt lgkmcnt(0)
	s_barrier
	buffer_gl0_inv
	s_branch .LBB26_53
.LBB26_52:                              ;   in Loop: Header=BB26_53 Depth=1
	s_or_b32 exec_lo, exec_lo, s15
	s_waitcnt lgkmcnt(0)
	s_barrier
	buffer_gl0_inv
	ds_load_b32 v2, v5 offset:12348
	v_add_co_u32 v16, s15, 0x200, v16
	s_delay_alu instid0(VALU_DEP_1) | instskip(SKIP_3) | instid1(SALU_CYCLE_1)
	s_xor_b32 s15, s15, -1
	v_add_nc_u32_e32 v17, 0x1000, v17
	v_add_nc_u32_e32 v15, 0x800, v15
	s_and_b32 s15, exec_lo, s15
	s_or_b32 s16, s15, s16
	s_waitcnt lgkmcnt(0)
	v_add_nc_u32_e32 v6, v2, v6
	s_and_not1_b32 exec_lo, exec_lo, s16
	s_cbranch_execz .LBB26_87
.LBB26_53:                              ; =>This Inner Loop Header: Depth=1
	ds_load_b32 v7, v15
	ds_load_b64 v[2:3], v17
	s_waitcnt lgkmcnt(0)
	s_barrier
	buffer_gl0_inv
	v_cmp_gt_i32_e64 s15, s33, v7
	s_delay_alu instid0(VALU_DEP_1) | instskip(NEXT) | instid1(SALU_CYCLE_1)
	s_bcnt1_i32_b32 s17, s15
	v_dual_mov_b32 v9, s17 :: v_dual_and_b32 v8, s15, v1
	s_delay_alu instid0(VALU_DEP_1)
	v_bcnt_u32_b32 v8, v8, 0
	ds_store_b32 v4, v9 offset:12288
	s_waitcnt lgkmcnt(0)
	s_barrier
	buffer_gl0_inv
	s_and_saveexec_b32 s17, s0
	s_cbranch_execnz .LBB26_70
; %bb.54:                               ;   in Loop: Header=BB26_53 Depth=1
	s_or_b32 exec_lo, exec_lo, s17
	s_and_saveexec_b32 s17, s1
	s_cbranch_execnz .LBB26_71
.LBB26_55:                              ;   in Loop: Header=BB26_53 Depth=1
	s_or_b32 exec_lo, exec_lo, s17
	s_and_saveexec_b32 s17, s2
	s_cbranch_execnz .LBB26_72
.LBB26_56:                              ;   in Loop: Header=BB26_53 Depth=1
	s_or_b32 exec_lo, exec_lo, s17
	s_and_saveexec_b32 s17, s3
	s_cbranch_execnz .LBB26_73
.LBB26_57:                              ;   in Loop: Header=BB26_53 Depth=1
	s_or_b32 exec_lo, exec_lo, s17
	s_and_saveexec_b32 s17, s4
	s_cbranch_execnz .LBB26_74
.LBB26_58:                              ;   in Loop: Header=BB26_53 Depth=1
	s_or_b32 exec_lo, exec_lo, s17
	s_and_saveexec_b32 s17, s5
	s_cbranch_execnz .LBB26_75
.LBB26_59:                              ;   in Loop: Header=BB26_53 Depth=1
	s_or_b32 exec_lo, exec_lo, s17
	s_and_saveexec_b32 s17, s6
	s_cbranch_execnz .LBB26_76
.LBB26_60:                              ;   in Loop: Header=BB26_53 Depth=1
	s_or_b32 exec_lo, exec_lo, s17
	s_and_saveexec_b32 s17, s7
	s_cbranch_execnz .LBB26_77
.LBB26_61:                              ;   in Loop: Header=BB26_53 Depth=1
	s_or_b32 exec_lo, exec_lo, s17
	s_and_saveexec_b32 s17, s8
	s_cbranch_execnz .LBB26_78
.LBB26_62:                              ;   in Loop: Header=BB26_53 Depth=1
	s_or_b32 exec_lo, exec_lo, s17
	s_and_saveexec_b32 s17, s9
	s_cbranch_execnz .LBB26_79
.LBB26_63:                              ;   in Loop: Header=BB26_53 Depth=1
	s_or_b32 exec_lo, exec_lo, s17
	s_and_saveexec_b32 s17, s10
	s_cbranch_execnz .LBB26_80
.LBB26_64:                              ;   in Loop: Header=BB26_53 Depth=1
	s_or_b32 exec_lo, exec_lo, s17
	s_and_saveexec_b32 s17, s11
	s_cbranch_execnz .LBB26_81
.LBB26_65:                              ;   in Loop: Header=BB26_53 Depth=1
	s_or_b32 exec_lo, exec_lo, s17
	s_and_saveexec_b32 s17, s12
	s_cbranch_execnz .LBB26_82
.LBB26_66:                              ;   in Loop: Header=BB26_53 Depth=1
	s_or_b32 exec_lo, exec_lo, s17
	s_and_saveexec_b32 s17, s13
	s_cbranch_execnz .LBB26_83
.LBB26_67:                              ;   in Loop: Header=BB26_53 Depth=1
	s_or_b32 exec_lo, exec_lo, s17
	s_and_saveexec_b32 s17, s14
	s_cbranch_execnz .LBB26_84
.LBB26_68:                              ;   in Loop: Header=BB26_53 Depth=1
	s_or_b32 exec_lo, exec_lo, s17
	s_and_saveexec_b32 s17, s15
	s_cbranch_execnz .LBB26_85
.LBB26_69:                              ;   in Loop: Header=BB26_53 Depth=1
	s_or_b32 exec_lo, exec_lo, s17
	s_and_saveexec_b32 s15, vcc_lo
	s_cbranch_execz .LBB26_52
	s_branch .LBB26_86
.LBB26_70:                              ;   in Loop: Header=BB26_53 Depth=1
	ds_load_b32 v9, v5 offset:12288
	s_waitcnt lgkmcnt(0)
	v_add_nc_u32_e32 v8, v9, v8
	s_or_b32 exec_lo, exec_lo, s17
	s_and_saveexec_b32 s17, s1
	s_cbranch_execz .LBB26_55
.LBB26_71:                              ;   in Loop: Header=BB26_53 Depth=1
	ds_load_b32 v9, v5 offset:12292
	s_waitcnt lgkmcnt(0)
	v_add_nc_u32_e32 v8, v9, v8
	s_or_b32 exec_lo, exec_lo, s17
	s_and_saveexec_b32 s17, s2
	s_cbranch_execz .LBB26_56
.LBB26_72:                              ;   in Loop: Header=BB26_53 Depth=1
	ds_load_b32 v9, v5 offset:12296
	s_waitcnt lgkmcnt(0)
	v_add_nc_u32_e32 v8, v9, v8
	s_or_b32 exec_lo, exec_lo, s17
	s_and_saveexec_b32 s17, s3
	s_cbranch_execz .LBB26_57
.LBB26_73:                              ;   in Loop: Header=BB26_53 Depth=1
	ds_load_b32 v9, v5 offset:12300
	s_waitcnt lgkmcnt(0)
	v_add_nc_u32_e32 v8, v9, v8
	s_or_b32 exec_lo, exec_lo, s17
	s_and_saveexec_b32 s17, s4
	s_cbranch_execz .LBB26_58
.LBB26_74:                              ;   in Loop: Header=BB26_53 Depth=1
	ds_load_b32 v9, v5 offset:12304
	s_waitcnt lgkmcnt(0)
	v_add_nc_u32_e32 v8, v9, v8
	s_or_b32 exec_lo, exec_lo, s17
	s_and_saveexec_b32 s17, s5
	s_cbranch_execz .LBB26_59
.LBB26_75:                              ;   in Loop: Header=BB26_53 Depth=1
	ds_load_b32 v9, v5 offset:12308
	s_waitcnt lgkmcnt(0)
	v_add_nc_u32_e32 v8, v9, v8
	s_or_b32 exec_lo, exec_lo, s17
	s_and_saveexec_b32 s17, s6
	s_cbranch_execz .LBB26_60
.LBB26_76:                              ;   in Loop: Header=BB26_53 Depth=1
	ds_load_b32 v9, v5 offset:12312
	s_waitcnt lgkmcnt(0)
	v_add_nc_u32_e32 v8, v9, v8
	s_or_b32 exec_lo, exec_lo, s17
	s_and_saveexec_b32 s17, s7
	s_cbranch_execz .LBB26_61
.LBB26_77:                              ;   in Loop: Header=BB26_53 Depth=1
	ds_load_b32 v9, v5 offset:12316
	s_waitcnt lgkmcnt(0)
	v_add_nc_u32_e32 v8, v9, v8
	s_or_b32 exec_lo, exec_lo, s17
	s_and_saveexec_b32 s17, s8
	s_cbranch_execz .LBB26_62
.LBB26_78:                              ;   in Loop: Header=BB26_53 Depth=1
	ds_load_b32 v9, v5 offset:12320
	s_waitcnt lgkmcnt(0)
	v_add_nc_u32_e32 v8, v9, v8
	s_or_b32 exec_lo, exec_lo, s17
	s_and_saveexec_b32 s17, s9
	s_cbranch_execz .LBB26_63
.LBB26_79:                              ;   in Loop: Header=BB26_53 Depth=1
	ds_load_b32 v9, v5 offset:12324
	s_waitcnt lgkmcnt(0)
	v_add_nc_u32_e32 v8, v9, v8
	s_or_b32 exec_lo, exec_lo, s17
	s_and_saveexec_b32 s17, s10
	s_cbranch_execz .LBB26_64
.LBB26_80:                              ;   in Loop: Header=BB26_53 Depth=1
	ds_load_b32 v9, v5 offset:12328
	s_waitcnt lgkmcnt(0)
	v_add_nc_u32_e32 v8, v9, v8
	s_or_b32 exec_lo, exec_lo, s17
	s_and_saveexec_b32 s17, s11
	s_cbranch_execz .LBB26_65
.LBB26_81:                              ;   in Loop: Header=BB26_53 Depth=1
	ds_load_b32 v9, v5 offset:12332
	s_waitcnt lgkmcnt(0)
	v_add_nc_u32_e32 v8, v9, v8
	s_or_b32 exec_lo, exec_lo, s17
	s_and_saveexec_b32 s17, s12
	s_cbranch_execz .LBB26_66
.LBB26_82:                              ;   in Loop: Header=BB26_53 Depth=1
	ds_load_b32 v9, v5 offset:12336
	s_waitcnt lgkmcnt(0)
	v_add_nc_u32_e32 v8, v9, v8
	s_or_b32 exec_lo, exec_lo, s17
	s_and_saveexec_b32 s17, s13
	s_cbranch_execz .LBB26_67
.LBB26_83:                              ;   in Loop: Header=BB26_53 Depth=1
	ds_load_b32 v9, v5 offset:12340
	s_waitcnt lgkmcnt(0)
	v_add_nc_u32_e32 v8, v9, v8
	s_or_b32 exec_lo, exec_lo, s17
	s_and_saveexec_b32 s17, s14
	s_cbranch_execz .LBB26_68
.LBB26_84:                              ;   in Loop: Header=BB26_53 Depth=1
	ds_load_b32 v9, v5 offset:12344
	s_waitcnt lgkmcnt(0)
	v_add_nc_u32_e32 v8, v9, v8
	s_or_b32 exec_lo, exec_lo, s17
	s_and_saveexec_b32 s17, s15
	s_cbranch_execz .LBB26_69
.LBB26_85:                              ;   in Loop: Header=BB26_53 Depth=1
	s_delay_alu instid0(VALU_DEP_1) | instskip(NEXT) | instid1(VALU_DEP_1)
	v_add3_u32 v9, v6, -1, v8
	v_lshl_add_u32 v10, v9, 2, 0
	v_lshl_add_u32 v9, v9, 3, 0
	ds_store_b32 v10, v7
	ds_store_b64 v9, v[2:3] offset:4096
	s_or_b32 exec_lo, exec_lo, s17
	s_and_saveexec_b32 s15, vcc_lo
	s_cbranch_execz .LBB26_52
.LBB26_86:                              ;   in Loop: Header=BB26_53 Depth=1
	ds_store_b32 v5, v8 offset:12348
	s_branch .LBB26_52
.LBB26_87:
	s_or_b32 exec_lo, exec_lo, s16
	s_ashr_i32 s37, s36, 31
	s_mov_b32 s3, exec_lo
	s_lshl_b64 s[0:1], s[36:37], 2
	s_delay_alu instid0(SALU_CYCLE_1) | instskip(SKIP_4) | instid1(SALU_CYCLE_1)
	s_add_u32 s0, s22, s0
	s_addc_u32 s1, s23, s1
	s_load_b64 s[0:1], s[0:1], 0x0
	s_waitcnt lgkmcnt(0)
	s_sub_i32 s2, s1, s0
	v_cmpx_gt_i32_e64 s2, v0
	s_cbranch_execz .LBB26_97
; %bb.88:
	s_sub_i32 s3, s0, s26
	s_sub_i32 s0, s0, s1
	s_and_b32 s1, s2, 7
	s_cmp_lt_u32 s0, -7
	s_mov_b32 s7, 0
	s_cselect_b32 s4, -1, 0
	s_and_b32 s5, s2, -8
	s_cmp_lg_u32 s1, 0
	s_cselect_b32 s6, -1, 0
	s_branch .LBB26_90
.LBB26_89:                              ;   in Loop: Header=BB26_90 Depth=1
	s_waitcnt lgkmcnt(1)
	s_delay_alu instid0(VALU_DEP_1) | instskip(SKIP_1) | instid1(VALU_DEP_2)
	v_ashrrev_i32_e32 v4, 31, v3
	v_add_nc_u32_e32 v0, 0x200, v0
	v_lshlrev_b64 v[3:4], 3, v[3:4]
	s_delay_alu instid0(VALU_DEP_2) | instskip(SKIP_1) | instid1(VALU_DEP_2)
	v_cmp_le_i32_e32 vcc_lo, s2, v0
	s_or_b32 s7, vcc_lo, s7
	v_add_co_u32 v3, s0, s34, v3
	s_delay_alu instid0(VALU_DEP_1)
	v_add_co_ci_u32_e64 v4, s0, s35, v4, s0
	s_waitcnt lgkmcnt(0)
	global_store_b64 v[3:4], v[1:2], off
	s_and_not1_b32 exec_lo, exec_lo, s7
	s_cbranch_execz .LBB26_97
.LBB26_90:                              ; =>This Loop Header: Depth=1
                                        ;     Child Loop BB26_92 Depth 2
                                        ;     Child Loop BB26_96 Depth 2
	v_lshlrev_b32_e32 v1, 2, v0
	s_and_not1_b32 vcc_lo, exec_lo, s4
	s_mov_b32 s0, 0
	s_delay_alu instid0(VALU_DEP_1) | instskip(NEXT) | instid1(VALU_DEP_1)
	v_dual_mov_b32 v3, s3 :: v_dual_add_nc_u32 v2, 0, v1
	v_add_nc_u32_e32 v1, v2, v1
	ds_load_b32 v4, v2
	ds_load_b64 v[1:2], v1 offset:4096
	s_cbranch_vccnz .LBB26_94
; %bb.91:                               ;   in Loop: Header=BB26_90 Depth=1
	v_mov_b32_e32 v3, s3
	s_mov_b32 s8, 0
	s_set_inst_prefetch_distance 0x1
	.p2align	6
.LBB26_92:                              ;   Parent Loop BB26_90 Depth=1
                                        ; =>  This Inner Loop Header: Depth=2
	v_mov_b32_e32 v11, s8
	s_add_i32 s0, s0, 8
	s_add_i32 s8, s8, 32
	s_cmp_eq_u32 s5, s0
	ds_load_2addr_b32 v[5:6], v11 offset1:1
	ds_load_2addr_b32 v[7:8], v11 offset0:2 offset1:3
	ds_load_2addr_b32 v[9:10], v11 offset0:4 offset1:5
	;; [unrolled: 1-line block ×3, first 2 shown]
	s_waitcnt lgkmcnt(3)
	v_cmp_gt_i32_e32 vcc_lo, v4, v5
	v_cndmask_b32_e64 v5, 0, 1, vcc_lo
	s_waitcnt lgkmcnt(2)
	v_cmp_gt_i32_e32 vcc_lo, v4, v7
	v_cndmask_b32_e64 v7, 0, 1, vcc_lo
	v_cmp_gt_i32_e32 vcc_lo, v4, v6
	v_add_co_ci_u32_e32 v3, vcc_lo, v3, v5, vcc_lo
	s_waitcnt lgkmcnt(1)
	v_cmp_gt_i32_e32 vcc_lo, v4, v9
	v_cndmask_b32_e64 v5, 0, 1, vcc_lo
	v_cmp_gt_i32_e32 vcc_lo, v4, v8
	v_add_co_ci_u32_e32 v3, vcc_lo, v3, v7, vcc_lo
	;; [unrolled: 5-line block ×3, first 2 shown]
	v_cmp_gt_i32_e32 vcc_lo, v4, v12
	s_delay_alu instid0(VALU_DEP_2)
	v_add_co_ci_u32_e32 v3, vcc_lo, v3, v6, vcc_lo
	s_cbranch_scc0 .LBB26_92
; %bb.93:                               ;   in Loop: Header=BB26_90 Depth=1
	s_set_inst_prefetch_distance 0x2
	s_mov_b32 s0, s5
.LBB26_94:                              ;   in Loop: Header=BB26_90 Depth=1
	s_and_not1_b32 vcc_lo, exec_lo, s6
	s_cbranch_vccnz .LBB26_89
; %bb.95:                               ;   in Loop: Header=BB26_90 Depth=1
	s_lshl_b32 s0, s0, 2
	s_mov_b32 s8, s1
	s_add_i32 s0, s0, 0
.LBB26_96:                              ;   Parent Loop BB26_90 Depth=1
                                        ; =>  This Inner Loop Header: Depth=2
	s_delay_alu instid0(SALU_CYCLE_1)
	v_mov_b32_e32 v5, s0
	s_add_i32 s8, s8, -1
	s_add_i32 s0, s0, 4
	s_cmp_lg_u32 s8, 0
	ds_load_b32 v5, v5
	s_waitcnt lgkmcnt(0)
	v_cmp_gt_i32_e32 vcc_lo, v4, v5
	v_add_co_ci_u32_e32 v3, vcc_lo, 0, v3, vcc_lo
	s_cbranch_scc1 .LBB26_96
	s_branch .LBB26_89
.LBB26_97:
	s_nop 0
	s_sendmsg sendmsg(MSG_DEALLOC_VGPRS)
	s_endpgm
	.section	.rodata,"a",@progbits
	.p2align	6, 0x0
	.amdhsa_kernel _ZN9rocsparseL41csrgemm_numeric_fill_block_per_row_kernelILj512ELj32ELj1024ELj137ELj32EiidEEvT5_PKS1_S3_NS_24const_host_device_scalarIT6_EEPKT4_S3_PKS5_S9_S3_SB_S6_S9_S3_SB_S9_S3_PS5_21rocsparse_index_base_SD_SD_SD_bbb
		.amdhsa_group_segment_fixed_size 0
		.amdhsa_private_segment_fixed_size 0
		.amdhsa_kernarg_size 156
		.amdhsa_user_sgpr_count 15
		.amdhsa_user_sgpr_dispatch_ptr 0
		.amdhsa_user_sgpr_queue_ptr 0
		.amdhsa_user_sgpr_kernarg_segment_ptr 1
		.amdhsa_user_sgpr_dispatch_id 0
		.amdhsa_user_sgpr_private_segment_size 0
		.amdhsa_wavefront_size32 1
		.amdhsa_uses_dynamic_stack 0
		.amdhsa_enable_private_segment 0
		.amdhsa_system_sgpr_workgroup_id_x 1
		.amdhsa_system_sgpr_workgroup_id_y 0
		.amdhsa_system_sgpr_workgroup_id_z 0
		.amdhsa_system_sgpr_workgroup_info 0
		.amdhsa_system_vgpr_workitem_id 0
		.amdhsa_next_free_vgpr 24
		.amdhsa_next_free_sgpr 42
		.amdhsa_reserve_vcc 1
		.amdhsa_float_round_mode_32 0
		.amdhsa_float_round_mode_16_64 0
		.amdhsa_float_denorm_mode_32 3
		.amdhsa_float_denorm_mode_16_64 3
		.amdhsa_dx10_clamp 1
		.amdhsa_ieee_mode 1
		.amdhsa_fp16_overflow 0
		.amdhsa_workgroup_processor_mode 1
		.amdhsa_memory_ordered 1
		.amdhsa_forward_progress 0
		.amdhsa_shared_vgpr_count 0
		.amdhsa_exception_fp_ieee_invalid_op 0
		.amdhsa_exception_fp_denorm_src 0
		.amdhsa_exception_fp_ieee_div_zero 0
		.amdhsa_exception_fp_ieee_overflow 0
		.amdhsa_exception_fp_ieee_underflow 0
		.amdhsa_exception_fp_ieee_inexact 0
		.amdhsa_exception_int_div_zero 0
	.end_amdhsa_kernel
	.section	.text._ZN9rocsparseL41csrgemm_numeric_fill_block_per_row_kernelILj512ELj32ELj1024ELj137ELj32EiidEEvT5_PKS1_S3_NS_24const_host_device_scalarIT6_EEPKT4_S3_PKS5_S9_S3_SB_S6_S9_S3_SB_S9_S3_PS5_21rocsparse_index_base_SD_SD_SD_bbb,"axG",@progbits,_ZN9rocsparseL41csrgemm_numeric_fill_block_per_row_kernelILj512ELj32ELj1024ELj137ELj32EiidEEvT5_PKS1_S3_NS_24const_host_device_scalarIT6_EEPKT4_S3_PKS5_S9_S3_SB_S6_S9_S3_SB_S9_S3_PS5_21rocsparse_index_base_SD_SD_SD_bbb,comdat
.Lfunc_end26:
	.size	_ZN9rocsparseL41csrgemm_numeric_fill_block_per_row_kernelILj512ELj32ELj1024ELj137ELj32EiidEEvT5_PKS1_S3_NS_24const_host_device_scalarIT6_EEPKT4_S3_PKS5_S9_S3_SB_S6_S9_S3_SB_S9_S3_PS5_21rocsparse_index_base_SD_SD_SD_bbb, .Lfunc_end26-_ZN9rocsparseL41csrgemm_numeric_fill_block_per_row_kernelILj512ELj32ELj1024ELj137ELj32EiidEEvT5_PKS1_S3_NS_24const_host_device_scalarIT6_EEPKT4_S3_PKS5_S9_S3_SB_S6_S9_S3_SB_S9_S3_PS5_21rocsparse_index_base_SD_SD_SD_bbb
                                        ; -- End function
	.section	.AMDGPU.csdata,"",@progbits
; Kernel info:
; codeLenInByte = 3488
; NumSgprs: 44
; NumVgprs: 24
; ScratchSize: 0
; MemoryBound: 0
; FloatMode: 240
; IeeeMode: 1
; LDSByteSize: 0 bytes/workgroup (compile time only)
; SGPRBlocks: 5
; VGPRBlocks: 2
; NumSGPRsForWavesPerEU: 44
; NumVGPRsForWavesPerEU: 24
; Occupancy: 16
; WaveLimiterHint : 1
; COMPUTE_PGM_RSRC2:SCRATCH_EN: 0
; COMPUTE_PGM_RSRC2:USER_SGPR: 15
; COMPUTE_PGM_RSRC2:TRAP_HANDLER: 0
; COMPUTE_PGM_RSRC2:TGID_X_EN: 1
; COMPUTE_PGM_RSRC2:TGID_Y_EN: 0
; COMPUTE_PGM_RSRC2:TGID_Z_EN: 0
; COMPUTE_PGM_RSRC2:TIDIG_COMP_CNT: 0
	.section	.text._ZN9rocsparseL41csrgemm_numeric_fill_block_per_row_kernelILj512ELj32ELj1024ELj137ELj64EiidEEvT5_PKS1_S3_NS_24const_host_device_scalarIT6_EEPKT4_S3_PKS5_S9_S3_SB_S6_S9_S3_SB_S9_S3_PS5_21rocsparse_index_base_SD_SD_SD_bbb,"axG",@progbits,_ZN9rocsparseL41csrgemm_numeric_fill_block_per_row_kernelILj512ELj32ELj1024ELj137ELj64EiidEEvT5_PKS1_S3_NS_24const_host_device_scalarIT6_EEPKT4_S3_PKS5_S9_S3_SB_S6_S9_S3_SB_S9_S3_PS5_21rocsparse_index_base_SD_SD_SD_bbb,comdat
	.globl	_ZN9rocsparseL41csrgemm_numeric_fill_block_per_row_kernelILj512ELj32ELj1024ELj137ELj64EiidEEvT5_PKS1_S3_NS_24const_host_device_scalarIT6_EEPKT4_S3_PKS5_S9_S3_SB_S6_S9_S3_SB_S9_S3_PS5_21rocsparse_index_base_SD_SD_SD_bbb ; -- Begin function _ZN9rocsparseL41csrgemm_numeric_fill_block_per_row_kernelILj512ELj32ELj1024ELj137ELj64EiidEEvT5_PKS1_S3_NS_24const_host_device_scalarIT6_EEPKT4_S3_PKS5_S9_S3_SB_S6_S9_S3_SB_S9_S3_PS5_21rocsparse_index_base_SD_SD_SD_bbb
	.p2align	8
	.type	_ZN9rocsparseL41csrgemm_numeric_fill_block_per_row_kernelILj512ELj32ELj1024ELj137ELj64EiidEEvT5_PKS1_S3_NS_24const_host_device_scalarIT6_EEPKT4_S3_PKS5_S9_S3_SB_S6_S9_S3_SB_S9_S3_PS5_21rocsparse_index_base_SD_SD_SD_bbb,@function
_ZN9rocsparseL41csrgemm_numeric_fill_block_per_row_kernelILj512ELj32ELj1024ELj137ELj64EiidEEvT5_PKS1_S3_NS_24const_host_device_scalarIT6_EEPKT4_S3_PKS5_S9_S3_SB_S6_S9_S3_SB_S9_S3_PS5_21rocsparse_index_base_SD_SD_SD_bbb: ; @_ZN9rocsparseL41csrgemm_numeric_fill_block_per_row_kernelILj512ELj32ELj1024ELj137ELj64EiidEEvT5_PKS1_S3_NS_24const_host_device_scalarIT6_EEPKT4_S3_PKS5_S9_S3_SB_S6_S9_S3_SB_S9_S3_PS5_21rocsparse_index_base_SD_SD_SD_bbb
; %bb.0:
	s_clause 0x3
	s_load_b32 s14, s[0:1], 0x98
	s_load_b64 s[4:5], s[0:1], 0x18
	s_load_b128 s[24:27], s[0:1], 0x88
	s_load_b64 s[2:3], s[0:1], 0x50
	s_waitcnt lgkmcnt(0)
	s_and_b32 s6, 1, s14
	s_bitcmp1_b32 s14, 16
	s_cselect_b32 s33, -1, 0
	s_cmp_eq_u32 s6, 1
	s_cselect_b32 s35, -1, 0
	s_delay_alu instid0(SALU_CYCLE_1)
	s_and_b32 s6, s35, exec_lo
	s_cselect_b32 s7, s5, 0
	s_cselect_b32 s6, s4, 0
	s_xor_b32 s8, s35, -1
	v_dual_mov_b32 v3, s6 :: v_dual_mov_b32 v4, s7
	s_or_b32 s8, s8, s33
	s_delay_alu instid0(SALU_CYCLE_1)
	s_and_b32 vcc_lo, exec_lo, s8
	s_cbranch_vccnz .LBB27_2
; %bb.1:
	v_dual_mov_b32 v1, s4 :: v_dual_mov_b32 v2, s5
	flat_load_b64 v[3:4], v[1:2]
.LBB27_2:
	s_clause 0x4
	s_load_b64 s[12:13], s[0:1], 0x80
	s_load_b256 s[4:11], s[0:1], 0x58
	s_load_b128 s[28:31], s[0:1], 0x40
	s_load_b128 s[36:39], s[0:1], 0x8
	s_load_b256 s[16:23], s[0:1], 0x20
	s_bitcmp1_b32 s14, 8
	s_cselect_b32 s34, -1, 0
	s_delay_alu instid0(SALU_CYCLE_1)
	s_and_b32 s14, s34, exec_lo
	s_cselect_b32 s41, s3, 0
	s_cselect_b32 s40, s2, 0
	s_xor_b32 s14, s34, -1
	v_dual_mov_b32 v1, s40 :: v_dual_mov_b32 v2, s41
	s_or_b32 s14, s14, s33
	s_delay_alu instid0(SALU_CYCLE_1)
	s_and_b32 vcc_lo, exec_lo, s14
	s_cbranch_vccnz .LBB27_4
; %bb.3:
	v_dual_mov_b32 v1, s2 :: v_dual_mov_b32 v2, s3
	flat_load_b64 v[1:2], v[1:2]
.LBB27_4:
	s_load_b32 s33, s[0:1], 0x0
	v_dual_mov_b32 v5, 0 :: v_dual_lshlrev_b32 v6, 3, v0
	v_lshl_add_u32 v15, v0, 2, 0
	v_or_b32_e32 v16, 0xfffffe00, v0
	s_mov_b32 s0, 0
	s_delay_alu instid0(VALU_DEP_3) | instskip(NEXT) | instid1(VALU_DEP_3)
	v_add3_u32 v17, v6, 0, 0x1000
	v_dual_mov_b32 v6, v5 :: v_dual_mov_b32 v7, v15
	s_delay_alu instid0(VALU_DEP_3) | instskip(SKIP_1) | instid1(VALU_DEP_3)
	v_mov_b32_e32 v8, v16
	s_waitcnt lgkmcnt(0)
	v_dual_mov_b32 v10, v17 :: v_dual_mov_b32 v9, s33
.LBB27_5:                               ; =>This Inner Loop Header: Depth=1
	s_delay_alu instid0(VALU_DEP_2) | instskip(NEXT) | instid1(VALU_DEP_1)
	v_add_co_u32 v8, s1, 0x200, v8
	s_xor_b32 s1, s1, -1
	ds_store_b32 v7, v9
	ds_store_b64 v10, v[5:6]
	v_add_nc_u32_e32 v10, 0x1000, v10
	v_add_nc_u32_e32 v7, 0x800, v7
	s_and_b32 s1, exec_lo, s1
	s_delay_alu instid0(SALU_CYCLE_1) | instskip(NEXT) | instid1(SALU_CYCLE_1)
	s_or_b32 s0, s1, s0
	s_and_not1_b32 exec_lo, exec_lo, s0
	s_cbranch_execnz .LBB27_5
; %bb.6:
	s_or_b32 exec_lo, exec_lo, s0
	s_waitcnt vmcnt(0) lgkmcnt(0)
	s_barrier
	buffer_gl0_inv
	s_load_b32 s0, s[36:37], 0x0
	s_mov_b32 s1, 0
	s_waitcnt lgkmcnt(0)
	s_add_i32 s0, s0, s15
	s_delay_alu instid0(SALU_CYCLE_1) | instskip(NEXT) | instid1(SALU_CYCLE_1)
	s_lshl_b64 s[0:1], s[0:1], 2
	s_add_u32 s0, s38, s0
	s_addc_u32 s1, s39, s1
	s_and_b32 vcc_lo, exec_lo, s35
	s_load_b32 s14, s[0:1], 0x0
	s_cbranch_vccz .LBB27_30
; %bb.7:
	s_waitcnt lgkmcnt(0)
	s_ashr_i32 s15, s14, 31
	v_lshrrev_b32_e32 v5, 5, v0
	s_lshl_b64 s[0:1], s[14:15], 2
	s_delay_alu instid0(SALU_CYCLE_1) | instskip(SKIP_1) | instid1(VALU_DEP_1)
	s_add_u32 s0, s16, s0
	s_addc_u32 s1, s17, s1
	v_subrev_nc_u32_e32 v5, s24, v5
	s_load_b64 s[0:1], s[0:1], 0x0
	s_waitcnt lgkmcnt(0)
	s_delay_alu instid0(VALU_DEP_1) | instskip(SKIP_2) | instid1(VALU_DEP_1)
	v_add_nc_u32_e32 v5, s0, v5
	s_sub_i32 s0, s1, s24
	s_mov_b32 s1, exec_lo
	v_cmpx_gt_i32_e64 s0, v5
	s_cbranch_execz .LBB27_29
; %bb.8:
	v_and_b32_e32 v6, 31, v0
	s_mov_b32 s2, 0
	s_delay_alu instid0(VALU_DEP_1)
	v_subrev_nc_u32_e32 v18, s25, v6
	s_branch .LBB27_10
.LBB27_9:                               ;   in Loop: Header=BB27_10 Depth=1
	s_or_b32 exec_lo, exec_lo, s3
	v_add_nc_u32_e32 v5, 16, v5
	s_delay_alu instid0(VALU_DEP_1) | instskip(SKIP_1) | instid1(SALU_CYCLE_1)
	v_cmp_le_i32_e32 vcc_lo, s0, v5
	s_or_b32 s2, vcc_lo, s2
	s_and_not1_b32 exec_lo, exec_lo, s2
	s_cbranch_execz .LBB27_29
.LBB27_10:                              ; =>This Loop Header: Depth=1
                                        ;     Child Loop BB27_13 Depth 2
                                        ;       Child Loop BB27_15 Depth 3
                                        ;         Child Loop BB27_21 Depth 4
                                        ;         Child Loop BB27_27 Depth 4
	v_ashrrev_i32_e32 v6, 31, v5
	s_mov_b32 s3, exec_lo
	s_delay_alu instid0(VALU_DEP_1) | instskip(NEXT) | instid1(VALU_DEP_1)
	v_lshlrev_b64 v[7:8], 2, v[5:6]
	v_add_co_u32 v7, vcc_lo, s18, v7
	s_delay_alu instid0(VALU_DEP_2) | instskip(SKIP_3) | instid1(VALU_DEP_1)
	v_add_co_ci_u32_e32 v8, vcc_lo, s19, v8, vcc_lo
	global_load_b32 v7, v[7:8], off
	s_waitcnt vmcnt(0)
	v_subrev_nc_u32_e32 v7, s24, v7
	v_ashrrev_i32_e32 v8, 31, v7
	s_delay_alu instid0(VALU_DEP_1) | instskip(NEXT) | instid1(VALU_DEP_1)
	v_lshlrev_b64 v[7:8], 2, v[7:8]
	v_add_co_u32 v7, vcc_lo, s22, v7
	s_delay_alu instid0(VALU_DEP_2) | instskip(SKIP_4) | instid1(VALU_DEP_1)
	v_add_co_ci_u32_e32 v8, vcc_lo, s23, v8, vcc_lo
	global_load_b64 v[7:8], v[7:8], off
	s_waitcnt vmcnt(0)
	v_subrev_nc_u32_e32 v19, s25, v8
	v_add_nc_u32_e32 v7, v7, v18
	v_cmpx_lt_i32_e64 v7, v19
	s_cbranch_execz .LBB27_9
; %bb.11:                               ;   in Loop: Header=BB27_10 Depth=1
	v_lshlrev_b64 v[8:9], 3, v[5:6]
	s_mov_b32 s15, 0
	s_delay_alu instid0(VALU_DEP_1) | instskip(NEXT) | instid1(VALU_DEP_2)
	v_add_co_u32 v8, vcc_lo, s20, v8
	v_add_co_ci_u32_e32 v9, vcc_lo, s21, v9, vcc_lo
	global_load_b64 v[8:9], v[8:9], off
	s_waitcnt vmcnt(0)
	v_mul_f64 v[9:10], v[3:4], v[8:9]
	s_branch .LBB27_13
.LBB27_12:                              ;   in Loop: Header=BB27_13 Depth=2
	s_or_b32 exec_lo, exec_lo, s16
	v_add_nc_u32_e32 v7, 32, v7
	s_delay_alu instid0(VALU_DEP_1) | instskip(SKIP_1) | instid1(SALU_CYCLE_1)
	v_cmp_ge_i32_e32 vcc_lo, v7, v19
	s_or_b32 s15, vcc_lo, s15
	s_and_not1_b32 exec_lo, exec_lo, s15
	s_cbranch_execz .LBB27_9
.LBB27_13:                              ;   Parent Loop BB27_10 Depth=1
                                        ; =>  This Loop Header: Depth=2
                                        ;       Child Loop BB27_15 Depth 3
                                        ;         Child Loop BB27_21 Depth 4
                                        ;         Child Loop BB27_27 Depth 4
	v_ashrrev_i32_e32 v8, 31, v7
	s_mov_b32 s16, 0
	s_delay_alu instid0(VALU_DEP_1) | instskip(SKIP_1) | instid1(VALU_DEP_2)
	v_lshlrev_b64 v[11:12], 3, v[7:8]
	v_lshlrev_b64 v[13:14], 2, v[7:8]
	v_add_co_u32 v11, vcc_lo, s30, v11
	s_delay_alu instid0(VALU_DEP_3) | instskip(NEXT) | instid1(VALU_DEP_3)
	v_add_co_ci_u32_e32 v12, vcc_lo, s31, v12, vcc_lo
	v_add_co_u32 v13, vcc_lo, s28, v13
	s_delay_alu instid0(VALU_DEP_4)
	v_add_co_ci_u32_e32 v14, vcc_lo, s29, v14, vcc_lo
	global_load_b64 v[11:12], v[11:12], off
	global_load_b32 v6, v[13:14], off
	s_waitcnt vmcnt(1)
	v_mul_f64 v[11:12], v[9:10], v[11:12]
	s_waitcnt vmcnt(0)
	v_subrev_nc_u32_e32 v6, s25, v6
	s_delay_alu instid0(VALU_DEP_1) | instskip(NEXT) | instid1(VALU_DEP_1)
	v_mul_lo_u32 v8, 0x89, v6
	v_and_b32_e32 v8, 0x3ff, v8
	s_branch .LBB27_15
.LBB27_14:                              ;   in Loop: Header=BB27_15 Depth=3
	s_or_b32 exec_lo, exec_lo, s17
	s_xor_b32 s17, s35, -1
	s_delay_alu instid0(SALU_CYCLE_1) | instskip(NEXT) | instid1(SALU_CYCLE_1)
	s_and_b32 s17, exec_lo, s17
	s_or_b32 s16, s17, s16
	s_delay_alu instid0(SALU_CYCLE_1)
	s_and_not1_b32 exec_lo, exec_lo, s16
	s_cbranch_execz .LBB27_12
.LBB27_15:                              ;   Parent Loop BB27_10 Depth=1
                                        ;     Parent Loop BB27_13 Depth=2
                                        ; =>    This Loop Header: Depth=3
                                        ;         Child Loop BB27_21 Depth 4
                                        ;         Child Loop BB27_27 Depth 4
	s_delay_alu instid0(VALU_DEP_1)
	v_lshl_add_u32 v13, v8, 2, 0
	s_mov_b32 s17, exec_lo
                                        ; implicit-def: $sgpr35
	ds_load_b32 v14, v13
	s_waitcnt lgkmcnt(0)
	v_cmpx_ne_u32_e64 v14, v6
	s_xor_b32 s17, exec_lo, s17
	s_cbranch_execz .LBB27_25
; %bb.16:                               ;   in Loop: Header=BB27_15 Depth=3
	s_mov_b32 s36, exec_lo
                                        ; implicit-def: $sgpr35
	v_cmpx_ne_u32_e64 s33, v14
	s_xor_b32 s36, exec_lo, s36
; %bb.17:                               ;   in Loop: Header=BB27_15 Depth=3
	v_add_nc_u32_e32 v8, 1, v8
	s_mov_b32 s35, -1
                                        ; implicit-def: $vgpr13
	s_delay_alu instid0(VALU_DEP_1)
	v_and_b32_e32 v8, 0x3ff, v8
; %bb.18:                               ;   in Loop: Header=BB27_15 Depth=3
	s_and_not1_saveexec_b32 s36, s36
	s_cbranch_execz .LBB27_24
; %bb.19:                               ;   in Loop: Header=BB27_15 Depth=3
	v_mov_b32_e32 v14, s33
	s_mov_b32 s38, -1
	s_mov_b32 s37, exec_lo
	ds_cmpstore_rtn_b32 v14, v13, v6, v14
	s_waitcnt lgkmcnt(0)
	v_cmpx_eq_u32_e64 s33, v14
	s_cbranch_execz .LBB27_23
; %bb.20:                               ;   in Loop: Header=BB27_15 Depth=3
	v_lshlrev_b32_e32 v14, 2, v8
	s_mov_b32 s38, 0
	s_delay_alu instid0(VALU_DEP_1)
	v_add_nc_u32_e32 v20, v13, v14
	ds_load_b64 v[13:14], v20 offset:4096
.LBB27_21:                              ;   Parent Loop BB27_10 Depth=1
                                        ;     Parent Loop BB27_13 Depth=2
                                        ;       Parent Loop BB27_15 Depth=3
                                        ; =>      This Inner Loop Header: Depth=4
	s_waitcnt lgkmcnt(0)
	v_add_f64 v[21:22], v[13:14], v[11:12]
	ds_cmpstore_rtn_b64 v[21:22], v20, v[21:22], v[13:14] offset:4096
	s_waitcnt lgkmcnt(0)
	v_cmp_eq_u64_e32 vcc_lo, v[21:22], v[13:14]
	v_dual_mov_b32 v13, v21 :: v_dual_mov_b32 v14, v22
	s_or_b32 s38, vcc_lo, s38
	s_delay_alu instid0(SALU_CYCLE_1)
	s_and_not1_b32 exec_lo, exec_lo, s38
	s_cbranch_execnz .LBB27_21
; %bb.22:                               ;   in Loop: Header=BB27_15 Depth=3
	s_or_b32 exec_lo, exec_lo, s38
	s_delay_alu instid0(SALU_CYCLE_1)
	s_xor_b32 s38, exec_lo, -1
.LBB27_23:                              ;   in Loop: Header=BB27_15 Depth=3
	s_or_b32 exec_lo, exec_lo, s37
	s_delay_alu instid0(SALU_CYCLE_1) | instskip(SKIP_1) | instid1(SALU_CYCLE_1)
	s_and_not1_b32 s35, s35, exec_lo
	s_and_b32 s37, s38, exec_lo
	s_or_b32 s35, s35, s37
.LBB27_24:                              ;   in Loop: Header=BB27_15 Depth=3
	s_or_b32 exec_lo, exec_lo, s36
	s_delay_alu instid0(SALU_CYCLE_1)
	s_and_b32 s35, s35, exec_lo
                                        ; implicit-def: $vgpr13
.LBB27_25:                              ;   in Loop: Header=BB27_15 Depth=3
	s_and_not1_saveexec_b32 s17, s17
	s_cbranch_execz .LBB27_14
; %bb.26:                               ;   in Loop: Header=BB27_15 Depth=3
	v_lshlrev_b32_e32 v14, 2, v8
	s_mov_b32 s36, 0
	s_delay_alu instid0(VALU_DEP_1)
	v_add_nc_u32_e32 v20, v13, v14
	ds_load_b64 v[13:14], v20 offset:4096
.LBB27_27:                              ;   Parent Loop BB27_10 Depth=1
                                        ;     Parent Loop BB27_13 Depth=2
                                        ;       Parent Loop BB27_15 Depth=3
                                        ; =>      This Inner Loop Header: Depth=4
	s_waitcnt lgkmcnt(0)
	v_add_f64 v[21:22], v[13:14], v[11:12]
	ds_cmpstore_rtn_b64 v[21:22], v20, v[21:22], v[13:14] offset:4096
	s_waitcnt lgkmcnt(0)
	v_cmp_eq_u64_e32 vcc_lo, v[21:22], v[13:14]
	v_dual_mov_b32 v13, v21 :: v_dual_mov_b32 v14, v22
	s_or_b32 s36, vcc_lo, s36
	s_delay_alu instid0(SALU_CYCLE_1)
	s_and_not1_b32 exec_lo, exec_lo, s36
	s_cbranch_execnz .LBB27_27
; %bb.28:                               ;   in Loop: Header=BB27_15 Depth=3
	s_or_b32 exec_lo, exec_lo, s36
	s_delay_alu instid0(SALU_CYCLE_1)
	s_and_not1_b32 s35, s35, exec_lo
	s_branch .LBB27_14
.LBB27_29:
	s_or_b32 exec_lo, exec_lo, s1
.LBB27_30:
	s_delay_alu instid0(SALU_CYCLE_1)
	s_and_not1_b32 vcc_lo, exec_lo, s34
	s_cbranch_vccnz .LBB27_51
; %bb.31:
	s_waitcnt lgkmcnt(0)
	s_ashr_i32 s15, s14, 31
	v_subrev_nc_u32_e32 v3, s27, v0
	s_lshl_b64 s[0:1], s[14:15], 2
	s_delay_alu instid0(SALU_CYCLE_1)
	s_add_u32 s0, s4, s0
	s_addc_u32 s1, s5, s1
	s_load_b64 s[0:1], s[0:1], 0x0
	s_waitcnt lgkmcnt(0)
	v_add_nc_u32_e32 v3, s0, v3
	s_sub_i32 s0, s1, s27
	s_mov_b32 s1, exec_lo
	s_delay_alu instid0(VALU_DEP_1)
	v_cmpx_gt_i32_e64 s0, v3
	s_cbranch_execz .LBB27_50
; %bb.32:
	s_mov_b32 s2, 0
	s_branch .LBB27_34
.LBB27_33:                              ;   in Loop: Header=BB27_34 Depth=1
	s_or_b32 exec_lo, exec_lo, s3
	v_add_nc_u32_e32 v3, 0x200, v3
	s_delay_alu instid0(VALU_DEP_1) | instskip(SKIP_1) | instid1(SALU_CYCLE_1)
	v_cmp_le_i32_e32 vcc_lo, s0, v3
	s_or_b32 s2, vcc_lo, s2
	s_and_not1_b32 exec_lo, exec_lo, s2
	s_cbranch_execz .LBB27_50
.LBB27_34:                              ; =>This Loop Header: Depth=1
                                        ;     Child Loop BB27_36 Depth 2
                                        ;       Child Loop BB27_42 Depth 3
                                        ;       Child Loop BB27_48 Depth 3
	v_ashrrev_i32_e32 v4, 31, v3
	s_mov_b32 s3, 0
	s_delay_alu instid0(VALU_DEP_1) | instskip(SKIP_1) | instid1(VALU_DEP_2)
	v_lshlrev_b64 v[5:6], 3, v[3:4]
	v_lshlrev_b64 v[7:8], 2, v[3:4]
	v_add_co_u32 v5, vcc_lo, s8, v5
	s_delay_alu instid0(VALU_DEP_3) | instskip(NEXT) | instid1(VALU_DEP_3)
	v_add_co_ci_u32_e32 v6, vcc_lo, s9, v6, vcc_lo
	v_add_co_u32 v7, vcc_lo, s6, v7
	s_delay_alu instid0(VALU_DEP_4)
	v_add_co_ci_u32_e32 v8, vcc_lo, s7, v8, vcc_lo
	global_load_b64 v[5:6], v[5:6], off
	global_load_b32 v7, v[7:8], off
	s_waitcnt vmcnt(1)
	v_mul_f64 v[4:5], v[1:2], v[5:6]
	s_waitcnt vmcnt(0)
	v_subrev_nc_u32_e32 v8, s27, v7
	s_delay_alu instid0(VALU_DEP_1) | instskip(NEXT) | instid1(VALU_DEP_1)
	v_mul_lo_u32 v6, 0x89, v8
	v_and_b32_e32 v9, 0x3ff, v6
	s_branch .LBB27_36
.LBB27_35:                              ;   in Loop: Header=BB27_36 Depth=2
	s_or_b32 exec_lo, exec_lo, s4
	s_xor_b32 s4, s5, -1
	s_delay_alu instid0(SALU_CYCLE_1) | instskip(NEXT) | instid1(SALU_CYCLE_1)
	s_and_b32 s4, exec_lo, s4
	s_or_b32 s3, s4, s3
	s_delay_alu instid0(SALU_CYCLE_1)
	s_and_not1_b32 exec_lo, exec_lo, s3
	s_cbranch_execz .LBB27_33
.LBB27_36:                              ;   Parent Loop BB27_34 Depth=1
                                        ; =>  This Loop Header: Depth=2
                                        ;       Child Loop BB27_42 Depth 3
                                        ;       Child Loop BB27_48 Depth 3
	s_delay_alu instid0(VALU_DEP_1)
	v_lshl_add_u32 v6, v9, 2, 0
	s_mov_b32 s4, exec_lo
                                        ; implicit-def: $sgpr5
	ds_load_b32 v7, v6
	s_waitcnt lgkmcnt(0)
	v_cmpx_ne_u32_e64 v7, v8
	s_xor_b32 s4, exec_lo, s4
	s_cbranch_execz .LBB27_46
; %bb.37:                               ;   in Loop: Header=BB27_36 Depth=2
	s_mov_b32 s15, exec_lo
                                        ; implicit-def: $sgpr5
	v_cmpx_ne_u32_e64 s33, v7
	s_xor_b32 s15, exec_lo, s15
; %bb.38:                               ;   in Loop: Header=BB27_36 Depth=2
	v_add_nc_u32_e32 v6, 1, v9
	s_mov_b32 s5, -1
	s_delay_alu instid0(VALU_DEP_1)
	v_and_b32_e32 v9, 0x3ff, v6
                                        ; implicit-def: $vgpr6
; %bb.39:                               ;   in Loop: Header=BB27_36 Depth=2
	s_and_not1_saveexec_b32 s15, s15
	s_cbranch_execz .LBB27_45
; %bb.40:                               ;   in Loop: Header=BB27_36 Depth=2
	v_mov_b32_e32 v7, s33
	s_mov_b32 s17, -1
	s_mov_b32 s16, exec_lo
	ds_cmpstore_rtn_b32 v7, v6, v8, v7
	s_waitcnt lgkmcnt(0)
	v_cmpx_eq_u32_e64 s33, v7
	s_cbranch_execz .LBB27_44
; %bb.41:                               ;   in Loop: Header=BB27_36 Depth=2
	v_lshlrev_b32_e32 v7, 2, v9
	s_mov_b32 s17, 0
	s_delay_alu instid0(VALU_DEP_1)
	v_add_nc_u32_e32 v10, v6, v7
	ds_load_b64 v[6:7], v10 offset:4096
.LBB27_42:                              ;   Parent Loop BB27_34 Depth=1
                                        ;     Parent Loop BB27_36 Depth=2
                                        ; =>    This Inner Loop Header: Depth=3
	s_waitcnt lgkmcnt(0)
	v_add_f64 v[11:12], v[6:7], v[4:5]
	ds_cmpstore_rtn_b64 v[11:12], v10, v[11:12], v[6:7] offset:4096
	s_waitcnt lgkmcnt(0)
	v_cmp_eq_u64_e32 vcc_lo, v[11:12], v[6:7]
	v_dual_mov_b32 v6, v11 :: v_dual_mov_b32 v7, v12
	s_or_b32 s17, vcc_lo, s17
	s_delay_alu instid0(SALU_CYCLE_1)
	s_and_not1_b32 exec_lo, exec_lo, s17
	s_cbranch_execnz .LBB27_42
; %bb.43:                               ;   in Loop: Header=BB27_36 Depth=2
	s_or_b32 exec_lo, exec_lo, s17
	s_delay_alu instid0(SALU_CYCLE_1)
	s_xor_b32 s17, exec_lo, -1
.LBB27_44:                              ;   in Loop: Header=BB27_36 Depth=2
	s_or_b32 exec_lo, exec_lo, s16
	s_delay_alu instid0(SALU_CYCLE_1) | instskip(SKIP_1) | instid1(SALU_CYCLE_1)
	s_and_not1_b32 s5, s5, exec_lo
	s_and_b32 s16, s17, exec_lo
	s_or_b32 s5, s5, s16
.LBB27_45:                              ;   in Loop: Header=BB27_36 Depth=2
	s_or_b32 exec_lo, exec_lo, s15
	s_delay_alu instid0(SALU_CYCLE_1)
	s_and_b32 s5, s5, exec_lo
                                        ; implicit-def: $vgpr6
.LBB27_46:                              ;   in Loop: Header=BB27_36 Depth=2
	s_and_not1_saveexec_b32 s4, s4
	s_cbranch_execz .LBB27_35
; %bb.47:                               ;   in Loop: Header=BB27_36 Depth=2
	v_lshlrev_b32_e32 v7, 2, v9
	s_mov_b32 s15, 0
	s_delay_alu instid0(VALU_DEP_1)
	v_add_nc_u32_e32 v10, v6, v7
	ds_load_b64 v[6:7], v10 offset:4096
.LBB27_48:                              ;   Parent Loop BB27_34 Depth=1
                                        ;     Parent Loop BB27_36 Depth=2
                                        ; =>    This Inner Loop Header: Depth=3
	s_waitcnt lgkmcnt(0)
	v_add_f64 v[11:12], v[6:7], v[4:5]
	ds_cmpstore_rtn_b64 v[11:12], v10, v[11:12], v[6:7] offset:4096
	s_waitcnt lgkmcnt(0)
	v_cmp_eq_u64_e32 vcc_lo, v[11:12], v[6:7]
	v_dual_mov_b32 v6, v11 :: v_dual_mov_b32 v7, v12
	s_or_b32 s15, vcc_lo, s15
	s_delay_alu instid0(SALU_CYCLE_1)
	s_and_not1_b32 exec_lo, exec_lo, s15
	s_cbranch_execnz .LBB27_48
; %bb.49:                               ;   in Loop: Header=BB27_36 Depth=2
	s_or_b32 exec_lo, exec_lo, s15
	s_delay_alu instid0(SALU_CYCLE_1)
	s_and_not1_b32 s5, s5, exec_lo
	s_branch .LBB27_35
.LBB27_50:
	s_or_b32 exec_lo, exec_lo, s1
.LBB27_51:
	v_mbcnt_lo_u32_b32 v1, -1, 0
	v_lshrrev_b32_e32 v2, 4, v0
	v_cmp_eq_u32_e32 vcc_lo, 0x1ff, v0
	v_cmp_lt_u32_e64 s0, 63, v0
	v_cmp_lt_u32_e64 s1, 0x7f, v0
	v_xor_b32_e32 v1, 63, v1
	v_dual_mov_b32 v6, 0 :: v_dual_and_b32 v3, 28, v2
	v_cmp_lt_u32_e64 s2, 0xbf, v0
	v_cmp_lt_u32_e64 s3, 0xff, v0
	s_delay_alu instid0(VALU_DEP_4) | instskip(NEXT) | instid1(VALU_DEP_4)
	v_lshrrev_b64 v[1:2], v1, -1
	v_dual_mov_b32 v5, 0 :: v_dual_add_nc_u32 v4, 0, v3
	v_cmp_lt_u32_e64 s4, 0x13f, v0
	v_cmp_lt_u32_e64 s5, 0x17f, v0
	;; [unrolled: 1-line block ×3, first 2 shown]
	s_mov_b32 s8, 0
	s_waitcnt lgkmcnt(0)
	s_barrier
	buffer_gl0_inv
	s_branch .LBB27_53
.LBB27_52:                              ;   in Loop: Header=BB27_53 Depth=1
	s_or_b32 exec_lo, exec_lo, s7
	s_waitcnt lgkmcnt(0)
	s_barrier
	buffer_gl0_inv
	ds_load_b32 v2, v5 offset:12316
	v_add_co_u32 v16, s7, 0x200, v16
	s_delay_alu instid0(VALU_DEP_1) | instskip(SKIP_3) | instid1(SALU_CYCLE_1)
	s_xor_b32 s7, s7, -1
	v_add_nc_u32_e32 v17, 0x1000, v17
	v_add_nc_u32_e32 v15, 0x800, v15
	s_and_b32 s7, exec_lo, s7
	s_or_b32 s8, s7, s8
	s_waitcnt lgkmcnt(0)
	v_add_nc_u32_e32 v6, v2, v6
	s_and_not1_b32 exec_lo, exec_lo, s8
	s_cbranch_execz .LBB27_71
.LBB27_53:                              ; =>This Inner Loop Header: Depth=1
	ds_load_b32 v7, v15
	ds_load_b64 v[2:3], v17
	s_waitcnt lgkmcnt(0)
	s_barrier
	buffer_gl0_inv
	v_cmp_gt_i32_e64 s7, s33, v7
	s_delay_alu instid0(VALU_DEP_1) | instskip(NEXT) | instid1(SALU_CYCLE_1)
	s_bcnt1_i32_b32 s9, s7
	v_dual_mov_b32 v9, s9 :: v_dual_and_b32 v8, s7, v1
	s_delay_alu instid0(VALU_DEP_1)
	v_bcnt_u32_b32 v8, v8, 0
	ds_store_b32 v4, v9 offset:12288
	s_waitcnt lgkmcnt(0)
	s_barrier
	buffer_gl0_inv
	s_and_saveexec_b32 s9, s0
	s_cbranch_execnz .LBB27_62
; %bb.54:                               ;   in Loop: Header=BB27_53 Depth=1
	s_or_b32 exec_lo, exec_lo, s9
	s_and_saveexec_b32 s9, s1
	s_cbranch_execnz .LBB27_63
.LBB27_55:                              ;   in Loop: Header=BB27_53 Depth=1
	s_or_b32 exec_lo, exec_lo, s9
	s_and_saveexec_b32 s9, s2
	s_cbranch_execnz .LBB27_64
.LBB27_56:                              ;   in Loop: Header=BB27_53 Depth=1
	s_or_b32 exec_lo, exec_lo, s9
	s_and_saveexec_b32 s9, s3
	s_cbranch_execnz .LBB27_65
.LBB27_57:                              ;   in Loop: Header=BB27_53 Depth=1
	s_or_b32 exec_lo, exec_lo, s9
	s_and_saveexec_b32 s9, s4
	s_cbranch_execnz .LBB27_66
.LBB27_58:                              ;   in Loop: Header=BB27_53 Depth=1
	s_or_b32 exec_lo, exec_lo, s9
	s_and_saveexec_b32 s9, s5
	s_cbranch_execnz .LBB27_67
.LBB27_59:                              ;   in Loop: Header=BB27_53 Depth=1
	s_or_b32 exec_lo, exec_lo, s9
	s_and_saveexec_b32 s9, s6
	s_cbranch_execnz .LBB27_68
.LBB27_60:                              ;   in Loop: Header=BB27_53 Depth=1
	s_or_b32 exec_lo, exec_lo, s9
	s_and_saveexec_b32 s9, s7
	s_cbranch_execnz .LBB27_69
.LBB27_61:                              ;   in Loop: Header=BB27_53 Depth=1
	s_or_b32 exec_lo, exec_lo, s9
	s_and_saveexec_b32 s7, vcc_lo
	s_cbranch_execz .LBB27_52
	s_branch .LBB27_70
.LBB27_62:                              ;   in Loop: Header=BB27_53 Depth=1
	ds_load_b32 v9, v5 offset:12288
	s_waitcnt lgkmcnt(0)
	v_add_nc_u32_e32 v8, v9, v8
	s_or_b32 exec_lo, exec_lo, s9
	s_and_saveexec_b32 s9, s1
	s_cbranch_execz .LBB27_55
.LBB27_63:                              ;   in Loop: Header=BB27_53 Depth=1
	ds_load_b32 v9, v5 offset:12292
	s_waitcnt lgkmcnt(0)
	v_add_nc_u32_e32 v8, v9, v8
	s_or_b32 exec_lo, exec_lo, s9
	s_and_saveexec_b32 s9, s2
	s_cbranch_execz .LBB27_56
.LBB27_64:                              ;   in Loop: Header=BB27_53 Depth=1
	ds_load_b32 v9, v5 offset:12296
	s_waitcnt lgkmcnt(0)
	v_add_nc_u32_e32 v8, v9, v8
	s_or_b32 exec_lo, exec_lo, s9
	s_and_saveexec_b32 s9, s3
	s_cbranch_execz .LBB27_57
.LBB27_65:                              ;   in Loop: Header=BB27_53 Depth=1
	ds_load_b32 v9, v5 offset:12300
	s_waitcnt lgkmcnt(0)
	v_add_nc_u32_e32 v8, v9, v8
	s_or_b32 exec_lo, exec_lo, s9
	s_and_saveexec_b32 s9, s4
	s_cbranch_execz .LBB27_58
.LBB27_66:                              ;   in Loop: Header=BB27_53 Depth=1
	ds_load_b32 v9, v5 offset:12304
	s_waitcnt lgkmcnt(0)
	v_add_nc_u32_e32 v8, v9, v8
	s_or_b32 exec_lo, exec_lo, s9
	s_and_saveexec_b32 s9, s5
	s_cbranch_execz .LBB27_59
.LBB27_67:                              ;   in Loop: Header=BB27_53 Depth=1
	ds_load_b32 v9, v5 offset:12308
	s_waitcnt lgkmcnt(0)
	v_add_nc_u32_e32 v8, v9, v8
	s_or_b32 exec_lo, exec_lo, s9
	s_and_saveexec_b32 s9, s6
	s_cbranch_execz .LBB27_60
.LBB27_68:                              ;   in Loop: Header=BB27_53 Depth=1
	ds_load_b32 v9, v5 offset:12312
	s_waitcnt lgkmcnt(0)
	v_add_nc_u32_e32 v8, v9, v8
	s_or_b32 exec_lo, exec_lo, s9
	s_and_saveexec_b32 s9, s7
	s_cbranch_execz .LBB27_61
.LBB27_69:                              ;   in Loop: Header=BB27_53 Depth=1
	s_delay_alu instid0(VALU_DEP_1) | instskip(NEXT) | instid1(VALU_DEP_1)
	v_add3_u32 v9, v6, -1, v8
	v_lshl_add_u32 v10, v9, 2, 0
	v_lshl_add_u32 v9, v9, 3, 0
	ds_store_b32 v10, v7
	ds_store_b64 v9, v[2:3] offset:4096
	s_or_b32 exec_lo, exec_lo, s9
	s_and_saveexec_b32 s7, vcc_lo
	s_cbranch_execz .LBB27_52
.LBB27_70:                              ;   in Loop: Header=BB27_53 Depth=1
	ds_store_b32 v5, v8 offset:12316
	s_branch .LBB27_52
.LBB27_71:
	s_or_b32 exec_lo, exec_lo, s8
	s_ashr_i32 s15, s14, 31
	s_mov_b32 s3, exec_lo
	s_lshl_b64 s[0:1], s[14:15], 2
	s_delay_alu instid0(SALU_CYCLE_1) | instskip(SKIP_4) | instid1(SALU_CYCLE_1)
	s_add_u32 s0, s10, s0
	s_addc_u32 s1, s11, s1
	s_load_b64 s[0:1], s[0:1], 0x0
	s_waitcnt lgkmcnt(0)
	s_sub_i32 s2, s1, s0
	v_cmpx_gt_i32_e64 s2, v0
	s_cbranch_execz .LBB27_81
; %bb.72:
	s_sub_i32 s3, s0, s26
	s_sub_i32 s0, s0, s1
	s_and_b32 s1, s2, 7
	s_cmp_lt_u32 s0, -7
	s_mov_b32 s7, 0
	s_cselect_b32 s4, -1, 0
	s_and_b32 s5, s2, -8
	s_cmp_lg_u32 s1, 0
	s_cselect_b32 s6, -1, 0
	s_branch .LBB27_74
.LBB27_73:                              ;   in Loop: Header=BB27_74 Depth=1
	s_waitcnt lgkmcnt(1)
	s_delay_alu instid0(VALU_DEP_1) | instskip(SKIP_1) | instid1(VALU_DEP_2)
	v_ashrrev_i32_e32 v4, 31, v3
	v_add_nc_u32_e32 v0, 0x200, v0
	v_lshlrev_b64 v[3:4], 3, v[3:4]
	s_delay_alu instid0(VALU_DEP_2) | instskip(SKIP_1) | instid1(VALU_DEP_2)
	v_cmp_le_i32_e32 vcc_lo, s2, v0
	s_or_b32 s7, vcc_lo, s7
	v_add_co_u32 v3, s0, s12, v3
	s_delay_alu instid0(VALU_DEP_1)
	v_add_co_ci_u32_e64 v4, s0, s13, v4, s0
	s_waitcnt lgkmcnt(0)
	global_store_b64 v[3:4], v[1:2], off
	s_and_not1_b32 exec_lo, exec_lo, s7
	s_cbranch_execz .LBB27_81
.LBB27_74:                              ; =>This Loop Header: Depth=1
                                        ;     Child Loop BB27_76 Depth 2
                                        ;     Child Loop BB27_80 Depth 2
	v_lshlrev_b32_e32 v1, 2, v0
	s_and_not1_b32 vcc_lo, exec_lo, s4
	s_mov_b32 s0, 0
	s_delay_alu instid0(VALU_DEP_1) | instskip(NEXT) | instid1(VALU_DEP_1)
	v_dual_mov_b32 v3, s3 :: v_dual_add_nc_u32 v2, 0, v1
	v_add_nc_u32_e32 v1, v2, v1
	ds_load_b32 v4, v2
	ds_load_b64 v[1:2], v1 offset:4096
	s_cbranch_vccnz .LBB27_78
; %bb.75:                               ;   in Loop: Header=BB27_74 Depth=1
	v_mov_b32_e32 v3, s3
	s_mov_b32 s8, 0
	s_set_inst_prefetch_distance 0x1
	.p2align	6
.LBB27_76:                              ;   Parent Loop BB27_74 Depth=1
                                        ; =>  This Inner Loop Header: Depth=2
	v_mov_b32_e32 v11, s8
	s_add_i32 s0, s0, 8
	s_add_i32 s8, s8, 32
	s_cmp_eq_u32 s5, s0
	ds_load_2addr_b32 v[5:6], v11 offset1:1
	ds_load_2addr_b32 v[7:8], v11 offset0:2 offset1:3
	ds_load_2addr_b32 v[9:10], v11 offset0:4 offset1:5
	;; [unrolled: 1-line block ×3, first 2 shown]
	s_waitcnt lgkmcnt(3)
	v_cmp_gt_i32_e32 vcc_lo, v4, v5
	v_cndmask_b32_e64 v5, 0, 1, vcc_lo
	s_waitcnt lgkmcnt(2)
	v_cmp_gt_i32_e32 vcc_lo, v4, v7
	v_cndmask_b32_e64 v7, 0, 1, vcc_lo
	v_cmp_gt_i32_e32 vcc_lo, v4, v6
	v_add_co_ci_u32_e32 v3, vcc_lo, v3, v5, vcc_lo
	s_waitcnt lgkmcnt(1)
	v_cmp_gt_i32_e32 vcc_lo, v4, v9
	v_cndmask_b32_e64 v5, 0, 1, vcc_lo
	v_cmp_gt_i32_e32 vcc_lo, v4, v8
	v_add_co_ci_u32_e32 v3, vcc_lo, v3, v7, vcc_lo
	;; [unrolled: 5-line block ×3, first 2 shown]
	v_cmp_gt_i32_e32 vcc_lo, v4, v12
	s_delay_alu instid0(VALU_DEP_2)
	v_add_co_ci_u32_e32 v3, vcc_lo, v3, v6, vcc_lo
	s_cbranch_scc0 .LBB27_76
; %bb.77:                               ;   in Loop: Header=BB27_74 Depth=1
	s_set_inst_prefetch_distance 0x2
	s_mov_b32 s0, s5
.LBB27_78:                              ;   in Loop: Header=BB27_74 Depth=1
	s_and_not1_b32 vcc_lo, exec_lo, s6
	s_cbranch_vccnz .LBB27_73
; %bb.79:                               ;   in Loop: Header=BB27_74 Depth=1
	s_lshl_b32 s0, s0, 2
	s_mov_b32 s8, s1
	s_add_i32 s0, s0, 0
.LBB27_80:                              ;   Parent Loop BB27_74 Depth=1
                                        ; =>  This Inner Loop Header: Depth=2
	s_delay_alu instid0(SALU_CYCLE_1)
	v_mov_b32_e32 v5, s0
	s_add_i32 s8, s8, -1
	s_add_i32 s0, s0, 4
	s_cmp_lg_u32 s8, 0
	ds_load_b32 v5, v5
	s_waitcnt lgkmcnt(0)
	v_cmp_gt_i32_e32 vcc_lo, v4, v5
	v_add_co_ci_u32_e32 v3, vcc_lo, 0, v3, vcc_lo
	s_cbranch_scc1 .LBB27_80
	s_branch .LBB27_73
.LBB27_81:
	s_nop 0
	s_sendmsg sendmsg(MSG_DEALLOC_VGPRS)
	s_endpgm
	.section	.rodata,"a",@progbits
	.p2align	6, 0x0
	.amdhsa_kernel _ZN9rocsparseL41csrgemm_numeric_fill_block_per_row_kernelILj512ELj32ELj1024ELj137ELj64EiidEEvT5_PKS1_S3_NS_24const_host_device_scalarIT6_EEPKT4_S3_PKS5_S9_S3_SB_S6_S9_S3_SB_S9_S3_PS5_21rocsparse_index_base_SD_SD_SD_bbb
		.amdhsa_group_segment_fixed_size 0
		.amdhsa_private_segment_fixed_size 0
		.amdhsa_kernarg_size 156
		.amdhsa_user_sgpr_count 15
		.amdhsa_user_sgpr_dispatch_ptr 0
		.amdhsa_user_sgpr_queue_ptr 0
		.amdhsa_user_sgpr_kernarg_segment_ptr 1
		.amdhsa_user_sgpr_dispatch_id 0
		.amdhsa_user_sgpr_private_segment_size 0
		.amdhsa_wavefront_size32 1
		.amdhsa_uses_dynamic_stack 0
		.amdhsa_enable_private_segment 0
		.amdhsa_system_sgpr_workgroup_id_x 1
		.amdhsa_system_sgpr_workgroup_id_y 0
		.amdhsa_system_sgpr_workgroup_id_z 0
		.amdhsa_system_sgpr_workgroup_info 0
		.amdhsa_system_vgpr_workitem_id 0
		.amdhsa_next_free_vgpr 23
		.amdhsa_next_free_sgpr 42
		.amdhsa_reserve_vcc 1
		.amdhsa_float_round_mode_32 0
		.amdhsa_float_round_mode_16_64 0
		.amdhsa_float_denorm_mode_32 3
		.amdhsa_float_denorm_mode_16_64 3
		.amdhsa_dx10_clamp 1
		.amdhsa_ieee_mode 1
		.amdhsa_fp16_overflow 0
		.amdhsa_workgroup_processor_mode 1
		.amdhsa_memory_ordered 1
		.amdhsa_forward_progress 0
		.amdhsa_shared_vgpr_count 0
		.amdhsa_exception_fp_ieee_invalid_op 0
		.amdhsa_exception_fp_denorm_src 0
		.amdhsa_exception_fp_ieee_div_zero 0
		.amdhsa_exception_fp_ieee_overflow 0
		.amdhsa_exception_fp_ieee_underflow 0
		.amdhsa_exception_fp_ieee_inexact 0
		.amdhsa_exception_int_div_zero 0
	.end_amdhsa_kernel
	.section	.text._ZN9rocsparseL41csrgemm_numeric_fill_block_per_row_kernelILj512ELj32ELj1024ELj137ELj64EiidEEvT5_PKS1_S3_NS_24const_host_device_scalarIT6_EEPKT4_S3_PKS5_S9_S3_SB_S6_S9_S3_SB_S9_S3_PS5_21rocsparse_index_base_SD_SD_SD_bbb,"axG",@progbits,_ZN9rocsparseL41csrgemm_numeric_fill_block_per_row_kernelILj512ELj32ELj1024ELj137ELj64EiidEEvT5_PKS1_S3_NS_24const_host_device_scalarIT6_EEPKT4_S3_PKS5_S9_S3_SB_S6_S9_S3_SB_S9_S3_PS5_21rocsparse_index_base_SD_SD_SD_bbb,comdat
.Lfunc_end27:
	.size	_ZN9rocsparseL41csrgemm_numeric_fill_block_per_row_kernelILj512ELj32ELj1024ELj137ELj64EiidEEvT5_PKS1_S3_NS_24const_host_device_scalarIT6_EEPKT4_S3_PKS5_S9_S3_SB_S6_S9_S3_SB_S9_S3_PS5_21rocsparse_index_base_SD_SD_SD_bbb, .Lfunc_end27-_ZN9rocsparseL41csrgemm_numeric_fill_block_per_row_kernelILj512ELj32ELj1024ELj137ELj64EiidEEvT5_PKS1_S3_NS_24const_host_device_scalarIT6_EEPKT4_S3_PKS5_S9_S3_SB_S6_S9_S3_SB_S9_S3_PS5_21rocsparse_index_base_SD_SD_SD_bbb
                                        ; -- End function
	.section	.AMDGPU.csdata,"",@progbits
; Kernel info:
; codeLenInByte = 3084
; NumSgprs: 44
; NumVgprs: 23
; ScratchSize: 0
; MemoryBound: 0
; FloatMode: 240
; IeeeMode: 1
; LDSByteSize: 0 bytes/workgroup (compile time only)
; SGPRBlocks: 5
; VGPRBlocks: 2
; NumSGPRsForWavesPerEU: 44
; NumVGPRsForWavesPerEU: 23
; Occupancy: 16
; WaveLimiterHint : 1
; COMPUTE_PGM_RSRC2:SCRATCH_EN: 0
; COMPUTE_PGM_RSRC2:USER_SGPR: 15
; COMPUTE_PGM_RSRC2:TRAP_HANDLER: 0
; COMPUTE_PGM_RSRC2:TGID_X_EN: 1
; COMPUTE_PGM_RSRC2:TGID_Y_EN: 0
; COMPUTE_PGM_RSRC2:TGID_Z_EN: 0
; COMPUTE_PGM_RSRC2:TIDIG_COMP_CNT: 0
	.section	.text._ZN9rocsparseL41csrgemm_numeric_fill_block_per_row_kernelILj1024ELj32ELj2048ELj137ELj32EiidEEvT5_PKS1_S3_NS_24const_host_device_scalarIT6_EEPKT4_S3_PKS5_S9_S3_SB_S6_S9_S3_SB_S9_S3_PS5_21rocsparse_index_base_SD_SD_SD_bbb,"axG",@progbits,_ZN9rocsparseL41csrgemm_numeric_fill_block_per_row_kernelILj1024ELj32ELj2048ELj137ELj32EiidEEvT5_PKS1_S3_NS_24const_host_device_scalarIT6_EEPKT4_S3_PKS5_S9_S3_SB_S6_S9_S3_SB_S9_S3_PS5_21rocsparse_index_base_SD_SD_SD_bbb,comdat
	.globl	_ZN9rocsparseL41csrgemm_numeric_fill_block_per_row_kernelILj1024ELj32ELj2048ELj137ELj32EiidEEvT5_PKS1_S3_NS_24const_host_device_scalarIT6_EEPKT4_S3_PKS5_S9_S3_SB_S6_S9_S3_SB_S9_S3_PS5_21rocsparse_index_base_SD_SD_SD_bbb ; -- Begin function _ZN9rocsparseL41csrgemm_numeric_fill_block_per_row_kernelILj1024ELj32ELj2048ELj137ELj32EiidEEvT5_PKS1_S3_NS_24const_host_device_scalarIT6_EEPKT4_S3_PKS5_S9_S3_SB_S6_S9_S3_SB_S9_S3_PS5_21rocsparse_index_base_SD_SD_SD_bbb
	.p2align	8
	.type	_ZN9rocsparseL41csrgemm_numeric_fill_block_per_row_kernelILj1024ELj32ELj2048ELj137ELj32EiidEEvT5_PKS1_S3_NS_24const_host_device_scalarIT6_EEPKT4_S3_PKS5_S9_S3_SB_S6_S9_S3_SB_S9_S3_PS5_21rocsparse_index_base_SD_SD_SD_bbb,@function
_ZN9rocsparseL41csrgemm_numeric_fill_block_per_row_kernelILj1024ELj32ELj2048ELj137ELj32EiidEEvT5_PKS1_S3_NS_24const_host_device_scalarIT6_EEPKT4_S3_PKS5_S9_S3_SB_S6_S9_S3_SB_S9_S3_PS5_21rocsparse_index_base_SD_SD_SD_bbb: ; @_ZN9rocsparseL41csrgemm_numeric_fill_block_per_row_kernelILj1024ELj32ELj2048ELj137ELj32EiidEEvT5_PKS1_S3_NS_24const_host_device_scalarIT6_EEPKT4_S3_PKS5_S9_S3_SB_S6_S9_S3_SB_S9_S3_PS5_21rocsparse_index_base_SD_SD_SD_bbb
; %bb.0:
	s_clause 0x3
	s_load_b32 s12, s[0:1], 0x98
	s_load_b64 s[4:5], s[0:1], 0x18
	s_load_b128 s[44:47], s[0:1], 0x88
	s_load_b64 s[2:3], s[0:1], 0x50
	s_waitcnt lgkmcnt(0)
	s_and_b32 s6, 1, s12
	s_bitcmp1_b32 s12, 16
	s_cselect_b32 s14, -1, 0
	s_cmp_eq_u32 s6, 1
	s_cselect_b32 s13, -1, 0
	s_delay_alu instid0(SALU_CYCLE_1)
	s_and_b32 s6, s13, exec_lo
	s_cselect_b32 s7, s5, 0
	s_cselect_b32 s6, s4, 0
	s_xor_b32 s8, s13, -1
	v_dual_mov_b32 v3, s6 :: v_dual_mov_b32 v4, s7
	s_or_b32 s8, s8, s14
	s_delay_alu instid0(SALU_CYCLE_1)
	s_and_b32 vcc_lo, exec_lo, s8
	s_cbranch_vccnz .LBB28_2
; %bb.1:
	v_dual_mov_b32 v1, s4 :: v_dual_mov_b32 v2, s5
	flat_load_b64 v[3:4], v[1:2]
.LBB28_2:
	s_clause 0x4
	s_load_b64 s[34:35], s[0:1], 0x80
	s_load_b256 s[36:43], s[0:1], 0x58
	s_load_b128 s[16:19], s[0:1], 0x40
	s_load_b128 s[20:23], s[0:1], 0x8
	s_load_b256 s[4:11], s[0:1], 0x20
	s_bitcmp1_b32 s12, 8
	s_cselect_b32 s12, -1, 0
	s_delay_alu instid0(SALU_CYCLE_1)
	s_and_b32 s24, s12, exec_lo
	s_cselect_b32 s25, s3, 0
	s_cselect_b32 s24, s2, 0
	s_xor_b32 s26, s12, -1
	v_dual_mov_b32 v1, s24 :: v_dual_mov_b32 v2, s25
	s_or_b32 s14, s26, s14
	s_delay_alu instid0(SALU_CYCLE_1)
	s_and_b32 vcc_lo, exec_lo, s14
	s_cbranch_vccnz .LBB28_4
; %bb.3:
	v_dual_mov_b32 v1, s2 :: v_dual_mov_b32 v2, s3
	flat_load_b64 v[1:2], v[1:2]
.LBB28_4:
	s_load_b32 s33, s[0:1], 0x0
	v_dual_mov_b32 v5, 0 :: v_dual_lshlrev_b32 v6, 3, v0
	v_lshl_add_u32 v15, v0, 2, 0
	v_or_b32_e32 v16, 0xfffffc00, v0
	s_mov_b32 s0, 0
	s_delay_alu instid0(VALU_DEP_3) | instskip(NEXT) | instid1(VALU_DEP_3)
	v_add3_u32 v17, v6, 0, 0x2000
	v_dual_mov_b32 v6, v5 :: v_dual_mov_b32 v7, v15
	s_delay_alu instid0(VALU_DEP_3) | instskip(SKIP_1) | instid1(VALU_DEP_3)
	v_mov_b32_e32 v8, v16
	s_waitcnt lgkmcnt(0)
	v_dual_mov_b32 v10, v17 :: v_dual_mov_b32 v9, s33
.LBB28_5:                               ; =>This Inner Loop Header: Depth=1
	s_delay_alu instid0(VALU_DEP_2) | instskip(NEXT) | instid1(VALU_DEP_1)
	v_add_co_u32 v8, s1, 0x400, v8
	s_xor_b32 s1, s1, -1
	ds_store_b32 v7, v9
	ds_store_b64 v10, v[5:6]
	v_add_nc_u32_e32 v10, 0x2000, v10
	v_add_nc_u32_e32 v7, 0x1000, v7
	s_and_b32 s1, exec_lo, s1
	s_delay_alu instid0(SALU_CYCLE_1) | instskip(NEXT) | instid1(SALU_CYCLE_1)
	s_or_b32 s0, s1, s0
	s_and_not1_b32 exec_lo, exec_lo, s0
	s_cbranch_execnz .LBB28_5
; %bb.6:
	s_or_b32 exec_lo, exec_lo, s0
	s_waitcnt vmcnt(0) lgkmcnt(0)
	s_barrier
	buffer_gl0_inv
	s_load_b32 s0, s[20:21], 0x0
	s_mov_b32 s1, 0
	v_lshrrev_b32_e32 v18, 5, v0
	s_waitcnt lgkmcnt(0)
	s_add_i32 s0, s0, s15
	s_delay_alu instid0(SALU_CYCLE_1) | instskip(NEXT) | instid1(SALU_CYCLE_1)
	s_lshl_b64 s[0:1], s[0:1], 2
	s_add_u32 s0, s22, s0
	s_addc_u32 s1, s23, s1
	s_and_b32 vcc_lo, exec_lo, s13
	s_load_b32 s48, s[0:1], 0x0
	s_cbranch_vccz .LBB28_30
; %bb.7:
	s_waitcnt lgkmcnt(0)
	s_ashr_i32 s49, s48, 31
	v_subrev_nc_u32_e32 v5, s44, v18
	s_lshl_b64 s[0:1], s[48:49], 2
	s_delay_alu instid0(SALU_CYCLE_1)
	s_add_u32 s0, s4, s0
	s_addc_u32 s1, s5, s1
	s_load_b64 s[0:1], s[0:1], 0x0
	s_waitcnt lgkmcnt(0)
	v_add_nc_u32_e32 v5, s0, v5
	s_sub_i32 s0, s1, s44
	s_mov_b32 s1, exec_lo
	s_delay_alu instid0(VALU_DEP_1)
	v_cmpx_gt_i32_e64 s0, v5
	s_cbranch_execz .LBB28_29
; %bb.8:
	v_and_b32_e32 v6, 31, v0
	s_mov_b32 s2, 0
	s_delay_alu instid0(VALU_DEP_1)
	v_subrev_nc_u32_e32 v19, s45, v6
	s_branch .LBB28_10
.LBB28_9:                               ;   in Loop: Header=BB28_10 Depth=1
	s_or_b32 exec_lo, exec_lo, s3
	v_add_nc_u32_e32 v5, 32, v5
	s_delay_alu instid0(VALU_DEP_1) | instskip(SKIP_1) | instid1(SALU_CYCLE_1)
	v_cmp_le_i32_e32 vcc_lo, s0, v5
	s_or_b32 s2, vcc_lo, s2
	s_and_not1_b32 exec_lo, exec_lo, s2
	s_cbranch_execz .LBB28_29
.LBB28_10:                              ; =>This Loop Header: Depth=1
                                        ;     Child Loop BB28_13 Depth 2
                                        ;       Child Loop BB28_15 Depth 3
                                        ;         Child Loop BB28_21 Depth 4
                                        ;         Child Loop BB28_27 Depth 4
	v_ashrrev_i32_e32 v6, 31, v5
	s_mov_b32 s3, exec_lo
	s_delay_alu instid0(VALU_DEP_1) | instskip(NEXT) | instid1(VALU_DEP_1)
	v_lshlrev_b64 v[7:8], 2, v[5:6]
	v_add_co_u32 v7, vcc_lo, s6, v7
	s_delay_alu instid0(VALU_DEP_2) | instskip(SKIP_3) | instid1(VALU_DEP_1)
	v_add_co_ci_u32_e32 v8, vcc_lo, s7, v8, vcc_lo
	global_load_b32 v7, v[7:8], off
	s_waitcnt vmcnt(0)
	v_subrev_nc_u32_e32 v7, s44, v7
	v_ashrrev_i32_e32 v8, 31, v7
	s_delay_alu instid0(VALU_DEP_1) | instskip(NEXT) | instid1(VALU_DEP_1)
	v_lshlrev_b64 v[7:8], 2, v[7:8]
	v_add_co_u32 v7, vcc_lo, s10, v7
	s_delay_alu instid0(VALU_DEP_2) | instskip(SKIP_4) | instid1(VALU_DEP_1)
	v_add_co_ci_u32_e32 v8, vcc_lo, s11, v8, vcc_lo
	global_load_b64 v[7:8], v[7:8], off
	s_waitcnt vmcnt(0)
	v_subrev_nc_u32_e32 v20, s45, v8
	v_add_nc_u32_e32 v7, v7, v19
	v_cmpx_lt_i32_e64 v7, v20
	s_cbranch_execz .LBB28_9
; %bb.11:                               ;   in Loop: Header=BB28_10 Depth=1
	v_lshlrev_b64 v[8:9], 3, v[5:6]
	s_mov_b32 s4, 0
	s_delay_alu instid0(VALU_DEP_1) | instskip(NEXT) | instid1(VALU_DEP_2)
	v_add_co_u32 v8, vcc_lo, s8, v8
	v_add_co_ci_u32_e32 v9, vcc_lo, s9, v9, vcc_lo
	global_load_b64 v[8:9], v[8:9], off
	s_waitcnt vmcnt(0)
	v_mul_f64 v[9:10], v[3:4], v[8:9]
	s_branch .LBB28_13
.LBB28_12:                              ;   in Loop: Header=BB28_13 Depth=2
	s_or_b32 exec_lo, exec_lo, s5
	v_add_nc_u32_e32 v7, 32, v7
	s_delay_alu instid0(VALU_DEP_1) | instskip(SKIP_1) | instid1(SALU_CYCLE_1)
	v_cmp_ge_i32_e32 vcc_lo, v7, v20
	s_or_b32 s4, vcc_lo, s4
	s_and_not1_b32 exec_lo, exec_lo, s4
	s_cbranch_execz .LBB28_9
.LBB28_13:                              ;   Parent Loop BB28_10 Depth=1
                                        ; =>  This Loop Header: Depth=2
                                        ;       Child Loop BB28_15 Depth 3
                                        ;         Child Loop BB28_21 Depth 4
                                        ;         Child Loop BB28_27 Depth 4
	v_ashrrev_i32_e32 v8, 31, v7
	s_mov_b32 s5, 0
	s_delay_alu instid0(VALU_DEP_1) | instskip(SKIP_1) | instid1(VALU_DEP_2)
	v_lshlrev_b64 v[11:12], 3, v[7:8]
	v_lshlrev_b64 v[13:14], 2, v[7:8]
	v_add_co_u32 v11, vcc_lo, s18, v11
	s_delay_alu instid0(VALU_DEP_3) | instskip(NEXT) | instid1(VALU_DEP_3)
	v_add_co_ci_u32_e32 v12, vcc_lo, s19, v12, vcc_lo
	v_add_co_u32 v13, vcc_lo, s16, v13
	s_delay_alu instid0(VALU_DEP_4)
	v_add_co_ci_u32_e32 v14, vcc_lo, s17, v14, vcc_lo
	global_load_b64 v[11:12], v[11:12], off
	global_load_b32 v6, v[13:14], off
	s_waitcnt vmcnt(1)
	v_mul_f64 v[11:12], v[9:10], v[11:12]
	s_waitcnt vmcnt(0)
	v_subrev_nc_u32_e32 v6, s45, v6
	s_delay_alu instid0(VALU_DEP_1) | instskip(NEXT) | instid1(VALU_DEP_1)
	v_mul_lo_u32 v8, 0x89, v6
	v_and_b32_e32 v8, 0x7ff, v8
	s_branch .LBB28_15
.LBB28_14:                              ;   in Loop: Header=BB28_15 Depth=3
	s_or_b32 exec_lo, exec_lo, s13
	s_xor_b32 s13, s14, -1
	s_delay_alu instid0(SALU_CYCLE_1) | instskip(NEXT) | instid1(SALU_CYCLE_1)
	s_and_b32 s13, exec_lo, s13
	s_or_b32 s5, s13, s5
	s_delay_alu instid0(SALU_CYCLE_1)
	s_and_not1_b32 exec_lo, exec_lo, s5
	s_cbranch_execz .LBB28_12
.LBB28_15:                              ;   Parent Loop BB28_10 Depth=1
                                        ;     Parent Loop BB28_13 Depth=2
                                        ; =>    This Loop Header: Depth=3
                                        ;         Child Loop BB28_21 Depth 4
                                        ;         Child Loop BB28_27 Depth 4
	s_delay_alu instid0(VALU_DEP_1)
	v_lshl_add_u32 v13, v8, 2, 0
	s_mov_b32 s13, exec_lo
                                        ; implicit-def: $sgpr14
	ds_load_b32 v14, v13
	s_waitcnt lgkmcnt(0)
	v_cmpx_ne_u32_e64 v14, v6
	s_xor_b32 s13, exec_lo, s13
	s_cbranch_execz .LBB28_25
; %bb.16:                               ;   in Loop: Header=BB28_15 Depth=3
	s_mov_b32 s15, exec_lo
                                        ; implicit-def: $sgpr14
	v_cmpx_ne_u32_e64 s33, v14
	s_xor_b32 s15, exec_lo, s15
; %bb.17:                               ;   in Loop: Header=BB28_15 Depth=3
	v_add_nc_u32_e32 v8, 1, v8
	s_mov_b32 s14, -1
                                        ; implicit-def: $vgpr13
	s_delay_alu instid0(VALU_DEP_1)
	v_and_b32_e32 v8, 0x7ff, v8
; %bb.18:                               ;   in Loop: Header=BB28_15 Depth=3
	s_and_not1_saveexec_b32 s15, s15
	s_cbranch_execz .LBB28_24
; %bb.19:                               ;   in Loop: Header=BB28_15 Depth=3
	v_mov_b32_e32 v14, s33
	s_mov_b32 s21, -1
	s_mov_b32 s20, exec_lo
	ds_cmpstore_rtn_b32 v14, v13, v6, v14
	s_waitcnt lgkmcnt(0)
	v_cmpx_eq_u32_e64 s33, v14
	s_cbranch_execz .LBB28_23
; %bb.20:                               ;   in Loop: Header=BB28_15 Depth=3
	v_lshlrev_b32_e32 v14, 2, v8
	s_mov_b32 s21, 0
	s_delay_alu instid0(VALU_DEP_1)
	v_add_nc_u32_e32 v21, v13, v14
	ds_load_b64 v[13:14], v21 offset:8192
.LBB28_21:                              ;   Parent Loop BB28_10 Depth=1
                                        ;     Parent Loop BB28_13 Depth=2
                                        ;       Parent Loop BB28_15 Depth=3
                                        ; =>      This Inner Loop Header: Depth=4
	s_waitcnt lgkmcnt(0)
	v_add_f64 v[22:23], v[13:14], v[11:12]
	ds_cmpstore_rtn_b64 v[22:23], v21, v[22:23], v[13:14] offset:8192
	s_waitcnt lgkmcnt(0)
	v_cmp_eq_u64_e32 vcc_lo, v[22:23], v[13:14]
	v_dual_mov_b32 v13, v22 :: v_dual_mov_b32 v14, v23
	s_or_b32 s21, vcc_lo, s21
	s_delay_alu instid0(SALU_CYCLE_1)
	s_and_not1_b32 exec_lo, exec_lo, s21
	s_cbranch_execnz .LBB28_21
; %bb.22:                               ;   in Loop: Header=BB28_15 Depth=3
	s_or_b32 exec_lo, exec_lo, s21
	s_delay_alu instid0(SALU_CYCLE_1)
	s_xor_b32 s21, exec_lo, -1
.LBB28_23:                              ;   in Loop: Header=BB28_15 Depth=3
	s_or_b32 exec_lo, exec_lo, s20
	s_delay_alu instid0(SALU_CYCLE_1) | instskip(SKIP_1) | instid1(SALU_CYCLE_1)
	s_and_not1_b32 s14, s14, exec_lo
	s_and_b32 s20, s21, exec_lo
	s_or_b32 s14, s14, s20
.LBB28_24:                              ;   in Loop: Header=BB28_15 Depth=3
	s_or_b32 exec_lo, exec_lo, s15
	s_delay_alu instid0(SALU_CYCLE_1)
	s_and_b32 s14, s14, exec_lo
                                        ; implicit-def: $vgpr13
.LBB28_25:                              ;   in Loop: Header=BB28_15 Depth=3
	s_and_not1_saveexec_b32 s13, s13
	s_cbranch_execz .LBB28_14
; %bb.26:                               ;   in Loop: Header=BB28_15 Depth=3
	v_lshlrev_b32_e32 v14, 2, v8
	s_mov_b32 s15, 0
	s_delay_alu instid0(VALU_DEP_1)
	v_add_nc_u32_e32 v21, v13, v14
	ds_load_b64 v[13:14], v21 offset:8192
.LBB28_27:                              ;   Parent Loop BB28_10 Depth=1
                                        ;     Parent Loop BB28_13 Depth=2
                                        ;       Parent Loop BB28_15 Depth=3
                                        ; =>      This Inner Loop Header: Depth=4
	s_waitcnt lgkmcnt(0)
	v_add_f64 v[22:23], v[13:14], v[11:12]
	ds_cmpstore_rtn_b64 v[22:23], v21, v[22:23], v[13:14] offset:8192
	s_waitcnt lgkmcnt(0)
	v_cmp_eq_u64_e32 vcc_lo, v[22:23], v[13:14]
	v_dual_mov_b32 v13, v22 :: v_dual_mov_b32 v14, v23
	s_or_b32 s15, vcc_lo, s15
	s_delay_alu instid0(SALU_CYCLE_1)
	s_and_not1_b32 exec_lo, exec_lo, s15
	s_cbranch_execnz .LBB28_27
; %bb.28:                               ;   in Loop: Header=BB28_15 Depth=3
	s_or_b32 exec_lo, exec_lo, s15
	s_delay_alu instid0(SALU_CYCLE_1)
	s_and_not1_b32 s14, s14, exec_lo
	s_branch .LBB28_14
.LBB28_29:
	s_or_b32 exec_lo, exec_lo, s1
.LBB28_30:
	s_delay_alu instid0(SALU_CYCLE_1)
	s_and_not1_b32 vcc_lo, exec_lo, s12
	s_cbranch_vccnz .LBB28_51
; %bb.31:
	s_waitcnt lgkmcnt(0)
	s_ashr_i32 s49, s48, 31
	v_subrev_nc_u32_e32 v3, s47, v0
	s_lshl_b64 s[0:1], s[48:49], 2
	s_delay_alu instid0(SALU_CYCLE_1)
	s_add_u32 s0, s36, s0
	s_addc_u32 s1, s37, s1
	s_load_b64 s[0:1], s[0:1], 0x0
	s_waitcnt lgkmcnt(0)
	v_add_nc_u32_e32 v3, s0, v3
	s_sub_i32 s0, s1, s47
	s_mov_b32 s1, exec_lo
	s_delay_alu instid0(VALU_DEP_1)
	v_cmpx_gt_i32_e64 s0, v3
	s_cbranch_execz .LBB28_50
; %bb.32:
	s_mov_b32 s2, 0
	s_branch .LBB28_34
.LBB28_33:                              ;   in Loop: Header=BB28_34 Depth=1
	s_or_b32 exec_lo, exec_lo, s3
	v_add_nc_u32_e32 v3, 0x400, v3
	s_delay_alu instid0(VALU_DEP_1) | instskip(SKIP_1) | instid1(SALU_CYCLE_1)
	v_cmp_le_i32_e32 vcc_lo, s0, v3
	s_or_b32 s2, vcc_lo, s2
	s_and_not1_b32 exec_lo, exec_lo, s2
	s_cbranch_execz .LBB28_50
.LBB28_34:                              ; =>This Loop Header: Depth=1
                                        ;     Child Loop BB28_36 Depth 2
                                        ;       Child Loop BB28_42 Depth 3
                                        ;       Child Loop BB28_48 Depth 3
	v_ashrrev_i32_e32 v4, 31, v3
	s_mov_b32 s3, 0
	s_delay_alu instid0(VALU_DEP_1) | instskip(SKIP_1) | instid1(VALU_DEP_2)
	v_lshlrev_b64 v[5:6], 3, v[3:4]
	v_lshlrev_b64 v[7:8], 2, v[3:4]
	v_add_co_u32 v5, vcc_lo, s40, v5
	s_delay_alu instid0(VALU_DEP_3) | instskip(NEXT) | instid1(VALU_DEP_3)
	v_add_co_ci_u32_e32 v6, vcc_lo, s41, v6, vcc_lo
	v_add_co_u32 v7, vcc_lo, s38, v7
	s_delay_alu instid0(VALU_DEP_4)
	v_add_co_ci_u32_e32 v8, vcc_lo, s39, v8, vcc_lo
	global_load_b64 v[5:6], v[5:6], off
	global_load_b32 v7, v[7:8], off
	s_waitcnt vmcnt(1)
	v_mul_f64 v[4:5], v[1:2], v[5:6]
	s_waitcnt vmcnt(0)
	v_subrev_nc_u32_e32 v8, s47, v7
	s_delay_alu instid0(VALU_DEP_1) | instskip(NEXT) | instid1(VALU_DEP_1)
	v_mul_lo_u32 v6, 0x89, v8
	v_and_b32_e32 v9, 0x7ff, v6
	s_branch .LBB28_36
.LBB28_35:                              ;   in Loop: Header=BB28_36 Depth=2
	s_or_b32 exec_lo, exec_lo, s4
	s_xor_b32 s4, s5, -1
	s_delay_alu instid0(SALU_CYCLE_1) | instskip(NEXT) | instid1(SALU_CYCLE_1)
	s_and_b32 s4, exec_lo, s4
	s_or_b32 s3, s4, s3
	s_delay_alu instid0(SALU_CYCLE_1)
	s_and_not1_b32 exec_lo, exec_lo, s3
	s_cbranch_execz .LBB28_33
.LBB28_36:                              ;   Parent Loop BB28_34 Depth=1
                                        ; =>  This Loop Header: Depth=2
                                        ;       Child Loop BB28_42 Depth 3
                                        ;       Child Loop BB28_48 Depth 3
	s_delay_alu instid0(VALU_DEP_1)
	v_lshl_add_u32 v6, v9, 2, 0
	s_mov_b32 s4, exec_lo
                                        ; implicit-def: $sgpr5
	ds_load_b32 v7, v6
	s_waitcnt lgkmcnt(0)
	v_cmpx_ne_u32_e64 v7, v8
	s_xor_b32 s4, exec_lo, s4
	s_cbranch_execz .LBB28_46
; %bb.37:                               ;   in Loop: Header=BB28_36 Depth=2
	s_mov_b32 s6, exec_lo
                                        ; implicit-def: $sgpr5
	v_cmpx_ne_u32_e64 s33, v7
	s_xor_b32 s6, exec_lo, s6
; %bb.38:                               ;   in Loop: Header=BB28_36 Depth=2
	v_add_nc_u32_e32 v6, 1, v9
	s_mov_b32 s5, -1
	s_delay_alu instid0(VALU_DEP_1)
	v_and_b32_e32 v9, 0x7ff, v6
                                        ; implicit-def: $vgpr6
; %bb.39:                               ;   in Loop: Header=BB28_36 Depth=2
	s_and_not1_saveexec_b32 s6, s6
	s_cbranch_execz .LBB28_45
; %bb.40:                               ;   in Loop: Header=BB28_36 Depth=2
	v_mov_b32_e32 v7, s33
	s_mov_b32 s8, -1
	s_mov_b32 s7, exec_lo
	ds_cmpstore_rtn_b32 v7, v6, v8, v7
	s_waitcnt lgkmcnt(0)
	v_cmpx_eq_u32_e64 s33, v7
	s_cbranch_execz .LBB28_44
; %bb.41:                               ;   in Loop: Header=BB28_36 Depth=2
	v_lshlrev_b32_e32 v7, 2, v9
	s_mov_b32 s8, 0
	s_delay_alu instid0(VALU_DEP_1)
	v_add_nc_u32_e32 v10, v6, v7
	ds_load_b64 v[6:7], v10 offset:8192
.LBB28_42:                              ;   Parent Loop BB28_34 Depth=1
                                        ;     Parent Loop BB28_36 Depth=2
                                        ; =>    This Inner Loop Header: Depth=3
	s_waitcnt lgkmcnt(0)
	v_add_f64 v[11:12], v[6:7], v[4:5]
	ds_cmpstore_rtn_b64 v[11:12], v10, v[11:12], v[6:7] offset:8192
	s_waitcnt lgkmcnt(0)
	v_cmp_eq_u64_e32 vcc_lo, v[11:12], v[6:7]
	v_dual_mov_b32 v6, v11 :: v_dual_mov_b32 v7, v12
	s_or_b32 s8, vcc_lo, s8
	s_delay_alu instid0(SALU_CYCLE_1)
	s_and_not1_b32 exec_lo, exec_lo, s8
	s_cbranch_execnz .LBB28_42
; %bb.43:                               ;   in Loop: Header=BB28_36 Depth=2
	s_or_b32 exec_lo, exec_lo, s8
	s_delay_alu instid0(SALU_CYCLE_1)
	s_xor_b32 s8, exec_lo, -1
.LBB28_44:                              ;   in Loop: Header=BB28_36 Depth=2
	s_or_b32 exec_lo, exec_lo, s7
	s_delay_alu instid0(SALU_CYCLE_1) | instskip(SKIP_1) | instid1(SALU_CYCLE_1)
	s_and_not1_b32 s5, s5, exec_lo
	s_and_b32 s7, s8, exec_lo
	s_or_b32 s5, s5, s7
.LBB28_45:                              ;   in Loop: Header=BB28_36 Depth=2
	s_or_b32 exec_lo, exec_lo, s6
	s_delay_alu instid0(SALU_CYCLE_1)
	s_and_b32 s5, s5, exec_lo
                                        ; implicit-def: $vgpr6
.LBB28_46:                              ;   in Loop: Header=BB28_36 Depth=2
	s_and_not1_saveexec_b32 s4, s4
	s_cbranch_execz .LBB28_35
; %bb.47:                               ;   in Loop: Header=BB28_36 Depth=2
	v_lshlrev_b32_e32 v7, 2, v9
	s_mov_b32 s6, 0
	s_delay_alu instid0(VALU_DEP_1)
	v_add_nc_u32_e32 v10, v6, v7
	ds_load_b64 v[6:7], v10 offset:8192
.LBB28_48:                              ;   Parent Loop BB28_34 Depth=1
                                        ;     Parent Loop BB28_36 Depth=2
                                        ; =>    This Inner Loop Header: Depth=3
	s_waitcnt lgkmcnt(0)
	v_add_f64 v[11:12], v[6:7], v[4:5]
	ds_cmpstore_rtn_b64 v[11:12], v10, v[11:12], v[6:7] offset:8192
	s_waitcnt lgkmcnt(0)
	v_cmp_eq_u64_e32 vcc_lo, v[11:12], v[6:7]
	v_dual_mov_b32 v6, v11 :: v_dual_mov_b32 v7, v12
	s_or_b32 s6, vcc_lo, s6
	s_delay_alu instid0(SALU_CYCLE_1)
	s_and_not1_b32 exec_lo, exec_lo, s6
	s_cbranch_execnz .LBB28_48
; %bb.49:                               ;   in Loop: Header=BB28_36 Depth=2
	s_or_b32 exec_lo, exec_lo, s6
	s_delay_alu instid0(SALU_CYCLE_1)
	s_and_not1_b32 s5, s5, exec_lo
	s_branch .LBB28_35
.LBB28_50:
	s_or_b32 exec_lo, exec_lo, s1
.LBB28_51:
	v_mbcnt_lo_u32_b32 v1, -1, 0
	v_lshl_add_u32 v4, v18, 2, 0
	v_cmp_eq_u32_e32 vcc_lo, 0x3ff, v0
	v_cmp_lt_u32_e64 s0, 31, v0
	v_cmp_lt_u32_e64 s1, 63, v0
	v_xor_b32_e32 v1, 63, v1
	v_cmp_lt_u32_e64 s2, 0x5f, v0
	v_cmp_lt_u32_e64 s3, 0x7f, v0
	;; [unrolled: 1-line block ×4, first 2 shown]
	v_lshrrev_b64 v[1:2], v1, -1
	v_cmp_lt_u32_e64 s6, 0xdf, v0
	v_cmp_lt_u32_e64 s7, 0xff, v0
	;; [unrolled: 1-line block ×25, first 2 shown]
	v_dual_mov_b32 v5, 0 :: v_dual_mov_b32 v6, 0
	s_mov_b32 s36, 0
	s_waitcnt lgkmcnt(0)
	s_barrier
	buffer_gl0_inv
	s_branch .LBB28_53
.LBB28_52:                              ;   in Loop: Header=BB28_53 Depth=1
	s_or_b32 exec_lo, exec_lo, s31
	s_waitcnt lgkmcnt(0)
	s_barrier
	buffer_gl0_inv
	ds_load_b32 v2, v5 offset:24700
	v_add_co_u32 v16, s31, 0x400, v16
	s_delay_alu instid0(VALU_DEP_1) | instskip(SKIP_3) | instid1(SALU_CYCLE_1)
	s_xor_b32 s31, s31, -1
	v_add_nc_u32_e32 v17, 0x2000, v17
	v_add_nc_u32_e32 v15, 0x1000, v15
	s_and_b32 s31, exec_lo, s31
	s_or_b32 s36, s31, s36
	s_waitcnt lgkmcnt(0)
	v_add_nc_u32_e32 v6, v2, v6
	s_and_not1_b32 exec_lo, exec_lo, s36
	s_cbranch_execz .LBB28_119
.LBB28_53:                              ; =>This Inner Loop Header: Depth=1
	ds_load_b32 v7, v15
	ds_load_b64 v[2:3], v17
	s_waitcnt lgkmcnt(0)
	s_barrier
	buffer_gl0_inv
	v_cmp_gt_i32_e64 s31, s33, v7
	s_delay_alu instid0(VALU_DEP_1) | instskip(NEXT) | instid1(SALU_CYCLE_1)
	s_bcnt1_i32_b32 s37, s31
	v_dual_mov_b32 v9, s37 :: v_dual_and_b32 v8, s31, v1
	s_delay_alu instid0(VALU_DEP_1)
	v_bcnt_u32_b32 v8, v8, 0
	ds_store_b32 v4, v9 offset:24576
	s_waitcnt lgkmcnt(0)
	s_barrier
	buffer_gl0_inv
	s_and_saveexec_b32 s37, s0
	s_cbranch_execnz .LBB28_86
; %bb.54:                               ;   in Loop: Header=BB28_53 Depth=1
	s_or_b32 exec_lo, exec_lo, s37
	s_and_saveexec_b32 s37, s1
	s_cbranch_execnz .LBB28_87
.LBB28_55:                              ;   in Loop: Header=BB28_53 Depth=1
	s_or_b32 exec_lo, exec_lo, s37
	s_and_saveexec_b32 s37, s2
	s_cbranch_execnz .LBB28_88
.LBB28_56:                              ;   in Loop: Header=BB28_53 Depth=1
	s_or_b32 exec_lo, exec_lo, s37
	s_and_saveexec_b32 s37, s3
	s_cbranch_execnz .LBB28_89
.LBB28_57:                              ;   in Loop: Header=BB28_53 Depth=1
	s_or_b32 exec_lo, exec_lo, s37
	s_and_saveexec_b32 s37, s4
	s_cbranch_execnz .LBB28_90
.LBB28_58:                              ;   in Loop: Header=BB28_53 Depth=1
	s_or_b32 exec_lo, exec_lo, s37
	s_and_saveexec_b32 s37, s5
	s_cbranch_execnz .LBB28_91
.LBB28_59:                              ;   in Loop: Header=BB28_53 Depth=1
	s_or_b32 exec_lo, exec_lo, s37
	s_and_saveexec_b32 s37, s6
	s_cbranch_execnz .LBB28_92
.LBB28_60:                              ;   in Loop: Header=BB28_53 Depth=1
	s_or_b32 exec_lo, exec_lo, s37
	s_and_saveexec_b32 s37, s7
	s_cbranch_execnz .LBB28_93
.LBB28_61:                              ;   in Loop: Header=BB28_53 Depth=1
	s_or_b32 exec_lo, exec_lo, s37
	s_and_saveexec_b32 s37, s8
	s_cbranch_execnz .LBB28_94
.LBB28_62:                              ;   in Loop: Header=BB28_53 Depth=1
	s_or_b32 exec_lo, exec_lo, s37
	s_and_saveexec_b32 s37, s9
	s_cbranch_execnz .LBB28_95
.LBB28_63:                              ;   in Loop: Header=BB28_53 Depth=1
	s_or_b32 exec_lo, exec_lo, s37
	s_and_saveexec_b32 s37, s10
	s_cbranch_execnz .LBB28_96
.LBB28_64:                              ;   in Loop: Header=BB28_53 Depth=1
	s_or_b32 exec_lo, exec_lo, s37
	s_and_saveexec_b32 s37, s11
	s_cbranch_execnz .LBB28_97
.LBB28_65:                              ;   in Loop: Header=BB28_53 Depth=1
	s_or_b32 exec_lo, exec_lo, s37
	s_and_saveexec_b32 s37, s12
	s_cbranch_execnz .LBB28_98
.LBB28_66:                              ;   in Loop: Header=BB28_53 Depth=1
	s_or_b32 exec_lo, exec_lo, s37
	s_and_saveexec_b32 s37, s13
	s_cbranch_execnz .LBB28_99
.LBB28_67:                              ;   in Loop: Header=BB28_53 Depth=1
	s_or_b32 exec_lo, exec_lo, s37
	s_and_saveexec_b32 s37, s14
	s_cbranch_execnz .LBB28_100
.LBB28_68:                              ;   in Loop: Header=BB28_53 Depth=1
	s_or_b32 exec_lo, exec_lo, s37
	s_and_saveexec_b32 s37, s15
	s_cbranch_execnz .LBB28_101
.LBB28_69:                              ;   in Loop: Header=BB28_53 Depth=1
	s_or_b32 exec_lo, exec_lo, s37
	s_and_saveexec_b32 s37, s16
	s_cbranch_execnz .LBB28_102
.LBB28_70:                              ;   in Loop: Header=BB28_53 Depth=1
	s_or_b32 exec_lo, exec_lo, s37
	s_and_saveexec_b32 s37, s17
	s_cbranch_execnz .LBB28_103
.LBB28_71:                              ;   in Loop: Header=BB28_53 Depth=1
	s_or_b32 exec_lo, exec_lo, s37
	s_and_saveexec_b32 s37, s18
	s_cbranch_execnz .LBB28_104
.LBB28_72:                              ;   in Loop: Header=BB28_53 Depth=1
	s_or_b32 exec_lo, exec_lo, s37
	s_and_saveexec_b32 s37, s19
	s_cbranch_execnz .LBB28_105
.LBB28_73:                              ;   in Loop: Header=BB28_53 Depth=1
	s_or_b32 exec_lo, exec_lo, s37
	s_and_saveexec_b32 s37, s20
	s_cbranch_execnz .LBB28_106
.LBB28_74:                              ;   in Loop: Header=BB28_53 Depth=1
	s_or_b32 exec_lo, exec_lo, s37
	s_and_saveexec_b32 s37, s21
	s_cbranch_execnz .LBB28_107
.LBB28_75:                              ;   in Loop: Header=BB28_53 Depth=1
	s_or_b32 exec_lo, exec_lo, s37
	s_and_saveexec_b32 s37, s22
	s_cbranch_execnz .LBB28_108
.LBB28_76:                              ;   in Loop: Header=BB28_53 Depth=1
	s_or_b32 exec_lo, exec_lo, s37
	s_and_saveexec_b32 s37, s23
	s_cbranch_execnz .LBB28_109
.LBB28_77:                              ;   in Loop: Header=BB28_53 Depth=1
	s_or_b32 exec_lo, exec_lo, s37
	s_and_saveexec_b32 s37, s24
	s_cbranch_execnz .LBB28_110
.LBB28_78:                              ;   in Loop: Header=BB28_53 Depth=1
	s_or_b32 exec_lo, exec_lo, s37
	s_and_saveexec_b32 s37, s25
	s_cbranch_execnz .LBB28_111
.LBB28_79:                              ;   in Loop: Header=BB28_53 Depth=1
	s_or_b32 exec_lo, exec_lo, s37
	s_and_saveexec_b32 s37, s26
	s_cbranch_execnz .LBB28_112
.LBB28_80:                              ;   in Loop: Header=BB28_53 Depth=1
	s_or_b32 exec_lo, exec_lo, s37
	s_and_saveexec_b32 s37, s27
	s_cbranch_execnz .LBB28_113
.LBB28_81:                              ;   in Loop: Header=BB28_53 Depth=1
	s_or_b32 exec_lo, exec_lo, s37
	s_and_saveexec_b32 s37, s28
	s_cbranch_execnz .LBB28_114
.LBB28_82:                              ;   in Loop: Header=BB28_53 Depth=1
	s_or_b32 exec_lo, exec_lo, s37
	s_and_saveexec_b32 s37, s29
	s_cbranch_execnz .LBB28_115
.LBB28_83:                              ;   in Loop: Header=BB28_53 Depth=1
	s_or_b32 exec_lo, exec_lo, s37
	s_and_saveexec_b32 s37, s30
	s_cbranch_execnz .LBB28_116
.LBB28_84:                              ;   in Loop: Header=BB28_53 Depth=1
	s_or_b32 exec_lo, exec_lo, s37
	s_and_saveexec_b32 s37, s31
	s_cbranch_execnz .LBB28_117
.LBB28_85:                              ;   in Loop: Header=BB28_53 Depth=1
	s_or_b32 exec_lo, exec_lo, s37
	s_and_saveexec_b32 s31, vcc_lo
	s_cbranch_execz .LBB28_52
	s_branch .LBB28_118
.LBB28_86:                              ;   in Loop: Header=BB28_53 Depth=1
	ds_load_b32 v9, v5 offset:24576
	s_waitcnt lgkmcnt(0)
	v_add_nc_u32_e32 v8, v9, v8
	s_or_b32 exec_lo, exec_lo, s37
	s_and_saveexec_b32 s37, s1
	s_cbranch_execz .LBB28_55
.LBB28_87:                              ;   in Loop: Header=BB28_53 Depth=1
	ds_load_b32 v9, v5 offset:24580
	s_waitcnt lgkmcnt(0)
	v_add_nc_u32_e32 v8, v9, v8
	s_or_b32 exec_lo, exec_lo, s37
	s_and_saveexec_b32 s37, s2
	s_cbranch_execz .LBB28_56
.LBB28_88:                              ;   in Loop: Header=BB28_53 Depth=1
	ds_load_b32 v9, v5 offset:24584
	s_waitcnt lgkmcnt(0)
	v_add_nc_u32_e32 v8, v9, v8
	s_or_b32 exec_lo, exec_lo, s37
	s_and_saveexec_b32 s37, s3
	s_cbranch_execz .LBB28_57
.LBB28_89:                              ;   in Loop: Header=BB28_53 Depth=1
	ds_load_b32 v9, v5 offset:24588
	s_waitcnt lgkmcnt(0)
	v_add_nc_u32_e32 v8, v9, v8
	s_or_b32 exec_lo, exec_lo, s37
	s_and_saveexec_b32 s37, s4
	s_cbranch_execz .LBB28_58
.LBB28_90:                              ;   in Loop: Header=BB28_53 Depth=1
	ds_load_b32 v9, v5 offset:24592
	s_waitcnt lgkmcnt(0)
	v_add_nc_u32_e32 v8, v9, v8
	s_or_b32 exec_lo, exec_lo, s37
	s_and_saveexec_b32 s37, s5
	s_cbranch_execz .LBB28_59
.LBB28_91:                              ;   in Loop: Header=BB28_53 Depth=1
	ds_load_b32 v9, v5 offset:24596
	s_waitcnt lgkmcnt(0)
	v_add_nc_u32_e32 v8, v9, v8
	s_or_b32 exec_lo, exec_lo, s37
	s_and_saveexec_b32 s37, s6
	s_cbranch_execz .LBB28_60
.LBB28_92:                              ;   in Loop: Header=BB28_53 Depth=1
	ds_load_b32 v9, v5 offset:24600
	s_waitcnt lgkmcnt(0)
	v_add_nc_u32_e32 v8, v9, v8
	s_or_b32 exec_lo, exec_lo, s37
	s_and_saveexec_b32 s37, s7
	s_cbranch_execz .LBB28_61
.LBB28_93:                              ;   in Loop: Header=BB28_53 Depth=1
	ds_load_b32 v9, v5 offset:24604
	s_waitcnt lgkmcnt(0)
	v_add_nc_u32_e32 v8, v9, v8
	s_or_b32 exec_lo, exec_lo, s37
	s_and_saveexec_b32 s37, s8
	s_cbranch_execz .LBB28_62
.LBB28_94:                              ;   in Loop: Header=BB28_53 Depth=1
	ds_load_b32 v9, v5 offset:24608
	s_waitcnt lgkmcnt(0)
	v_add_nc_u32_e32 v8, v9, v8
	s_or_b32 exec_lo, exec_lo, s37
	s_and_saveexec_b32 s37, s9
	s_cbranch_execz .LBB28_63
.LBB28_95:                              ;   in Loop: Header=BB28_53 Depth=1
	ds_load_b32 v9, v5 offset:24612
	s_waitcnt lgkmcnt(0)
	v_add_nc_u32_e32 v8, v9, v8
	s_or_b32 exec_lo, exec_lo, s37
	s_and_saveexec_b32 s37, s10
	s_cbranch_execz .LBB28_64
.LBB28_96:                              ;   in Loop: Header=BB28_53 Depth=1
	ds_load_b32 v9, v5 offset:24616
	s_waitcnt lgkmcnt(0)
	v_add_nc_u32_e32 v8, v9, v8
	s_or_b32 exec_lo, exec_lo, s37
	s_and_saveexec_b32 s37, s11
	s_cbranch_execz .LBB28_65
.LBB28_97:                              ;   in Loop: Header=BB28_53 Depth=1
	ds_load_b32 v9, v5 offset:24620
	s_waitcnt lgkmcnt(0)
	v_add_nc_u32_e32 v8, v9, v8
	s_or_b32 exec_lo, exec_lo, s37
	s_and_saveexec_b32 s37, s12
	s_cbranch_execz .LBB28_66
.LBB28_98:                              ;   in Loop: Header=BB28_53 Depth=1
	ds_load_b32 v9, v5 offset:24624
	s_waitcnt lgkmcnt(0)
	v_add_nc_u32_e32 v8, v9, v8
	s_or_b32 exec_lo, exec_lo, s37
	s_and_saveexec_b32 s37, s13
	s_cbranch_execz .LBB28_67
.LBB28_99:                              ;   in Loop: Header=BB28_53 Depth=1
	ds_load_b32 v9, v5 offset:24628
	s_waitcnt lgkmcnt(0)
	v_add_nc_u32_e32 v8, v9, v8
	s_or_b32 exec_lo, exec_lo, s37
	s_and_saveexec_b32 s37, s14
	s_cbranch_execz .LBB28_68
.LBB28_100:                             ;   in Loop: Header=BB28_53 Depth=1
	ds_load_b32 v9, v5 offset:24632
	s_waitcnt lgkmcnt(0)
	v_add_nc_u32_e32 v8, v9, v8
	s_or_b32 exec_lo, exec_lo, s37
	s_and_saveexec_b32 s37, s15
	s_cbranch_execz .LBB28_69
.LBB28_101:                             ;   in Loop: Header=BB28_53 Depth=1
	ds_load_b32 v9, v5 offset:24636
	s_waitcnt lgkmcnt(0)
	v_add_nc_u32_e32 v8, v9, v8
	s_or_b32 exec_lo, exec_lo, s37
	s_and_saveexec_b32 s37, s16
	s_cbranch_execz .LBB28_70
.LBB28_102:                             ;   in Loop: Header=BB28_53 Depth=1
	ds_load_b32 v9, v5 offset:24640
	s_waitcnt lgkmcnt(0)
	v_add_nc_u32_e32 v8, v9, v8
	s_or_b32 exec_lo, exec_lo, s37
	s_and_saveexec_b32 s37, s17
	s_cbranch_execz .LBB28_71
.LBB28_103:                             ;   in Loop: Header=BB28_53 Depth=1
	ds_load_b32 v9, v5 offset:24644
	s_waitcnt lgkmcnt(0)
	v_add_nc_u32_e32 v8, v9, v8
	s_or_b32 exec_lo, exec_lo, s37
	s_and_saveexec_b32 s37, s18
	s_cbranch_execz .LBB28_72
.LBB28_104:                             ;   in Loop: Header=BB28_53 Depth=1
	ds_load_b32 v9, v5 offset:24648
	s_waitcnt lgkmcnt(0)
	v_add_nc_u32_e32 v8, v9, v8
	s_or_b32 exec_lo, exec_lo, s37
	s_and_saveexec_b32 s37, s19
	s_cbranch_execz .LBB28_73
.LBB28_105:                             ;   in Loop: Header=BB28_53 Depth=1
	ds_load_b32 v9, v5 offset:24652
	s_waitcnt lgkmcnt(0)
	v_add_nc_u32_e32 v8, v9, v8
	s_or_b32 exec_lo, exec_lo, s37
	s_and_saveexec_b32 s37, s20
	s_cbranch_execz .LBB28_74
.LBB28_106:                             ;   in Loop: Header=BB28_53 Depth=1
	ds_load_b32 v9, v5 offset:24656
	s_waitcnt lgkmcnt(0)
	v_add_nc_u32_e32 v8, v9, v8
	s_or_b32 exec_lo, exec_lo, s37
	s_and_saveexec_b32 s37, s21
	s_cbranch_execz .LBB28_75
.LBB28_107:                             ;   in Loop: Header=BB28_53 Depth=1
	ds_load_b32 v9, v5 offset:24660
	s_waitcnt lgkmcnt(0)
	v_add_nc_u32_e32 v8, v9, v8
	s_or_b32 exec_lo, exec_lo, s37
	s_and_saveexec_b32 s37, s22
	s_cbranch_execz .LBB28_76
.LBB28_108:                             ;   in Loop: Header=BB28_53 Depth=1
	ds_load_b32 v9, v5 offset:24664
	s_waitcnt lgkmcnt(0)
	v_add_nc_u32_e32 v8, v9, v8
	s_or_b32 exec_lo, exec_lo, s37
	s_and_saveexec_b32 s37, s23
	s_cbranch_execz .LBB28_77
.LBB28_109:                             ;   in Loop: Header=BB28_53 Depth=1
	ds_load_b32 v9, v5 offset:24668
	s_waitcnt lgkmcnt(0)
	v_add_nc_u32_e32 v8, v9, v8
	s_or_b32 exec_lo, exec_lo, s37
	s_and_saveexec_b32 s37, s24
	s_cbranch_execz .LBB28_78
.LBB28_110:                             ;   in Loop: Header=BB28_53 Depth=1
	ds_load_b32 v9, v5 offset:24672
	s_waitcnt lgkmcnt(0)
	v_add_nc_u32_e32 v8, v9, v8
	s_or_b32 exec_lo, exec_lo, s37
	s_and_saveexec_b32 s37, s25
	s_cbranch_execz .LBB28_79
.LBB28_111:                             ;   in Loop: Header=BB28_53 Depth=1
	ds_load_b32 v9, v5 offset:24676
	s_waitcnt lgkmcnt(0)
	v_add_nc_u32_e32 v8, v9, v8
	s_or_b32 exec_lo, exec_lo, s37
	s_and_saveexec_b32 s37, s26
	s_cbranch_execz .LBB28_80
.LBB28_112:                             ;   in Loop: Header=BB28_53 Depth=1
	ds_load_b32 v9, v5 offset:24680
	s_waitcnt lgkmcnt(0)
	v_add_nc_u32_e32 v8, v9, v8
	s_or_b32 exec_lo, exec_lo, s37
	s_and_saveexec_b32 s37, s27
	s_cbranch_execz .LBB28_81
.LBB28_113:                             ;   in Loop: Header=BB28_53 Depth=1
	ds_load_b32 v9, v5 offset:24684
	s_waitcnt lgkmcnt(0)
	v_add_nc_u32_e32 v8, v9, v8
	s_or_b32 exec_lo, exec_lo, s37
	s_and_saveexec_b32 s37, s28
	s_cbranch_execz .LBB28_82
.LBB28_114:                             ;   in Loop: Header=BB28_53 Depth=1
	ds_load_b32 v9, v5 offset:24688
	s_waitcnt lgkmcnt(0)
	v_add_nc_u32_e32 v8, v9, v8
	s_or_b32 exec_lo, exec_lo, s37
	s_and_saveexec_b32 s37, s29
	s_cbranch_execz .LBB28_83
.LBB28_115:                             ;   in Loop: Header=BB28_53 Depth=1
	ds_load_b32 v9, v5 offset:24692
	s_waitcnt lgkmcnt(0)
	v_add_nc_u32_e32 v8, v9, v8
	s_or_b32 exec_lo, exec_lo, s37
	s_and_saveexec_b32 s37, s30
	s_cbranch_execz .LBB28_84
.LBB28_116:                             ;   in Loop: Header=BB28_53 Depth=1
	ds_load_b32 v9, v5 offset:24696
	s_waitcnt lgkmcnt(0)
	v_add_nc_u32_e32 v8, v9, v8
	s_or_b32 exec_lo, exec_lo, s37
	s_and_saveexec_b32 s37, s31
	s_cbranch_execz .LBB28_85
.LBB28_117:                             ;   in Loop: Header=BB28_53 Depth=1
	s_delay_alu instid0(VALU_DEP_1) | instskip(NEXT) | instid1(VALU_DEP_1)
	v_add3_u32 v9, v6, -1, v8
	v_lshl_add_u32 v10, v9, 2, 0
	v_lshl_add_u32 v9, v9, 3, 0
	ds_store_b32 v10, v7
	ds_store_b64 v9, v[2:3] offset:8192
	s_or_b32 exec_lo, exec_lo, s37
	s_and_saveexec_b32 s31, vcc_lo
	s_cbranch_execz .LBB28_52
.LBB28_118:                             ;   in Loop: Header=BB28_53 Depth=1
	ds_store_b32 v5, v8 offset:24700
	s_branch .LBB28_52
.LBB28_119:
	s_or_b32 exec_lo, exec_lo, s36
	s_ashr_i32 s49, s48, 31
	s_mov_b32 s3, exec_lo
	s_lshl_b64 s[0:1], s[48:49], 2
	s_delay_alu instid0(SALU_CYCLE_1) | instskip(SKIP_4) | instid1(SALU_CYCLE_1)
	s_add_u32 s0, s42, s0
	s_addc_u32 s1, s43, s1
	s_load_b64 s[0:1], s[0:1], 0x0
	s_waitcnt lgkmcnt(0)
	s_sub_i32 s2, s1, s0
	v_cmpx_gt_i32_e64 s2, v0
	s_cbranch_execz .LBB28_129
; %bb.120:
	s_sub_i32 s3, s0, s46
	s_sub_i32 s0, s0, s1
	s_and_b32 s1, s2, 7
	s_cmp_lt_u32 s0, -7
	s_mov_b32 s7, 0
	s_cselect_b32 s4, -1, 0
	s_and_b32 s5, s2, -8
	s_cmp_lg_u32 s1, 0
	s_cselect_b32 s6, -1, 0
	s_branch .LBB28_122
.LBB28_121:                             ;   in Loop: Header=BB28_122 Depth=1
	s_waitcnt lgkmcnt(1)
	s_delay_alu instid0(VALU_DEP_1) | instskip(SKIP_1) | instid1(VALU_DEP_2)
	v_ashrrev_i32_e32 v4, 31, v3
	v_add_nc_u32_e32 v0, 0x400, v0
	v_lshlrev_b64 v[3:4], 3, v[3:4]
	s_delay_alu instid0(VALU_DEP_2) | instskip(SKIP_1) | instid1(VALU_DEP_2)
	v_cmp_le_i32_e32 vcc_lo, s2, v0
	s_or_b32 s7, vcc_lo, s7
	v_add_co_u32 v3, s0, s34, v3
	s_delay_alu instid0(VALU_DEP_1)
	v_add_co_ci_u32_e64 v4, s0, s35, v4, s0
	s_waitcnt lgkmcnt(0)
	global_store_b64 v[3:4], v[1:2], off
	s_and_not1_b32 exec_lo, exec_lo, s7
	s_cbranch_execz .LBB28_129
.LBB28_122:                             ; =>This Loop Header: Depth=1
                                        ;     Child Loop BB28_124 Depth 2
                                        ;     Child Loop BB28_128 Depth 2
	v_lshlrev_b32_e32 v1, 2, v0
	s_and_not1_b32 vcc_lo, exec_lo, s4
	s_mov_b32 s0, 0
	s_delay_alu instid0(VALU_DEP_1) | instskip(NEXT) | instid1(VALU_DEP_1)
	v_dual_mov_b32 v3, s3 :: v_dual_add_nc_u32 v2, 0, v1
	v_add_nc_u32_e32 v1, v2, v1
	ds_load_b32 v4, v2
	ds_load_b64 v[1:2], v1 offset:8192
	s_cbranch_vccnz .LBB28_126
; %bb.123:                              ;   in Loop: Header=BB28_122 Depth=1
	v_mov_b32_e32 v3, s3
	s_mov_b32 s8, 0
	s_set_inst_prefetch_distance 0x1
	.p2align	6
.LBB28_124:                             ;   Parent Loop BB28_122 Depth=1
                                        ; =>  This Inner Loop Header: Depth=2
	v_mov_b32_e32 v11, s8
	s_add_i32 s0, s0, 8
	s_add_i32 s8, s8, 32
	s_cmp_eq_u32 s5, s0
	ds_load_2addr_b32 v[5:6], v11 offset1:1
	ds_load_2addr_b32 v[7:8], v11 offset0:2 offset1:3
	ds_load_2addr_b32 v[9:10], v11 offset0:4 offset1:5
	;; [unrolled: 1-line block ×3, first 2 shown]
	s_waitcnt lgkmcnt(3)
	v_cmp_gt_i32_e32 vcc_lo, v4, v5
	v_cndmask_b32_e64 v5, 0, 1, vcc_lo
	s_waitcnt lgkmcnt(2)
	v_cmp_gt_i32_e32 vcc_lo, v4, v7
	v_cndmask_b32_e64 v7, 0, 1, vcc_lo
	v_cmp_gt_i32_e32 vcc_lo, v4, v6
	v_add_co_ci_u32_e32 v3, vcc_lo, v3, v5, vcc_lo
	s_waitcnt lgkmcnt(1)
	v_cmp_gt_i32_e32 vcc_lo, v4, v9
	v_cndmask_b32_e64 v5, 0, 1, vcc_lo
	v_cmp_gt_i32_e32 vcc_lo, v4, v8
	v_add_co_ci_u32_e32 v3, vcc_lo, v3, v7, vcc_lo
	;; [unrolled: 5-line block ×3, first 2 shown]
	v_cmp_gt_i32_e32 vcc_lo, v4, v12
	s_delay_alu instid0(VALU_DEP_2)
	v_add_co_ci_u32_e32 v3, vcc_lo, v3, v6, vcc_lo
	s_cbranch_scc0 .LBB28_124
; %bb.125:                              ;   in Loop: Header=BB28_122 Depth=1
	s_set_inst_prefetch_distance 0x2
	s_mov_b32 s0, s5
.LBB28_126:                             ;   in Loop: Header=BB28_122 Depth=1
	s_and_not1_b32 vcc_lo, exec_lo, s6
	s_cbranch_vccnz .LBB28_121
; %bb.127:                              ;   in Loop: Header=BB28_122 Depth=1
	s_lshl_b32 s0, s0, 2
	s_mov_b32 s8, s1
	s_add_i32 s0, s0, 0
.LBB28_128:                             ;   Parent Loop BB28_122 Depth=1
                                        ; =>  This Inner Loop Header: Depth=2
	s_delay_alu instid0(SALU_CYCLE_1)
	v_mov_b32_e32 v5, s0
	s_add_i32 s8, s8, -1
	s_add_i32 s0, s0, 4
	s_cmp_lg_u32 s8, 0
	ds_load_b32 v5, v5
	s_waitcnt lgkmcnt(0)
	v_cmp_gt_i32_e32 vcc_lo, v4, v5
	v_add_co_ci_u32_e32 v3, vcc_lo, 0, v3, vcc_lo
	s_cbranch_scc1 .LBB28_128
	s_branch .LBB28_121
.LBB28_129:
	s_nop 0
	s_sendmsg sendmsg(MSG_DEALLOC_VGPRS)
	s_endpgm
	.section	.rodata,"a",@progbits
	.p2align	6, 0x0
	.amdhsa_kernel _ZN9rocsparseL41csrgemm_numeric_fill_block_per_row_kernelILj1024ELj32ELj2048ELj137ELj32EiidEEvT5_PKS1_S3_NS_24const_host_device_scalarIT6_EEPKT4_S3_PKS5_S9_S3_SB_S6_S9_S3_SB_S9_S3_PS5_21rocsparse_index_base_SD_SD_SD_bbb
		.amdhsa_group_segment_fixed_size 0
		.amdhsa_private_segment_fixed_size 0
		.amdhsa_kernarg_size 156
		.amdhsa_user_sgpr_count 15
		.amdhsa_user_sgpr_dispatch_ptr 0
		.amdhsa_user_sgpr_queue_ptr 0
		.amdhsa_user_sgpr_kernarg_segment_ptr 1
		.amdhsa_user_sgpr_dispatch_id 0
		.amdhsa_user_sgpr_private_segment_size 0
		.amdhsa_wavefront_size32 1
		.amdhsa_uses_dynamic_stack 0
		.amdhsa_enable_private_segment 0
		.amdhsa_system_sgpr_workgroup_id_x 1
		.amdhsa_system_sgpr_workgroup_id_y 0
		.amdhsa_system_sgpr_workgroup_id_z 0
		.amdhsa_system_sgpr_workgroup_info 0
		.amdhsa_system_vgpr_workitem_id 0
		.amdhsa_next_free_vgpr 24
		.amdhsa_next_free_sgpr 50
		.amdhsa_reserve_vcc 1
		.amdhsa_float_round_mode_32 0
		.amdhsa_float_round_mode_16_64 0
		.amdhsa_float_denorm_mode_32 3
		.amdhsa_float_denorm_mode_16_64 3
		.amdhsa_dx10_clamp 1
		.amdhsa_ieee_mode 1
		.amdhsa_fp16_overflow 0
		.amdhsa_workgroup_processor_mode 1
		.amdhsa_memory_ordered 1
		.amdhsa_forward_progress 0
		.amdhsa_shared_vgpr_count 0
		.amdhsa_exception_fp_ieee_invalid_op 0
		.amdhsa_exception_fp_denorm_src 0
		.amdhsa_exception_fp_ieee_div_zero 0
		.amdhsa_exception_fp_ieee_overflow 0
		.amdhsa_exception_fp_ieee_underflow 0
		.amdhsa_exception_fp_ieee_inexact 0
		.amdhsa_exception_int_div_zero 0
	.end_amdhsa_kernel
	.section	.text._ZN9rocsparseL41csrgemm_numeric_fill_block_per_row_kernelILj1024ELj32ELj2048ELj137ELj32EiidEEvT5_PKS1_S3_NS_24const_host_device_scalarIT6_EEPKT4_S3_PKS5_S9_S3_SB_S6_S9_S3_SB_S9_S3_PS5_21rocsparse_index_base_SD_SD_SD_bbb,"axG",@progbits,_ZN9rocsparseL41csrgemm_numeric_fill_block_per_row_kernelILj1024ELj32ELj2048ELj137ELj32EiidEEvT5_PKS1_S3_NS_24const_host_device_scalarIT6_EEPKT4_S3_PKS5_S9_S3_SB_S6_S9_S3_SB_S9_S3_PS5_21rocsparse_index_base_SD_SD_SD_bbb,comdat
.Lfunc_end28:
	.size	_ZN9rocsparseL41csrgemm_numeric_fill_block_per_row_kernelILj1024ELj32ELj2048ELj137ELj32EiidEEvT5_PKS1_S3_NS_24const_host_device_scalarIT6_EEPKT4_S3_PKS5_S9_S3_SB_S6_S9_S3_SB_S9_S3_PS5_21rocsparse_index_base_SD_SD_SD_bbb, .Lfunc_end28-_ZN9rocsparseL41csrgemm_numeric_fill_block_per_row_kernelILj1024ELj32ELj2048ELj137ELj32EiidEEvT5_PKS1_S3_NS_24const_host_device_scalarIT6_EEPKT4_S3_PKS5_S9_S3_SB_S6_S9_S3_SB_S9_S3_PS5_21rocsparse_index_base_SD_SD_SD_bbb
                                        ; -- End function
	.section	.AMDGPU.csdata,"",@progbits
; Kernel info:
; codeLenInByte = 4320
; NumSgprs: 52
; NumVgprs: 24
; ScratchSize: 0
; MemoryBound: 0
; FloatMode: 240
; IeeeMode: 1
; LDSByteSize: 0 bytes/workgroup (compile time only)
; SGPRBlocks: 6
; VGPRBlocks: 2
; NumSGPRsForWavesPerEU: 52
; NumVGPRsForWavesPerEU: 24
; Occupancy: 16
; WaveLimiterHint : 1
; COMPUTE_PGM_RSRC2:SCRATCH_EN: 0
; COMPUTE_PGM_RSRC2:USER_SGPR: 15
; COMPUTE_PGM_RSRC2:TRAP_HANDLER: 0
; COMPUTE_PGM_RSRC2:TGID_X_EN: 1
; COMPUTE_PGM_RSRC2:TGID_Y_EN: 0
; COMPUTE_PGM_RSRC2:TGID_Z_EN: 0
; COMPUTE_PGM_RSRC2:TIDIG_COMP_CNT: 0
	.section	.text._ZN9rocsparseL41csrgemm_numeric_fill_block_per_row_kernelILj1024ELj32ELj2048ELj137ELj64EiidEEvT5_PKS1_S3_NS_24const_host_device_scalarIT6_EEPKT4_S3_PKS5_S9_S3_SB_S6_S9_S3_SB_S9_S3_PS5_21rocsparse_index_base_SD_SD_SD_bbb,"axG",@progbits,_ZN9rocsparseL41csrgemm_numeric_fill_block_per_row_kernelILj1024ELj32ELj2048ELj137ELj64EiidEEvT5_PKS1_S3_NS_24const_host_device_scalarIT6_EEPKT4_S3_PKS5_S9_S3_SB_S6_S9_S3_SB_S9_S3_PS5_21rocsparse_index_base_SD_SD_SD_bbb,comdat
	.globl	_ZN9rocsparseL41csrgemm_numeric_fill_block_per_row_kernelILj1024ELj32ELj2048ELj137ELj64EiidEEvT5_PKS1_S3_NS_24const_host_device_scalarIT6_EEPKT4_S3_PKS5_S9_S3_SB_S6_S9_S3_SB_S9_S3_PS5_21rocsparse_index_base_SD_SD_SD_bbb ; -- Begin function _ZN9rocsparseL41csrgemm_numeric_fill_block_per_row_kernelILj1024ELj32ELj2048ELj137ELj64EiidEEvT5_PKS1_S3_NS_24const_host_device_scalarIT6_EEPKT4_S3_PKS5_S9_S3_SB_S6_S9_S3_SB_S9_S3_PS5_21rocsparse_index_base_SD_SD_SD_bbb
	.p2align	8
	.type	_ZN9rocsparseL41csrgemm_numeric_fill_block_per_row_kernelILj1024ELj32ELj2048ELj137ELj64EiidEEvT5_PKS1_S3_NS_24const_host_device_scalarIT6_EEPKT4_S3_PKS5_S9_S3_SB_S6_S9_S3_SB_S9_S3_PS5_21rocsparse_index_base_SD_SD_SD_bbb,@function
_ZN9rocsparseL41csrgemm_numeric_fill_block_per_row_kernelILj1024ELj32ELj2048ELj137ELj64EiidEEvT5_PKS1_S3_NS_24const_host_device_scalarIT6_EEPKT4_S3_PKS5_S9_S3_SB_S6_S9_S3_SB_S9_S3_PS5_21rocsparse_index_base_SD_SD_SD_bbb: ; @_ZN9rocsparseL41csrgemm_numeric_fill_block_per_row_kernelILj1024ELj32ELj2048ELj137ELj64EiidEEvT5_PKS1_S3_NS_24const_host_device_scalarIT6_EEPKT4_S3_PKS5_S9_S3_SB_S6_S9_S3_SB_S9_S3_PS5_21rocsparse_index_base_SD_SD_SD_bbb
; %bb.0:
	s_clause 0x3
	s_load_b32 s12, s[0:1], 0x98
	s_load_b64 s[4:5], s[0:1], 0x18
	s_load_b128 s[24:27], s[0:1], 0x88
	s_load_b64 s[2:3], s[0:1], 0x50
	s_waitcnt lgkmcnt(0)
	s_and_b32 s6, 1, s12
	s_bitcmp1_b32 s12, 16
	s_cselect_b32 s14, -1, 0
	s_cmp_eq_u32 s6, 1
	s_cselect_b32 s13, -1, 0
	s_delay_alu instid0(SALU_CYCLE_1)
	s_and_b32 s6, s13, exec_lo
	s_cselect_b32 s7, s5, 0
	s_cselect_b32 s6, s4, 0
	s_xor_b32 s8, s13, -1
	v_dual_mov_b32 v3, s6 :: v_dual_mov_b32 v4, s7
	s_or_b32 s8, s8, s14
	s_delay_alu instid0(SALU_CYCLE_1)
	s_and_b32 vcc_lo, exec_lo, s8
	s_cbranch_vccnz .LBB29_2
; %bb.1:
	v_dual_mov_b32 v1, s4 :: v_dual_mov_b32 v2, s5
	flat_load_b64 v[3:4], v[1:2]
.LBB29_2:
	s_clause 0x4
	s_load_b64 s[34:35], s[0:1], 0x80
	s_load_b256 s[16:23], s[0:1], 0x58
	s_load_b128 s[28:31], s[0:1], 0x40
	s_load_b128 s[36:39], s[0:1], 0x8
	s_load_b256 s[4:11], s[0:1], 0x20
	s_bitcmp1_b32 s12, 8
	s_cselect_b32 s12, -1, 0
	s_delay_alu instid0(SALU_CYCLE_1)
	s_and_b32 s33, s12, exec_lo
	s_cselect_b32 s41, s3, 0
	s_cselect_b32 s40, s2, 0
	s_xor_b32 s33, s12, -1
	v_dual_mov_b32 v1, s40 :: v_dual_mov_b32 v2, s41
	s_or_b32 s14, s33, s14
	s_delay_alu instid0(SALU_CYCLE_1)
	s_and_b32 vcc_lo, exec_lo, s14
	s_cbranch_vccnz .LBB29_4
; %bb.3:
	v_dual_mov_b32 v1, s2 :: v_dual_mov_b32 v2, s3
	flat_load_b64 v[1:2], v[1:2]
.LBB29_4:
	s_load_b32 s33, s[0:1], 0x0
	v_dual_mov_b32 v5, 0 :: v_dual_lshlrev_b32 v6, 3, v0
	v_lshl_add_u32 v15, v0, 2, 0
	v_or_b32_e32 v16, 0xfffffc00, v0
	s_mov_b32 s0, 0
	s_delay_alu instid0(VALU_DEP_3) | instskip(NEXT) | instid1(VALU_DEP_3)
	v_add3_u32 v17, v6, 0, 0x2000
	v_dual_mov_b32 v6, v5 :: v_dual_mov_b32 v7, v15
	s_delay_alu instid0(VALU_DEP_3) | instskip(SKIP_1) | instid1(VALU_DEP_3)
	v_mov_b32_e32 v8, v16
	s_waitcnt lgkmcnt(0)
	v_dual_mov_b32 v10, v17 :: v_dual_mov_b32 v9, s33
.LBB29_5:                               ; =>This Inner Loop Header: Depth=1
	s_delay_alu instid0(VALU_DEP_2) | instskip(NEXT) | instid1(VALU_DEP_1)
	v_add_co_u32 v8, s1, 0x400, v8
	s_xor_b32 s1, s1, -1
	ds_store_b32 v7, v9
	ds_store_b64 v10, v[5:6]
	v_add_nc_u32_e32 v10, 0x2000, v10
	v_add_nc_u32_e32 v7, 0x1000, v7
	s_and_b32 s1, exec_lo, s1
	s_delay_alu instid0(SALU_CYCLE_1) | instskip(NEXT) | instid1(SALU_CYCLE_1)
	s_or_b32 s0, s1, s0
	s_and_not1_b32 exec_lo, exec_lo, s0
	s_cbranch_execnz .LBB29_5
; %bb.6:
	s_or_b32 exec_lo, exec_lo, s0
	s_waitcnt vmcnt(0) lgkmcnt(0)
	s_barrier
	buffer_gl0_inv
	s_load_b32 s0, s[36:37], 0x0
	s_mov_b32 s1, 0
	s_waitcnt lgkmcnt(0)
	s_add_i32 s0, s0, s15
	s_delay_alu instid0(SALU_CYCLE_1) | instskip(NEXT) | instid1(SALU_CYCLE_1)
	s_lshl_b64 s[0:1], s[0:1], 2
	s_add_u32 s0, s38, s0
	s_addc_u32 s1, s39, s1
	s_and_b32 vcc_lo, exec_lo, s13
	s_load_b32 s36, s[0:1], 0x0
	s_cbranch_vccz .LBB29_30
; %bb.7:
	s_waitcnt lgkmcnt(0)
	s_ashr_i32 s37, s36, 31
	v_lshrrev_b32_e32 v5, 5, v0
	s_lshl_b64 s[0:1], s[36:37], 2
	s_delay_alu instid0(SALU_CYCLE_1) | instskip(SKIP_1) | instid1(VALU_DEP_1)
	s_add_u32 s0, s4, s0
	s_addc_u32 s1, s5, s1
	v_subrev_nc_u32_e32 v5, s24, v5
	s_load_b64 s[0:1], s[0:1], 0x0
	s_waitcnt lgkmcnt(0)
	s_delay_alu instid0(VALU_DEP_1) | instskip(SKIP_2) | instid1(VALU_DEP_1)
	v_add_nc_u32_e32 v5, s0, v5
	s_sub_i32 s0, s1, s24
	s_mov_b32 s1, exec_lo
	v_cmpx_gt_i32_e64 s0, v5
	s_cbranch_execz .LBB29_29
; %bb.8:
	v_and_b32_e32 v6, 31, v0
	s_mov_b32 s2, 0
	s_delay_alu instid0(VALU_DEP_1)
	v_subrev_nc_u32_e32 v18, s25, v6
	s_branch .LBB29_10
.LBB29_9:                               ;   in Loop: Header=BB29_10 Depth=1
	s_or_b32 exec_lo, exec_lo, s3
	v_add_nc_u32_e32 v5, 32, v5
	s_delay_alu instid0(VALU_DEP_1) | instskip(SKIP_1) | instid1(SALU_CYCLE_1)
	v_cmp_le_i32_e32 vcc_lo, s0, v5
	s_or_b32 s2, vcc_lo, s2
	s_and_not1_b32 exec_lo, exec_lo, s2
	s_cbranch_execz .LBB29_29
.LBB29_10:                              ; =>This Loop Header: Depth=1
                                        ;     Child Loop BB29_13 Depth 2
                                        ;       Child Loop BB29_15 Depth 3
                                        ;         Child Loop BB29_21 Depth 4
                                        ;         Child Loop BB29_27 Depth 4
	v_ashrrev_i32_e32 v6, 31, v5
	s_mov_b32 s3, exec_lo
	s_delay_alu instid0(VALU_DEP_1) | instskip(NEXT) | instid1(VALU_DEP_1)
	v_lshlrev_b64 v[7:8], 2, v[5:6]
	v_add_co_u32 v7, vcc_lo, s6, v7
	s_delay_alu instid0(VALU_DEP_2) | instskip(SKIP_3) | instid1(VALU_DEP_1)
	v_add_co_ci_u32_e32 v8, vcc_lo, s7, v8, vcc_lo
	global_load_b32 v7, v[7:8], off
	s_waitcnt vmcnt(0)
	v_subrev_nc_u32_e32 v7, s24, v7
	v_ashrrev_i32_e32 v8, 31, v7
	s_delay_alu instid0(VALU_DEP_1) | instskip(NEXT) | instid1(VALU_DEP_1)
	v_lshlrev_b64 v[7:8], 2, v[7:8]
	v_add_co_u32 v7, vcc_lo, s10, v7
	s_delay_alu instid0(VALU_DEP_2) | instskip(SKIP_4) | instid1(VALU_DEP_1)
	v_add_co_ci_u32_e32 v8, vcc_lo, s11, v8, vcc_lo
	global_load_b64 v[7:8], v[7:8], off
	s_waitcnt vmcnt(0)
	v_subrev_nc_u32_e32 v19, s25, v8
	v_add_nc_u32_e32 v7, v7, v18
	v_cmpx_lt_i32_e64 v7, v19
	s_cbranch_execz .LBB29_9
; %bb.11:                               ;   in Loop: Header=BB29_10 Depth=1
	v_lshlrev_b64 v[8:9], 3, v[5:6]
	s_mov_b32 s4, 0
	s_delay_alu instid0(VALU_DEP_1) | instskip(NEXT) | instid1(VALU_DEP_2)
	v_add_co_u32 v8, vcc_lo, s8, v8
	v_add_co_ci_u32_e32 v9, vcc_lo, s9, v9, vcc_lo
	global_load_b64 v[8:9], v[8:9], off
	s_waitcnt vmcnt(0)
	v_mul_f64 v[9:10], v[3:4], v[8:9]
	s_branch .LBB29_13
.LBB29_12:                              ;   in Loop: Header=BB29_13 Depth=2
	s_or_b32 exec_lo, exec_lo, s5
	v_add_nc_u32_e32 v7, 32, v7
	s_delay_alu instid0(VALU_DEP_1) | instskip(SKIP_1) | instid1(SALU_CYCLE_1)
	v_cmp_ge_i32_e32 vcc_lo, v7, v19
	s_or_b32 s4, vcc_lo, s4
	s_and_not1_b32 exec_lo, exec_lo, s4
	s_cbranch_execz .LBB29_9
.LBB29_13:                              ;   Parent Loop BB29_10 Depth=1
                                        ; =>  This Loop Header: Depth=2
                                        ;       Child Loop BB29_15 Depth 3
                                        ;         Child Loop BB29_21 Depth 4
                                        ;         Child Loop BB29_27 Depth 4
	v_ashrrev_i32_e32 v8, 31, v7
	s_mov_b32 s5, 0
	s_delay_alu instid0(VALU_DEP_1) | instskip(SKIP_1) | instid1(VALU_DEP_2)
	v_lshlrev_b64 v[11:12], 3, v[7:8]
	v_lshlrev_b64 v[13:14], 2, v[7:8]
	v_add_co_u32 v11, vcc_lo, s30, v11
	s_delay_alu instid0(VALU_DEP_3) | instskip(NEXT) | instid1(VALU_DEP_3)
	v_add_co_ci_u32_e32 v12, vcc_lo, s31, v12, vcc_lo
	v_add_co_u32 v13, vcc_lo, s28, v13
	s_delay_alu instid0(VALU_DEP_4)
	v_add_co_ci_u32_e32 v14, vcc_lo, s29, v14, vcc_lo
	global_load_b64 v[11:12], v[11:12], off
	global_load_b32 v6, v[13:14], off
	s_waitcnt vmcnt(1)
	v_mul_f64 v[11:12], v[9:10], v[11:12]
	s_waitcnt vmcnt(0)
	v_subrev_nc_u32_e32 v6, s25, v6
	s_delay_alu instid0(VALU_DEP_1) | instskip(NEXT) | instid1(VALU_DEP_1)
	v_mul_lo_u32 v8, 0x89, v6
	v_and_b32_e32 v8, 0x7ff, v8
	s_branch .LBB29_15
.LBB29_14:                              ;   in Loop: Header=BB29_15 Depth=3
	s_or_b32 exec_lo, exec_lo, s13
	s_xor_b32 s13, s14, -1
	s_delay_alu instid0(SALU_CYCLE_1) | instskip(NEXT) | instid1(SALU_CYCLE_1)
	s_and_b32 s13, exec_lo, s13
	s_or_b32 s5, s13, s5
	s_delay_alu instid0(SALU_CYCLE_1)
	s_and_not1_b32 exec_lo, exec_lo, s5
	s_cbranch_execz .LBB29_12
.LBB29_15:                              ;   Parent Loop BB29_10 Depth=1
                                        ;     Parent Loop BB29_13 Depth=2
                                        ; =>    This Loop Header: Depth=3
                                        ;         Child Loop BB29_21 Depth 4
                                        ;         Child Loop BB29_27 Depth 4
	s_delay_alu instid0(VALU_DEP_1)
	v_lshl_add_u32 v13, v8, 2, 0
	s_mov_b32 s13, exec_lo
                                        ; implicit-def: $sgpr14
	ds_load_b32 v14, v13
	s_waitcnt lgkmcnt(0)
	v_cmpx_ne_u32_e64 v14, v6
	s_xor_b32 s13, exec_lo, s13
	s_cbranch_execz .LBB29_25
; %bb.16:                               ;   in Loop: Header=BB29_15 Depth=3
	s_mov_b32 s15, exec_lo
                                        ; implicit-def: $sgpr14
	v_cmpx_ne_u32_e64 s33, v14
	s_xor_b32 s15, exec_lo, s15
; %bb.17:                               ;   in Loop: Header=BB29_15 Depth=3
	v_add_nc_u32_e32 v8, 1, v8
	s_mov_b32 s14, -1
                                        ; implicit-def: $vgpr13
	s_delay_alu instid0(VALU_DEP_1)
	v_and_b32_e32 v8, 0x7ff, v8
; %bb.18:                               ;   in Loop: Header=BB29_15 Depth=3
	s_and_not1_saveexec_b32 s15, s15
	s_cbranch_execz .LBB29_24
; %bb.19:                               ;   in Loop: Header=BB29_15 Depth=3
	v_mov_b32_e32 v14, s33
	s_mov_b32 s38, -1
	s_mov_b32 s37, exec_lo
	ds_cmpstore_rtn_b32 v14, v13, v6, v14
	s_waitcnt lgkmcnt(0)
	v_cmpx_eq_u32_e64 s33, v14
	s_cbranch_execz .LBB29_23
; %bb.20:                               ;   in Loop: Header=BB29_15 Depth=3
	v_lshlrev_b32_e32 v14, 2, v8
	s_mov_b32 s38, 0
	s_delay_alu instid0(VALU_DEP_1)
	v_add_nc_u32_e32 v20, v13, v14
	ds_load_b64 v[13:14], v20 offset:8192
.LBB29_21:                              ;   Parent Loop BB29_10 Depth=1
                                        ;     Parent Loop BB29_13 Depth=2
                                        ;       Parent Loop BB29_15 Depth=3
                                        ; =>      This Inner Loop Header: Depth=4
	s_waitcnt lgkmcnt(0)
	v_add_f64 v[21:22], v[13:14], v[11:12]
	ds_cmpstore_rtn_b64 v[21:22], v20, v[21:22], v[13:14] offset:8192
	s_waitcnt lgkmcnt(0)
	v_cmp_eq_u64_e32 vcc_lo, v[21:22], v[13:14]
	v_dual_mov_b32 v13, v21 :: v_dual_mov_b32 v14, v22
	s_or_b32 s38, vcc_lo, s38
	s_delay_alu instid0(SALU_CYCLE_1)
	s_and_not1_b32 exec_lo, exec_lo, s38
	s_cbranch_execnz .LBB29_21
; %bb.22:                               ;   in Loop: Header=BB29_15 Depth=3
	s_or_b32 exec_lo, exec_lo, s38
	s_delay_alu instid0(SALU_CYCLE_1)
	s_xor_b32 s38, exec_lo, -1
.LBB29_23:                              ;   in Loop: Header=BB29_15 Depth=3
	s_or_b32 exec_lo, exec_lo, s37
	s_delay_alu instid0(SALU_CYCLE_1) | instskip(SKIP_1) | instid1(SALU_CYCLE_1)
	s_and_not1_b32 s14, s14, exec_lo
	s_and_b32 s37, s38, exec_lo
	s_or_b32 s14, s14, s37
.LBB29_24:                              ;   in Loop: Header=BB29_15 Depth=3
	s_or_b32 exec_lo, exec_lo, s15
	s_delay_alu instid0(SALU_CYCLE_1)
	s_and_b32 s14, s14, exec_lo
                                        ; implicit-def: $vgpr13
.LBB29_25:                              ;   in Loop: Header=BB29_15 Depth=3
	s_and_not1_saveexec_b32 s13, s13
	s_cbranch_execz .LBB29_14
; %bb.26:                               ;   in Loop: Header=BB29_15 Depth=3
	v_lshlrev_b32_e32 v14, 2, v8
	s_mov_b32 s15, 0
	s_delay_alu instid0(VALU_DEP_1)
	v_add_nc_u32_e32 v20, v13, v14
	ds_load_b64 v[13:14], v20 offset:8192
.LBB29_27:                              ;   Parent Loop BB29_10 Depth=1
                                        ;     Parent Loop BB29_13 Depth=2
                                        ;       Parent Loop BB29_15 Depth=3
                                        ; =>      This Inner Loop Header: Depth=4
	s_waitcnt lgkmcnt(0)
	v_add_f64 v[21:22], v[13:14], v[11:12]
	ds_cmpstore_rtn_b64 v[21:22], v20, v[21:22], v[13:14] offset:8192
	s_waitcnt lgkmcnt(0)
	v_cmp_eq_u64_e32 vcc_lo, v[21:22], v[13:14]
	v_dual_mov_b32 v13, v21 :: v_dual_mov_b32 v14, v22
	s_or_b32 s15, vcc_lo, s15
	s_delay_alu instid0(SALU_CYCLE_1)
	s_and_not1_b32 exec_lo, exec_lo, s15
	s_cbranch_execnz .LBB29_27
; %bb.28:                               ;   in Loop: Header=BB29_15 Depth=3
	s_or_b32 exec_lo, exec_lo, s15
	s_delay_alu instid0(SALU_CYCLE_1)
	s_and_not1_b32 s14, s14, exec_lo
	s_branch .LBB29_14
.LBB29_29:
	s_or_b32 exec_lo, exec_lo, s1
.LBB29_30:
	s_delay_alu instid0(SALU_CYCLE_1)
	s_and_not1_b32 vcc_lo, exec_lo, s12
	s_cbranch_vccnz .LBB29_51
; %bb.31:
	s_waitcnt lgkmcnt(0)
	s_ashr_i32 s37, s36, 31
	v_subrev_nc_u32_e32 v3, s27, v0
	s_lshl_b64 s[0:1], s[36:37], 2
	s_delay_alu instid0(SALU_CYCLE_1)
	s_add_u32 s0, s16, s0
	s_addc_u32 s1, s17, s1
	s_load_b64 s[0:1], s[0:1], 0x0
	s_waitcnt lgkmcnt(0)
	v_add_nc_u32_e32 v3, s0, v3
	s_sub_i32 s0, s1, s27
	s_mov_b32 s1, exec_lo
	s_delay_alu instid0(VALU_DEP_1)
	v_cmpx_gt_i32_e64 s0, v3
	s_cbranch_execz .LBB29_50
; %bb.32:
	s_mov_b32 s2, 0
	s_branch .LBB29_34
.LBB29_33:                              ;   in Loop: Header=BB29_34 Depth=1
	s_or_b32 exec_lo, exec_lo, s3
	v_add_nc_u32_e32 v3, 0x400, v3
	s_delay_alu instid0(VALU_DEP_1) | instskip(SKIP_1) | instid1(SALU_CYCLE_1)
	v_cmp_le_i32_e32 vcc_lo, s0, v3
	s_or_b32 s2, vcc_lo, s2
	s_and_not1_b32 exec_lo, exec_lo, s2
	s_cbranch_execz .LBB29_50
.LBB29_34:                              ; =>This Loop Header: Depth=1
                                        ;     Child Loop BB29_36 Depth 2
                                        ;       Child Loop BB29_42 Depth 3
                                        ;       Child Loop BB29_48 Depth 3
	v_ashrrev_i32_e32 v4, 31, v3
	s_mov_b32 s3, 0
	s_delay_alu instid0(VALU_DEP_1) | instskip(SKIP_1) | instid1(VALU_DEP_2)
	v_lshlrev_b64 v[5:6], 3, v[3:4]
	v_lshlrev_b64 v[7:8], 2, v[3:4]
	v_add_co_u32 v5, vcc_lo, s20, v5
	s_delay_alu instid0(VALU_DEP_3) | instskip(NEXT) | instid1(VALU_DEP_3)
	v_add_co_ci_u32_e32 v6, vcc_lo, s21, v6, vcc_lo
	v_add_co_u32 v7, vcc_lo, s18, v7
	s_delay_alu instid0(VALU_DEP_4)
	v_add_co_ci_u32_e32 v8, vcc_lo, s19, v8, vcc_lo
	global_load_b64 v[5:6], v[5:6], off
	global_load_b32 v7, v[7:8], off
	s_waitcnt vmcnt(1)
	v_mul_f64 v[4:5], v[1:2], v[5:6]
	s_waitcnt vmcnt(0)
	v_subrev_nc_u32_e32 v8, s27, v7
	s_delay_alu instid0(VALU_DEP_1) | instskip(NEXT) | instid1(VALU_DEP_1)
	v_mul_lo_u32 v6, 0x89, v8
	v_and_b32_e32 v9, 0x7ff, v6
	s_branch .LBB29_36
.LBB29_35:                              ;   in Loop: Header=BB29_36 Depth=2
	s_or_b32 exec_lo, exec_lo, s4
	s_xor_b32 s4, s5, -1
	s_delay_alu instid0(SALU_CYCLE_1) | instskip(NEXT) | instid1(SALU_CYCLE_1)
	s_and_b32 s4, exec_lo, s4
	s_or_b32 s3, s4, s3
	s_delay_alu instid0(SALU_CYCLE_1)
	s_and_not1_b32 exec_lo, exec_lo, s3
	s_cbranch_execz .LBB29_33
.LBB29_36:                              ;   Parent Loop BB29_34 Depth=1
                                        ; =>  This Loop Header: Depth=2
                                        ;       Child Loop BB29_42 Depth 3
                                        ;       Child Loop BB29_48 Depth 3
	s_delay_alu instid0(VALU_DEP_1)
	v_lshl_add_u32 v6, v9, 2, 0
	s_mov_b32 s4, exec_lo
                                        ; implicit-def: $sgpr5
	ds_load_b32 v7, v6
	s_waitcnt lgkmcnt(0)
	v_cmpx_ne_u32_e64 v7, v8
	s_xor_b32 s4, exec_lo, s4
	s_cbranch_execz .LBB29_46
; %bb.37:                               ;   in Loop: Header=BB29_36 Depth=2
	s_mov_b32 s6, exec_lo
                                        ; implicit-def: $sgpr5
	v_cmpx_ne_u32_e64 s33, v7
	s_xor_b32 s6, exec_lo, s6
; %bb.38:                               ;   in Loop: Header=BB29_36 Depth=2
	v_add_nc_u32_e32 v6, 1, v9
	s_mov_b32 s5, -1
	s_delay_alu instid0(VALU_DEP_1)
	v_and_b32_e32 v9, 0x7ff, v6
                                        ; implicit-def: $vgpr6
; %bb.39:                               ;   in Loop: Header=BB29_36 Depth=2
	s_and_not1_saveexec_b32 s6, s6
	s_cbranch_execz .LBB29_45
; %bb.40:                               ;   in Loop: Header=BB29_36 Depth=2
	v_mov_b32_e32 v7, s33
	s_mov_b32 s8, -1
	s_mov_b32 s7, exec_lo
	ds_cmpstore_rtn_b32 v7, v6, v8, v7
	s_waitcnt lgkmcnt(0)
	v_cmpx_eq_u32_e64 s33, v7
	s_cbranch_execz .LBB29_44
; %bb.41:                               ;   in Loop: Header=BB29_36 Depth=2
	v_lshlrev_b32_e32 v7, 2, v9
	s_mov_b32 s8, 0
	s_delay_alu instid0(VALU_DEP_1)
	v_add_nc_u32_e32 v10, v6, v7
	ds_load_b64 v[6:7], v10 offset:8192
.LBB29_42:                              ;   Parent Loop BB29_34 Depth=1
                                        ;     Parent Loop BB29_36 Depth=2
                                        ; =>    This Inner Loop Header: Depth=3
	s_waitcnt lgkmcnt(0)
	v_add_f64 v[11:12], v[6:7], v[4:5]
	ds_cmpstore_rtn_b64 v[11:12], v10, v[11:12], v[6:7] offset:8192
	s_waitcnt lgkmcnt(0)
	v_cmp_eq_u64_e32 vcc_lo, v[11:12], v[6:7]
	v_dual_mov_b32 v6, v11 :: v_dual_mov_b32 v7, v12
	s_or_b32 s8, vcc_lo, s8
	s_delay_alu instid0(SALU_CYCLE_1)
	s_and_not1_b32 exec_lo, exec_lo, s8
	s_cbranch_execnz .LBB29_42
; %bb.43:                               ;   in Loop: Header=BB29_36 Depth=2
	s_or_b32 exec_lo, exec_lo, s8
	s_delay_alu instid0(SALU_CYCLE_1)
	s_xor_b32 s8, exec_lo, -1
.LBB29_44:                              ;   in Loop: Header=BB29_36 Depth=2
	s_or_b32 exec_lo, exec_lo, s7
	s_delay_alu instid0(SALU_CYCLE_1) | instskip(SKIP_1) | instid1(SALU_CYCLE_1)
	s_and_not1_b32 s5, s5, exec_lo
	s_and_b32 s7, s8, exec_lo
	s_or_b32 s5, s5, s7
.LBB29_45:                              ;   in Loop: Header=BB29_36 Depth=2
	s_or_b32 exec_lo, exec_lo, s6
	s_delay_alu instid0(SALU_CYCLE_1)
	s_and_b32 s5, s5, exec_lo
                                        ; implicit-def: $vgpr6
.LBB29_46:                              ;   in Loop: Header=BB29_36 Depth=2
	s_and_not1_saveexec_b32 s4, s4
	s_cbranch_execz .LBB29_35
; %bb.47:                               ;   in Loop: Header=BB29_36 Depth=2
	v_lshlrev_b32_e32 v7, 2, v9
	s_mov_b32 s6, 0
	s_delay_alu instid0(VALU_DEP_1)
	v_add_nc_u32_e32 v10, v6, v7
	ds_load_b64 v[6:7], v10 offset:8192
.LBB29_48:                              ;   Parent Loop BB29_34 Depth=1
                                        ;     Parent Loop BB29_36 Depth=2
                                        ; =>    This Inner Loop Header: Depth=3
	s_waitcnt lgkmcnt(0)
	v_add_f64 v[11:12], v[6:7], v[4:5]
	ds_cmpstore_rtn_b64 v[11:12], v10, v[11:12], v[6:7] offset:8192
	s_waitcnt lgkmcnt(0)
	v_cmp_eq_u64_e32 vcc_lo, v[11:12], v[6:7]
	v_dual_mov_b32 v6, v11 :: v_dual_mov_b32 v7, v12
	s_or_b32 s6, vcc_lo, s6
	s_delay_alu instid0(SALU_CYCLE_1)
	s_and_not1_b32 exec_lo, exec_lo, s6
	s_cbranch_execnz .LBB29_48
; %bb.49:                               ;   in Loop: Header=BB29_36 Depth=2
	s_or_b32 exec_lo, exec_lo, s6
	s_delay_alu instid0(SALU_CYCLE_1)
	s_and_not1_b32 s5, s5, exec_lo
	s_branch .LBB29_35
.LBB29_50:
	s_or_b32 exec_lo, exec_lo, s1
.LBB29_51:
	v_mbcnt_lo_u32_b32 v1, -1, 0
	v_lshrrev_b32_e32 v2, 4, v0
	v_cmp_eq_u32_e32 vcc_lo, 0x3ff, v0
	v_cmp_lt_u32_e64 s0, 63, v0
	v_cmp_lt_u32_e64 s1, 0x7f, v0
	v_xor_b32_e32 v1, 63, v1
	v_dual_mov_b32 v6, 0 :: v_dual_and_b32 v3, 60, v2
	v_cmp_lt_u32_e64 s2, 0xbf, v0
	v_cmp_lt_u32_e64 s3, 0xff, v0
	s_delay_alu instid0(VALU_DEP_4) | instskip(NEXT) | instid1(VALU_DEP_4)
	v_lshrrev_b64 v[1:2], v1, -1
	v_dual_mov_b32 v5, 0 :: v_dual_add_nc_u32 v4, 0, v3
	v_cmp_lt_u32_e64 s4, 0x13f, v0
	v_cmp_lt_u32_e64 s5, 0x17f, v0
	v_cmp_lt_u32_e64 s6, 0x1bf, v0
	v_cmp_lt_u32_e64 s7, 0x1ff, v0
	v_cmp_lt_u32_e64 s8, 0x23f, v0
	v_cmp_lt_u32_e64 s9, 0x27f, v0
	v_cmp_lt_u32_e64 s10, 0x2bf, v0
	v_cmp_lt_u32_e64 s11, 0x2ff, v0
	v_cmp_lt_u32_e64 s12, 0x33f, v0
	v_cmp_lt_u32_e64 s13, 0x37f, v0
	v_cmp_lt_u32_e64 s14, 0x3bf, v0
	s_mov_b32 s16, 0
	s_waitcnt lgkmcnt(0)
	s_barrier
	buffer_gl0_inv
	s_branch .LBB29_53
.LBB29_52:                              ;   in Loop: Header=BB29_53 Depth=1
	s_or_b32 exec_lo, exec_lo, s15
	s_waitcnt lgkmcnt(0)
	s_barrier
	buffer_gl0_inv
	ds_load_b32 v2, v5 offset:24636
	v_add_co_u32 v16, s15, 0x400, v16
	s_delay_alu instid0(VALU_DEP_1) | instskip(SKIP_3) | instid1(SALU_CYCLE_1)
	s_xor_b32 s15, s15, -1
	v_add_nc_u32_e32 v17, 0x2000, v17
	v_add_nc_u32_e32 v15, 0x1000, v15
	s_and_b32 s15, exec_lo, s15
	s_or_b32 s16, s15, s16
	s_waitcnt lgkmcnt(0)
	v_add_nc_u32_e32 v6, v2, v6
	s_and_not1_b32 exec_lo, exec_lo, s16
	s_cbranch_execz .LBB29_87
.LBB29_53:                              ; =>This Inner Loop Header: Depth=1
	ds_load_b32 v7, v15
	ds_load_b64 v[2:3], v17
	s_waitcnt lgkmcnt(0)
	s_barrier
	buffer_gl0_inv
	v_cmp_gt_i32_e64 s15, s33, v7
	s_delay_alu instid0(VALU_DEP_1) | instskip(NEXT) | instid1(SALU_CYCLE_1)
	s_bcnt1_i32_b32 s17, s15
	v_dual_mov_b32 v9, s17 :: v_dual_and_b32 v8, s15, v1
	s_delay_alu instid0(VALU_DEP_1)
	v_bcnt_u32_b32 v8, v8, 0
	ds_store_b32 v4, v9 offset:24576
	s_waitcnt lgkmcnt(0)
	s_barrier
	buffer_gl0_inv
	s_and_saveexec_b32 s17, s0
	s_cbranch_execnz .LBB29_70
; %bb.54:                               ;   in Loop: Header=BB29_53 Depth=1
	s_or_b32 exec_lo, exec_lo, s17
	s_and_saveexec_b32 s17, s1
	s_cbranch_execnz .LBB29_71
.LBB29_55:                              ;   in Loop: Header=BB29_53 Depth=1
	s_or_b32 exec_lo, exec_lo, s17
	s_and_saveexec_b32 s17, s2
	s_cbranch_execnz .LBB29_72
.LBB29_56:                              ;   in Loop: Header=BB29_53 Depth=1
	s_or_b32 exec_lo, exec_lo, s17
	s_and_saveexec_b32 s17, s3
	s_cbranch_execnz .LBB29_73
.LBB29_57:                              ;   in Loop: Header=BB29_53 Depth=1
	s_or_b32 exec_lo, exec_lo, s17
	s_and_saveexec_b32 s17, s4
	s_cbranch_execnz .LBB29_74
.LBB29_58:                              ;   in Loop: Header=BB29_53 Depth=1
	s_or_b32 exec_lo, exec_lo, s17
	s_and_saveexec_b32 s17, s5
	s_cbranch_execnz .LBB29_75
.LBB29_59:                              ;   in Loop: Header=BB29_53 Depth=1
	s_or_b32 exec_lo, exec_lo, s17
	s_and_saveexec_b32 s17, s6
	s_cbranch_execnz .LBB29_76
.LBB29_60:                              ;   in Loop: Header=BB29_53 Depth=1
	s_or_b32 exec_lo, exec_lo, s17
	s_and_saveexec_b32 s17, s7
	s_cbranch_execnz .LBB29_77
.LBB29_61:                              ;   in Loop: Header=BB29_53 Depth=1
	s_or_b32 exec_lo, exec_lo, s17
	s_and_saveexec_b32 s17, s8
	s_cbranch_execnz .LBB29_78
.LBB29_62:                              ;   in Loop: Header=BB29_53 Depth=1
	s_or_b32 exec_lo, exec_lo, s17
	s_and_saveexec_b32 s17, s9
	s_cbranch_execnz .LBB29_79
.LBB29_63:                              ;   in Loop: Header=BB29_53 Depth=1
	s_or_b32 exec_lo, exec_lo, s17
	s_and_saveexec_b32 s17, s10
	s_cbranch_execnz .LBB29_80
.LBB29_64:                              ;   in Loop: Header=BB29_53 Depth=1
	s_or_b32 exec_lo, exec_lo, s17
	s_and_saveexec_b32 s17, s11
	s_cbranch_execnz .LBB29_81
.LBB29_65:                              ;   in Loop: Header=BB29_53 Depth=1
	s_or_b32 exec_lo, exec_lo, s17
	s_and_saveexec_b32 s17, s12
	s_cbranch_execnz .LBB29_82
.LBB29_66:                              ;   in Loop: Header=BB29_53 Depth=1
	s_or_b32 exec_lo, exec_lo, s17
	s_and_saveexec_b32 s17, s13
	s_cbranch_execnz .LBB29_83
.LBB29_67:                              ;   in Loop: Header=BB29_53 Depth=1
	s_or_b32 exec_lo, exec_lo, s17
	s_and_saveexec_b32 s17, s14
	s_cbranch_execnz .LBB29_84
.LBB29_68:                              ;   in Loop: Header=BB29_53 Depth=1
	s_or_b32 exec_lo, exec_lo, s17
	s_and_saveexec_b32 s17, s15
	s_cbranch_execnz .LBB29_85
.LBB29_69:                              ;   in Loop: Header=BB29_53 Depth=1
	s_or_b32 exec_lo, exec_lo, s17
	s_and_saveexec_b32 s15, vcc_lo
	s_cbranch_execz .LBB29_52
	s_branch .LBB29_86
.LBB29_70:                              ;   in Loop: Header=BB29_53 Depth=1
	ds_load_b32 v9, v5 offset:24576
	s_waitcnt lgkmcnt(0)
	v_add_nc_u32_e32 v8, v9, v8
	s_or_b32 exec_lo, exec_lo, s17
	s_and_saveexec_b32 s17, s1
	s_cbranch_execz .LBB29_55
.LBB29_71:                              ;   in Loop: Header=BB29_53 Depth=1
	ds_load_b32 v9, v5 offset:24580
	s_waitcnt lgkmcnt(0)
	v_add_nc_u32_e32 v8, v9, v8
	s_or_b32 exec_lo, exec_lo, s17
	s_and_saveexec_b32 s17, s2
	s_cbranch_execz .LBB29_56
.LBB29_72:                              ;   in Loop: Header=BB29_53 Depth=1
	ds_load_b32 v9, v5 offset:24584
	s_waitcnt lgkmcnt(0)
	v_add_nc_u32_e32 v8, v9, v8
	s_or_b32 exec_lo, exec_lo, s17
	s_and_saveexec_b32 s17, s3
	s_cbranch_execz .LBB29_57
.LBB29_73:                              ;   in Loop: Header=BB29_53 Depth=1
	ds_load_b32 v9, v5 offset:24588
	s_waitcnt lgkmcnt(0)
	v_add_nc_u32_e32 v8, v9, v8
	s_or_b32 exec_lo, exec_lo, s17
	s_and_saveexec_b32 s17, s4
	s_cbranch_execz .LBB29_58
.LBB29_74:                              ;   in Loop: Header=BB29_53 Depth=1
	ds_load_b32 v9, v5 offset:24592
	s_waitcnt lgkmcnt(0)
	v_add_nc_u32_e32 v8, v9, v8
	s_or_b32 exec_lo, exec_lo, s17
	s_and_saveexec_b32 s17, s5
	s_cbranch_execz .LBB29_59
.LBB29_75:                              ;   in Loop: Header=BB29_53 Depth=1
	ds_load_b32 v9, v5 offset:24596
	s_waitcnt lgkmcnt(0)
	v_add_nc_u32_e32 v8, v9, v8
	s_or_b32 exec_lo, exec_lo, s17
	s_and_saveexec_b32 s17, s6
	s_cbranch_execz .LBB29_60
.LBB29_76:                              ;   in Loop: Header=BB29_53 Depth=1
	ds_load_b32 v9, v5 offset:24600
	s_waitcnt lgkmcnt(0)
	v_add_nc_u32_e32 v8, v9, v8
	s_or_b32 exec_lo, exec_lo, s17
	s_and_saveexec_b32 s17, s7
	s_cbranch_execz .LBB29_61
.LBB29_77:                              ;   in Loop: Header=BB29_53 Depth=1
	ds_load_b32 v9, v5 offset:24604
	s_waitcnt lgkmcnt(0)
	v_add_nc_u32_e32 v8, v9, v8
	s_or_b32 exec_lo, exec_lo, s17
	s_and_saveexec_b32 s17, s8
	s_cbranch_execz .LBB29_62
.LBB29_78:                              ;   in Loop: Header=BB29_53 Depth=1
	ds_load_b32 v9, v5 offset:24608
	s_waitcnt lgkmcnt(0)
	v_add_nc_u32_e32 v8, v9, v8
	s_or_b32 exec_lo, exec_lo, s17
	s_and_saveexec_b32 s17, s9
	s_cbranch_execz .LBB29_63
.LBB29_79:                              ;   in Loop: Header=BB29_53 Depth=1
	ds_load_b32 v9, v5 offset:24612
	s_waitcnt lgkmcnt(0)
	v_add_nc_u32_e32 v8, v9, v8
	s_or_b32 exec_lo, exec_lo, s17
	s_and_saveexec_b32 s17, s10
	s_cbranch_execz .LBB29_64
.LBB29_80:                              ;   in Loop: Header=BB29_53 Depth=1
	ds_load_b32 v9, v5 offset:24616
	s_waitcnt lgkmcnt(0)
	v_add_nc_u32_e32 v8, v9, v8
	s_or_b32 exec_lo, exec_lo, s17
	s_and_saveexec_b32 s17, s11
	s_cbranch_execz .LBB29_65
.LBB29_81:                              ;   in Loop: Header=BB29_53 Depth=1
	ds_load_b32 v9, v5 offset:24620
	s_waitcnt lgkmcnt(0)
	v_add_nc_u32_e32 v8, v9, v8
	s_or_b32 exec_lo, exec_lo, s17
	s_and_saveexec_b32 s17, s12
	s_cbranch_execz .LBB29_66
.LBB29_82:                              ;   in Loop: Header=BB29_53 Depth=1
	ds_load_b32 v9, v5 offset:24624
	s_waitcnt lgkmcnt(0)
	v_add_nc_u32_e32 v8, v9, v8
	s_or_b32 exec_lo, exec_lo, s17
	s_and_saveexec_b32 s17, s13
	s_cbranch_execz .LBB29_67
.LBB29_83:                              ;   in Loop: Header=BB29_53 Depth=1
	ds_load_b32 v9, v5 offset:24628
	s_waitcnt lgkmcnt(0)
	v_add_nc_u32_e32 v8, v9, v8
	s_or_b32 exec_lo, exec_lo, s17
	s_and_saveexec_b32 s17, s14
	s_cbranch_execz .LBB29_68
.LBB29_84:                              ;   in Loop: Header=BB29_53 Depth=1
	ds_load_b32 v9, v5 offset:24632
	s_waitcnt lgkmcnt(0)
	v_add_nc_u32_e32 v8, v9, v8
	s_or_b32 exec_lo, exec_lo, s17
	s_and_saveexec_b32 s17, s15
	s_cbranch_execz .LBB29_69
.LBB29_85:                              ;   in Loop: Header=BB29_53 Depth=1
	s_delay_alu instid0(VALU_DEP_1) | instskip(NEXT) | instid1(VALU_DEP_1)
	v_add3_u32 v9, v6, -1, v8
	v_lshl_add_u32 v10, v9, 2, 0
	v_lshl_add_u32 v9, v9, 3, 0
	ds_store_b32 v10, v7
	ds_store_b64 v9, v[2:3] offset:8192
	s_or_b32 exec_lo, exec_lo, s17
	s_and_saveexec_b32 s15, vcc_lo
	s_cbranch_execz .LBB29_52
.LBB29_86:                              ;   in Loop: Header=BB29_53 Depth=1
	ds_store_b32 v5, v8 offset:24636
	s_branch .LBB29_52
.LBB29_87:
	s_or_b32 exec_lo, exec_lo, s16
	s_ashr_i32 s37, s36, 31
	s_mov_b32 s3, exec_lo
	s_lshl_b64 s[0:1], s[36:37], 2
	s_delay_alu instid0(SALU_CYCLE_1) | instskip(SKIP_4) | instid1(SALU_CYCLE_1)
	s_add_u32 s0, s22, s0
	s_addc_u32 s1, s23, s1
	s_load_b64 s[0:1], s[0:1], 0x0
	s_waitcnt lgkmcnt(0)
	s_sub_i32 s2, s1, s0
	v_cmpx_gt_i32_e64 s2, v0
	s_cbranch_execz .LBB29_97
; %bb.88:
	s_sub_i32 s3, s0, s26
	s_sub_i32 s0, s0, s1
	s_and_b32 s1, s2, 7
	s_cmp_lt_u32 s0, -7
	s_mov_b32 s7, 0
	s_cselect_b32 s4, -1, 0
	s_and_b32 s5, s2, -8
	s_cmp_lg_u32 s1, 0
	s_cselect_b32 s6, -1, 0
	s_branch .LBB29_90
.LBB29_89:                              ;   in Loop: Header=BB29_90 Depth=1
	s_waitcnt lgkmcnt(1)
	s_delay_alu instid0(VALU_DEP_1) | instskip(SKIP_1) | instid1(VALU_DEP_2)
	v_ashrrev_i32_e32 v4, 31, v3
	v_add_nc_u32_e32 v0, 0x400, v0
	v_lshlrev_b64 v[3:4], 3, v[3:4]
	s_delay_alu instid0(VALU_DEP_2) | instskip(SKIP_1) | instid1(VALU_DEP_2)
	v_cmp_le_i32_e32 vcc_lo, s2, v0
	s_or_b32 s7, vcc_lo, s7
	v_add_co_u32 v3, s0, s34, v3
	s_delay_alu instid0(VALU_DEP_1)
	v_add_co_ci_u32_e64 v4, s0, s35, v4, s0
	s_waitcnt lgkmcnt(0)
	global_store_b64 v[3:4], v[1:2], off
	s_and_not1_b32 exec_lo, exec_lo, s7
	s_cbranch_execz .LBB29_97
.LBB29_90:                              ; =>This Loop Header: Depth=1
                                        ;     Child Loop BB29_92 Depth 2
                                        ;     Child Loop BB29_96 Depth 2
	v_lshlrev_b32_e32 v1, 2, v0
	s_and_not1_b32 vcc_lo, exec_lo, s4
	s_mov_b32 s0, 0
	s_delay_alu instid0(VALU_DEP_1) | instskip(NEXT) | instid1(VALU_DEP_1)
	v_dual_mov_b32 v3, s3 :: v_dual_add_nc_u32 v2, 0, v1
	v_add_nc_u32_e32 v1, v2, v1
	ds_load_b32 v4, v2
	ds_load_b64 v[1:2], v1 offset:8192
	s_cbranch_vccnz .LBB29_94
; %bb.91:                               ;   in Loop: Header=BB29_90 Depth=1
	v_mov_b32_e32 v3, s3
	s_mov_b32 s8, 0
	s_set_inst_prefetch_distance 0x1
	.p2align	6
.LBB29_92:                              ;   Parent Loop BB29_90 Depth=1
                                        ; =>  This Inner Loop Header: Depth=2
	v_mov_b32_e32 v11, s8
	s_add_i32 s0, s0, 8
	s_add_i32 s8, s8, 32
	s_cmp_eq_u32 s5, s0
	ds_load_2addr_b32 v[5:6], v11 offset1:1
	ds_load_2addr_b32 v[7:8], v11 offset0:2 offset1:3
	ds_load_2addr_b32 v[9:10], v11 offset0:4 offset1:5
	;; [unrolled: 1-line block ×3, first 2 shown]
	s_waitcnt lgkmcnt(3)
	v_cmp_gt_i32_e32 vcc_lo, v4, v5
	v_cndmask_b32_e64 v5, 0, 1, vcc_lo
	s_waitcnt lgkmcnt(2)
	v_cmp_gt_i32_e32 vcc_lo, v4, v7
	v_cndmask_b32_e64 v7, 0, 1, vcc_lo
	v_cmp_gt_i32_e32 vcc_lo, v4, v6
	v_add_co_ci_u32_e32 v3, vcc_lo, v3, v5, vcc_lo
	s_waitcnt lgkmcnt(1)
	v_cmp_gt_i32_e32 vcc_lo, v4, v9
	v_cndmask_b32_e64 v5, 0, 1, vcc_lo
	v_cmp_gt_i32_e32 vcc_lo, v4, v8
	v_add_co_ci_u32_e32 v3, vcc_lo, v3, v7, vcc_lo
	;; [unrolled: 5-line block ×3, first 2 shown]
	v_cmp_gt_i32_e32 vcc_lo, v4, v12
	s_delay_alu instid0(VALU_DEP_2)
	v_add_co_ci_u32_e32 v3, vcc_lo, v3, v6, vcc_lo
	s_cbranch_scc0 .LBB29_92
; %bb.93:                               ;   in Loop: Header=BB29_90 Depth=1
	s_set_inst_prefetch_distance 0x2
	s_mov_b32 s0, s5
.LBB29_94:                              ;   in Loop: Header=BB29_90 Depth=1
	s_and_not1_b32 vcc_lo, exec_lo, s6
	s_cbranch_vccnz .LBB29_89
; %bb.95:                               ;   in Loop: Header=BB29_90 Depth=1
	s_lshl_b32 s0, s0, 2
	s_mov_b32 s8, s1
	s_add_i32 s0, s0, 0
.LBB29_96:                              ;   Parent Loop BB29_90 Depth=1
                                        ; =>  This Inner Loop Header: Depth=2
	s_delay_alu instid0(SALU_CYCLE_1)
	v_mov_b32_e32 v5, s0
	s_add_i32 s8, s8, -1
	s_add_i32 s0, s0, 4
	s_cmp_lg_u32 s8, 0
	ds_load_b32 v5, v5
	s_waitcnt lgkmcnt(0)
	v_cmp_gt_i32_e32 vcc_lo, v4, v5
	v_add_co_ci_u32_e32 v3, vcc_lo, 0, v3, vcc_lo
	s_cbranch_scc1 .LBB29_96
	s_branch .LBB29_89
.LBB29_97:
	s_nop 0
	s_sendmsg sendmsg(MSG_DEALLOC_VGPRS)
	s_endpgm
	.section	.rodata,"a",@progbits
	.p2align	6, 0x0
	.amdhsa_kernel _ZN9rocsparseL41csrgemm_numeric_fill_block_per_row_kernelILj1024ELj32ELj2048ELj137ELj64EiidEEvT5_PKS1_S3_NS_24const_host_device_scalarIT6_EEPKT4_S3_PKS5_S9_S3_SB_S6_S9_S3_SB_S9_S3_PS5_21rocsparse_index_base_SD_SD_SD_bbb
		.amdhsa_group_segment_fixed_size 0
		.amdhsa_private_segment_fixed_size 0
		.amdhsa_kernarg_size 156
		.amdhsa_user_sgpr_count 15
		.amdhsa_user_sgpr_dispatch_ptr 0
		.amdhsa_user_sgpr_queue_ptr 0
		.amdhsa_user_sgpr_kernarg_segment_ptr 1
		.amdhsa_user_sgpr_dispatch_id 0
		.amdhsa_user_sgpr_private_segment_size 0
		.amdhsa_wavefront_size32 1
		.amdhsa_uses_dynamic_stack 0
		.amdhsa_enable_private_segment 0
		.amdhsa_system_sgpr_workgroup_id_x 1
		.amdhsa_system_sgpr_workgroup_id_y 0
		.amdhsa_system_sgpr_workgroup_id_z 0
		.amdhsa_system_sgpr_workgroup_info 0
		.amdhsa_system_vgpr_workitem_id 0
		.amdhsa_next_free_vgpr 23
		.amdhsa_next_free_sgpr 42
		.amdhsa_reserve_vcc 1
		.amdhsa_float_round_mode_32 0
		.amdhsa_float_round_mode_16_64 0
		.amdhsa_float_denorm_mode_32 3
		.amdhsa_float_denorm_mode_16_64 3
		.amdhsa_dx10_clamp 1
		.amdhsa_ieee_mode 1
		.amdhsa_fp16_overflow 0
		.amdhsa_workgroup_processor_mode 1
		.amdhsa_memory_ordered 1
		.amdhsa_forward_progress 0
		.amdhsa_shared_vgpr_count 0
		.amdhsa_exception_fp_ieee_invalid_op 0
		.amdhsa_exception_fp_denorm_src 0
		.amdhsa_exception_fp_ieee_div_zero 0
		.amdhsa_exception_fp_ieee_overflow 0
		.amdhsa_exception_fp_ieee_underflow 0
		.amdhsa_exception_fp_ieee_inexact 0
		.amdhsa_exception_int_div_zero 0
	.end_amdhsa_kernel
	.section	.text._ZN9rocsparseL41csrgemm_numeric_fill_block_per_row_kernelILj1024ELj32ELj2048ELj137ELj64EiidEEvT5_PKS1_S3_NS_24const_host_device_scalarIT6_EEPKT4_S3_PKS5_S9_S3_SB_S6_S9_S3_SB_S9_S3_PS5_21rocsparse_index_base_SD_SD_SD_bbb,"axG",@progbits,_ZN9rocsparseL41csrgemm_numeric_fill_block_per_row_kernelILj1024ELj32ELj2048ELj137ELj64EiidEEvT5_PKS1_S3_NS_24const_host_device_scalarIT6_EEPKT4_S3_PKS5_S9_S3_SB_S6_S9_S3_SB_S9_S3_PS5_21rocsparse_index_base_SD_SD_SD_bbb,comdat
.Lfunc_end29:
	.size	_ZN9rocsparseL41csrgemm_numeric_fill_block_per_row_kernelILj1024ELj32ELj2048ELj137ELj64EiidEEvT5_PKS1_S3_NS_24const_host_device_scalarIT6_EEPKT4_S3_PKS5_S9_S3_SB_S6_S9_S3_SB_S9_S3_PS5_21rocsparse_index_base_SD_SD_SD_bbb, .Lfunc_end29-_ZN9rocsparseL41csrgemm_numeric_fill_block_per_row_kernelILj1024ELj32ELj2048ELj137ELj64EiidEEvT5_PKS1_S3_NS_24const_host_device_scalarIT6_EEPKT4_S3_PKS5_S9_S3_SB_S6_S9_S3_SB_S9_S3_PS5_21rocsparse_index_base_SD_SD_SD_bbb
                                        ; -- End function
	.section	.AMDGPU.csdata,"",@progbits
; Kernel info:
; codeLenInByte = 3500
; NumSgprs: 44
; NumVgprs: 23
; ScratchSize: 0
; MemoryBound: 0
; FloatMode: 240
; IeeeMode: 1
; LDSByteSize: 0 bytes/workgroup (compile time only)
; SGPRBlocks: 5
; VGPRBlocks: 2
; NumSGPRsForWavesPerEU: 44
; NumVGPRsForWavesPerEU: 23
; Occupancy: 16
; WaveLimiterHint : 1
; COMPUTE_PGM_RSRC2:SCRATCH_EN: 0
; COMPUTE_PGM_RSRC2:USER_SGPR: 15
; COMPUTE_PGM_RSRC2:TRAP_HANDLER: 0
; COMPUTE_PGM_RSRC2:TGID_X_EN: 1
; COMPUTE_PGM_RSRC2:TGID_Y_EN: 0
; COMPUTE_PGM_RSRC2:TGID_Z_EN: 0
; COMPUTE_PGM_RSRC2:TIDIG_COMP_CNT: 0
	.section	.text._ZN9rocsparseL41csrgemm_numeric_fill_block_per_row_kernelILj1024ELj64ELj4096ELj137ELj32EiidEEvT5_PKS1_S3_NS_24const_host_device_scalarIT6_EEPKT4_S3_PKS5_S9_S3_SB_S6_S9_S3_SB_S9_S3_PS5_21rocsparse_index_base_SD_SD_SD_bbb,"axG",@progbits,_ZN9rocsparseL41csrgemm_numeric_fill_block_per_row_kernelILj1024ELj64ELj4096ELj137ELj32EiidEEvT5_PKS1_S3_NS_24const_host_device_scalarIT6_EEPKT4_S3_PKS5_S9_S3_SB_S6_S9_S3_SB_S9_S3_PS5_21rocsparse_index_base_SD_SD_SD_bbb,comdat
	.globl	_ZN9rocsparseL41csrgemm_numeric_fill_block_per_row_kernelILj1024ELj64ELj4096ELj137ELj32EiidEEvT5_PKS1_S3_NS_24const_host_device_scalarIT6_EEPKT4_S3_PKS5_S9_S3_SB_S6_S9_S3_SB_S9_S3_PS5_21rocsparse_index_base_SD_SD_SD_bbb ; -- Begin function _ZN9rocsparseL41csrgemm_numeric_fill_block_per_row_kernelILj1024ELj64ELj4096ELj137ELj32EiidEEvT5_PKS1_S3_NS_24const_host_device_scalarIT6_EEPKT4_S3_PKS5_S9_S3_SB_S6_S9_S3_SB_S9_S3_PS5_21rocsparse_index_base_SD_SD_SD_bbb
	.p2align	8
	.type	_ZN9rocsparseL41csrgemm_numeric_fill_block_per_row_kernelILj1024ELj64ELj4096ELj137ELj32EiidEEvT5_PKS1_S3_NS_24const_host_device_scalarIT6_EEPKT4_S3_PKS5_S9_S3_SB_S6_S9_S3_SB_S9_S3_PS5_21rocsparse_index_base_SD_SD_SD_bbb,@function
_ZN9rocsparseL41csrgemm_numeric_fill_block_per_row_kernelILj1024ELj64ELj4096ELj137ELj32EiidEEvT5_PKS1_S3_NS_24const_host_device_scalarIT6_EEPKT4_S3_PKS5_S9_S3_SB_S6_S9_S3_SB_S9_S3_PS5_21rocsparse_index_base_SD_SD_SD_bbb: ; @_ZN9rocsparseL41csrgemm_numeric_fill_block_per_row_kernelILj1024ELj64ELj4096ELj137ELj32EiidEEvT5_PKS1_S3_NS_24const_host_device_scalarIT6_EEPKT4_S3_PKS5_S9_S3_SB_S6_S9_S3_SB_S9_S3_PS5_21rocsparse_index_base_SD_SD_SD_bbb
; %bb.0:
	s_clause 0x3
	s_load_b32 s12, s[0:1], 0x98
	s_load_b64 s[4:5], s[0:1], 0x18
	s_load_b128 s[44:47], s[0:1], 0x88
	s_load_b64 s[2:3], s[0:1], 0x50
	s_waitcnt lgkmcnt(0)
	s_and_b32 s6, 1, s12
	s_bitcmp1_b32 s12, 16
	s_cselect_b32 s14, -1, 0
	s_cmp_eq_u32 s6, 1
	s_cselect_b32 s13, -1, 0
	s_delay_alu instid0(SALU_CYCLE_1)
	s_and_b32 s6, s13, exec_lo
	s_cselect_b32 s7, s5, 0
	s_cselect_b32 s6, s4, 0
	s_xor_b32 s8, s13, -1
	v_dual_mov_b32 v3, s6 :: v_dual_mov_b32 v4, s7
	s_or_b32 s8, s8, s14
	s_delay_alu instid0(SALU_CYCLE_1)
	s_and_b32 vcc_lo, exec_lo, s8
	s_cbranch_vccnz .LBB30_2
; %bb.1:
	v_dual_mov_b32 v1, s4 :: v_dual_mov_b32 v2, s5
	flat_load_b64 v[3:4], v[1:2]
.LBB30_2:
	s_clause 0x4
	s_load_b64 s[34:35], s[0:1], 0x80
	s_load_b256 s[36:43], s[0:1], 0x58
	s_load_b128 s[16:19], s[0:1], 0x40
	s_load_b128 s[20:23], s[0:1], 0x8
	s_load_b256 s[4:11], s[0:1], 0x20
	s_bitcmp1_b32 s12, 8
	s_cselect_b32 s12, -1, 0
	s_delay_alu instid0(SALU_CYCLE_1)
	s_and_b32 s24, s12, exec_lo
	s_cselect_b32 s25, s3, 0
	s_cselect_b32 s24, s2, 0
	s_xor_b32 s26, s12, -1
	v_dual_mov_b32 v1, s24 :: v_dual_mov_b32 v2, s25
	s_or_b32 s14, s26, s14
	s_delay_alu instid0(SALU_CYCLE_1)
	s_and_b32 vcc_lo, exec_lo, s14
	s_cbranch_vccnz .LBB30_4
; %bb.3:
	v_dual_mov_b32 v1, s2 :: v_dual_mov_b32 v2, s3
	flat_load_b64 v[1:2], v[1:2]
.LBB30_4:
	s_load_b32 s33, s[0:1], 0x0
	v_dual_mov_b32 v5, 0 :: v_dual_lshlrev_b32 v6, 3, v0
	v_lshl_add_u32 v15, v0, 2, 0
	v_or_b32_e32 v16, 0xfffffc00, v0
	s_mov_b32 s0, 0
	s_delay_alu instid0(VALU_DEP_3) | instskip(NEXT) | instid1(VALU_DEP_3)
	v_add3_u32 v17, v6, 0, 0x4000
	v_dual_mov_b32 v6, v5 :: v_dual_mov_b32 v7, v15
	s_delay_alu instid0(VALU_DEP_3) | instskip(SKIP_1) | instid1(VALU_DEP_3)
	v_mov_b32_e32 v8, v16
	s_waitcnt lgkmcnt(0)
	v_dual_mov_b32 v10, v17 :: v_dual_mov_b32 v9, s33
.LBB30_5:                               ; =>This Inner Loop Header: Depth=1
	s_delay_alu instid0(VALU_DEP_2)
	v_add_nc_u32_e32 v8, 0x400, v8
	ds_store_b32 v7, v9
	ds_store_b64 v10, v[5:6]
	v_add_nc_u32_e32 v10, 0x2000, v10
	v_add_nc_u32_e32 v7, 0x1000, v7
	v_cmp_lt_u32_e32 vcc_lo, 0xbff, v8
	s_or_b32 s0, vcc_lo, s0
	s_delay_alu instid0(SALU_CYCLE_1)
	s_and_not1_b32 exec_lo, exec_lo, s0
	s_cbranch_execnz .LBB30_5
; %bb.6:
	s_or_b32 exec_lo, exec_lo, s0
	s_waitcnt vmcnt(0) lgkmcnt(0)
	s_barrier
	buffer_gl0_inv
	s_load_b32 s0, s[20:21], 0x0
	s_mov_b32 s1, 0
	s_waitcnt lgkmcnt(0)
	s_add_i32 s0, s0, s15
	s_delay_alu instid0(SALU_CYCLE_1) | instskip(NEXT) | instid1(SALU_CYCLE_1)
	s_lshl_b64 s[0:1], s[0:1], 2
	s_add_u32 s0, s22, s0
	s_addc_u32 s1, s23, s1
	s_and_b32 vcc_lo, exec_lo, s13
	s_load_b32 s48, s[0:1], 0x0
	s_cbranch_vccz .LBB30_30
; %bb.7:
	s_waitcnt lgkmcnt(0)
	s_ashr_i32 s49, s48, 31
	v_lshrrev_b32_e32 v5, 6, v0
	s_lshl_b64 s[0:1], s[48:49], 2
	s_delay_alu instid0(SALU_CYCLE_1) | instskip(SKIP_1) | instid1(VALU_DEP_1)
	s_add_u32 s0, s4, s0
	s_addc_u32 s1, s5, s1
	v_subrev_nc_u32_e32 v5, s44, v5
	s_load_b64 s[0:1], s[0:1], 0x0
	s_waitcnt lgkmcnt(0)
	s_delay_alu instid0(VALU_DEP_1) | instskip(SKIP_2) | instid1(VALU_DEP_1)
	v_add_nc_u32_e32 v5, s0, v5
	s_sub_i32 s0, s1, s44
	s_mov_b32 s1, exec_lo
	v_cmpx_gt_i32_e64 s0, v5
	s_cbranch_execz .LBB30_29
; %bb.8:
	v_and_b32_e32 v6, 63, v0
	s_mov_b32 s2, 0
	s_delay_alu instid0(VALU_DEP_1)
	v_subrev_nc_u32_e32 v18, s45, v6
	s_branch .LBB30_10
.LBB30_9:                               ;   in Loop: Header=BB30_10 Depth=1
	s_or_b32 exec_lo, exec_lo, s3
	v_add_nc_u32_e32 v5, 16, v5
	s_delay_alu instid0(VALU_DEP_1) | instskip(SKIP_1) | instid1(SALU_CYCLE_1)
	v_cmp_le_i32_e32 vcc_lo, s0, v5
	s_or_b32 s2, vcc_lo, s2
	s_and_not1_b32 exec_lo, exec_lo, s2
	s_cbranch_execz .LBB30_29
.LBB30_10:                              ; =>This Loop Header: Depth=1
                                        ;     Child Loop BB30_13 Depth 2
                                        ;       Child Loop BB30_15 Depth 3
                                        ;         Child Loop BB30_21 Depth 4
                                        ;         Child Loop BB30_27 Depth 4
	v_ashrrev_i32_e32 v6, 31, v5
	s_mov_b32 s3, exec_lo
	s_delay_alu instid0(VALU_DEP_1) | instskip(NEXT) | instid1(VALU_DEP_1)
	v_lshlrev_b64 v[7:8], 2, v[5:6]
	v_add_co_u32 v7, vcc_lo, s6, v7
	s_delay_alu instid0(VALU_DEP_2) | instskip(SKIP_3) | instid1(VALU_DEP_1)
	v_add_co_ci_u32_e32 v8, vcc_lo, s7, v8, vcc_lo
	global_load_b32 v7, v[7:8], off
	s_waitcnt vmcnt(0)
	v_subrev_nc_u32_e32 v7, s44, v7
	v_ashrrev_i32_e32 v8, 31, v7
	s_delay_alu instid0(VALU_DEP_1) | instskip(NEXT) | instid1(VALU_DEP_1)
	v_lshlrev_b64 v[7:8], 2, v[7:8]
	v_add_co_u32 v7, vcc_lo, s10, v7
	s_delay_alu instid0(VALU_DEP_2) | instskip(SKIP_4) | instid1(VALU_DEP_1)
	v_add_co_ci_u32_e32 v8, vcc_lo, s11, v8, vcc_lo
	global_load_b64 v[7:8], v[7:8], off
	s_waitcnt vmcnt(0)
	v_subrev_nc_u32_e32 v19, s45, v8
	v_add_nc_u32_e32 v7, v7, v18
	v_cmpx_lt_i32_e64 v7, v19
	s_cbranch_execz .LBB30_9
; %bb.11:                               ;   in Loop: Header=BB30_10 Depth=1
	v_lshlrev_b64 v[8:9], 3, v[5:6]
	s_mov_b32 s4, 0
	s_delay_alu instid0(VALU_DEP_1) | instskip(NEXT) | instid1(VALU_DEP_2)
	v_add_co_u32 v8, vcc_lo, s8, v8
	v_add_co_ci_u32_e32 v9, vcc_lo, s9, v9, vcc_lo
	global_load_b64 v[8:9], v[8:9], off
	s_waitcnt vmcnt(0)
	v_mul_f64 v[9:10], v[3:4], v[8:9]
	s_branch .LBB30_13
.LBB30_12:                              ;   in Loop: Header=BB30_13 Depth=2
	s_or_b32 exec_lo, exec_lo, s5
	v_add_nc_u32_e32 v7, 64, v7
	s_delay_alu instid0(VALU_DEP_1) | instskip(SKIP_1) | instid1(SALU_CYCLE_1)
	v_cmp_ge_i32_e32 vcc_lo, v7, v19
	s_or_b32 s4, vcc_lo, s4
	s_and_not1_b32 exec_lo, exec_lo, s4
	s_cbranch_execz .LBB30_9
.LBB30_13:                              ;   Parent Loop BB30_10 Depth=1
                                        ; =>  This Loop Header: Depth=2
                                        ;       Child Loop BB30_15 Depth 3
                                        ;         Child Loop BB30_21 Depth 4
                                        ;         Child Loop BB30_27 Depth 4
	v_ashrrev_i32_e32 v8, 31, v7
	s_mov_b32 s5, 0
	s_delay_alu instid0(VALU_DEP_1) | instskip(SKIP_1) | instid1(VALU_DEP_2)
	v_lshlrev_b64 v[11:12], 3, v[7:8]
	v_lshlrev_b64 v[13:14], 2, v[7:8]
	v_add_co_u32 v11, vcc_lo, s18, v11
	s_delay_alu instid0(VALU_DEP_3) | instskip(NEXT) | instid1(VALU_DEP_3)
	v_add_co_ci_u32_e32 v12, vcc_lo, s19, v12, vcc_lo
	v_add_co_u32 v13, vcc_lo, s16, v13
	s_delay_alu instid0(VALU_DEP_4)
	v_add_co_ci_u32_e32 v14, vcc_lo, s17, v14, vcc_lo
	global_load_b64 v[11:12], v[11:12], off
	global_load_b32 v6, v[13:14], off
	s_waitcnt vmcnt(1)
	v_mul_f64 v[11:12], v[9:10], v[11:12]
	s_waitcnt vmcnt(0)
	v_subrev_nc_u32_e32 v6, s45, v6
	s_delay_alu instid0(VALU_DEP_1) | instskip(NEXT) | instid1(VALU_DEP_1)
	v_mul_lo_u32 v8, 0x89, v6
	v_and_b32_e32 v8, 0xfff, v8
	s_branch .LBB30_15
.LBB30_14:                              ;   in Loop: Header=BB30_15 Depth=3
	s_or_b32 exec_lo, exec_lo, s13
	s_xor_b32 s13, s14, -1
	s_delay_alu instid0(SALU_CYCLE_1) | instskip(NEXT) | instid1(SALU_CYCLE_1)
	s_and_b32 s13, exec_lo, s13
	s_or_b32 s5, s13, s5
	s_delay_alu instid0(SALU_CYCLE_1)
	s_and_not1_b32 exec_lo, exec_lo, s5
	s_cbranch_execz .LBB30_12
.LBB30_15:                              ;   Parent Loop BB30_10 Depth=1
                                        ;     Parent Loop BB30_13 Depth=2
                                        ; =>    This Loop Header: Depth=3
                                        ;         Child Loop BB30_21 Depth 4
                                        ;         Child Loop BB30_27 Depth 4
	s_delay_alu instid0(VALU_DEP_1)
	v_lshl_add_u32 v13, v8, 2, 0
	s_mov_b32 s13, exec_lo
                                        ; implicit-def: $sgpr14
	ds_load_b32 v14, v13
	s_waitcnt lgkmcnt(0)
	v_cmpx_ne_u32_e64 v14, v6
	s_xor_b32 s13, exec_lo, s13
	s_cbranch_execz .LBB30_25
; %bb.16:                               ;   in Loop: Header=BB30_15 Depth=3
	s_mov_b32 s15, exec_lo
                                        ; implicit-def: $sgpr14
	v_cmpx_ne_u32_e64 s33, v14
	s_xor_b32 s15, exec_lo, s15
; %bb.17:                               ;   in Loop: Header=BB30_15 Depth=3
	v_add_nc_u32_e32 v8, 1, v8
	s_mov_b32 s14, -1
                                        ; implicit-def: $vgpr13
	s_delay_alu instid0(VALU_DEP_1)
	v_and_b32_e32 v8, 0xfff, v8
; %bb.18:                               ;   in Loop: Header=BB30_15 Depth=3
	s_and_not1_saveexec_b32 s15, s15
	s_cbranch_execz .LBB30_24
; %bb.19:                               ;   in Loop: Header=BB30_15 Depth=3
	v_mov_b32_e32 v14, s33
	s_mov_b32 s21, -1
	s_mov_b32 s20, exec_lo
	ds_cmpstore_rtn_b32 v14, v13, v6, v14
	s_waitcnt lgkmcnt(0)
	v_cmpx_eq_u32_e64 s33, v14
	s_cbranch_execz .LBB30_23
; %bb.20:                               ;   in Loop: Header=BB30_15 Depth=3
	v_lshlrev_b32_e32 v14, 2, v8
	s_mov_b32 s21, 0
	s_delay_alu instid0(VALU_DEP_1)
	v_add_nc_u32_e32 v20, v13, v14
	ds_load_b64 v[13:14], v20 offset:16384
.LBB30_21:                              ;   Parent Loop BB30_10 Depth=1
                                        ;     Parent Loop BB30_13 Depth=2
                                        ;       Parent Loop BB30_15 Depth=3
                                        ; =>      This Inner Loop Header: Depth=4
	s_waitcnt lgkmcnt(0)
	v_add_f64 v[21:22], v[13:14], v[11:12]
	ds_cmpstore_rtn_b64 v[21:22], v20, v[21:22], v[13:14] offset:16384
	s_waitcnt lgkmcnt(0)
	v_cmp_eq_u64_e32 vcc_lo, v[21:22], v[13:14]
	v_dual_mov_b32 v13, v21 :: v_dual_mov_b32 v14, v22
	s_or_b32 s21, vcc_lo, s21
	s_delay_alu instid0(SALU_CYCLE_1)
	s_and_not1_b32 exec_lo, exec_lo, s21
	s_cbranch_execnz .LBB30_21
; %bb.22:                               ;   in Loop: Header=BB30_15 Depth=3
	s_or_b32 exec_lo, exec_lo, s21
	s_delay_alu instid0(SALU_CYCLE_1)
	s_xor_b32 s21, exec_lo, -1
.LBB30_23:                              ;   in Loop: Header=BB30_15 Depth=3
	s_or_b32 exec_lo, exec_lo, s20
	s_delay_alu instid0(SALU_CYCLE_1) | instskip(SKIP_1) | instid1(SALU_CYCLE_1)
	s_and_not1_b32 s14, s14, exec_lo
	s_and_b32 s20, s21, exec_lo
	s_or_b32 s14, s14, s20
.LBB30_24:                              ;   in Loop: Header=BB30_15 Depth=3
	s_or_b32 exec_lo, exec_lo, s15
	s_delay_alu instid0(SALU_CYCLE_1)
	s_and_b32 s14, s14, exec_lo
                                        ; implicit-def: $vgpr13
.LBB30_25:                              ;   in Loop: Header=BB30_15 Depth=3
	s_and_not1_saveexec_b32 s13, s13
	s_cbranch_execz .LBB30_14
; %bb.26:                               ;   in Loop: Header=BB30_15 Depth=3
	v_lshlrev_b32_e32 v14, 2, v8
	s_mov_b32 s15, 0
	s_delay_alu instid0(VALU_DEP_1)
	v_add_nc_u32_e32 v20, v13, v14
	ds_load_b64 v[13:14], v20 offset:16384
.LBB30_27:                              ;   Parent Loop BB30_10 Depth=1
                                        ;     Parent Loop BB30_13 Depth=2
                                        ;       Parent Loop BB30_15 Depth=3
                                        ; =>      This Inner Loop Header: Depth=4
	s_waitcnt lgkmcnt(0)
	v_add_f64 v[21:22], v[13:14], v[11:12]
	ds_cmpstore_rtn_b64 v[21:22], v20, v[21:22], v[13:14] offset:16384
	s_waitcnt lgkmcnt(0)
	v_cmp_eq_u64_e32 vcc_lo, v[21:22], v[13:14]
	v_dual_mov_b32 v13, v21 :: v_dual_mov_b32 v14, v22
	s_or_b32 s15, vcc_lo, s15
	s_delay_alu instid0(SALU_CYCLE_1)
	s_and_not1_b32 exec_lo, exec_lo, s15
	s_cbranch_execnz .LBB30_27
; %bb.28:                               ;   in Loop: Header=BB30_15 Depth=3
	s_or_b32 exec_lo, exec_lo, s15
	s_delay_alu instid0(SALU_CYCLE_1)
	s_and_not1_b32 s14, s14, exec_lo
	s_branch .LBB30_14
.LBB30_29:
	s_or_b32 exec_lo, exec_lo, s1
.LBB30_30:
	s_delay_alu instid0(SALU_CYCLE_1)
	s_and_not1_b32 vcc_lo, exec_lo, s12
	s_cbranch_vccnz .LBB30_51
; %bb.31:
	s_waitcnt lgkmcnt(0)
	s_ashr_i32 s49, s48, 31
	v_subrev_nc_u32_e32 v3, s47, v0
	s_lshl_b64 s[0:1], s[48:49], 2
	s_delay_alu instid0(SALU_CYCLE_1)
	s_add_u32 s0, s36, s0
	s_addc_u32 s1, s37, s1
	s_load_b64 s[0:1], s[0:1], 0x0
	s_waitcnt lgkmcnt(0)
	v_add_nc_u32_e32 v3, s0, v3
	s_sub_i32 s0, s1, s47
	s_mov_b32 s1, exec_lo
	s_delay_alu instid0(VALU_DEP_1)
	v_cmpx_gt_i32_e64 s0, v3
	s_cbranch_execz .LBB30_50
; %bb.32:
	s_mov_b32 s2, 0
	s_branch .LBB30_34
.LBB30_33:                              ;   in Loop: Header=BB30_34 Depth=1
	s_or_b32 exec_lo, exec_lo, s3
	v_add_nc_u32_e32 v3, 0x400, v3
	s_delay_alu instid0(VALU_DEP_1) | instskip(SKIP_1) | instid1(SALU_CYCLE_1)
	v_cmp_le_i32_e32 vcc_lo, s0, v3
	s_or_b32 s2, vcc_lo, s2
	s_and_not1_b32 exec_lo, exec_lo, s2
	s_cbranch_execz .LBB30_50
.LBB30_34:                              ; =>This Loop Header: Depth=1
                                        ;     Child Loop BB30_36 Depth 2
                                        ;       Child Loop BB30_42 Depth 3
                                        ;       Child Loop BB30_48 Depth 3
	v_ashrrev_i32_e32 v4, 31, v3
	s_mov_b32 s3, 0
	s_delay_alu instid0(VALU_DEP_1) | instskip(SKIP_1) | instid1(VALU_DEP_2)
	v_lshlrev_b64 v[5:6], 3, v[3:4]
	v_lshlrev_b64 v[7:8], 2, v[3:4]
	v_add_co_u32 v5, vcc_lo, s40, v5
	s_delay_alu instid0(VALU_DEP_3) | instskip(NEXT) | instid1(VALU_DEP_3)
	v_add_co_ci_u32_e32 v6, vcc_lo, s41, v6, vcc_lo
	v_add_co_u32 v7, vcc_lo, s38, v7
	s_delay_alu instid0(VALU_DEP_4)
	v_add_co_ci_u32_e32 v8, vcc_lo, s39, v8, vcc_lo
	global_load_b64 v[5:6], v[5:6], off
	global_load_b32 v7, v[7:8], off
	s_waitcnt vmcnt(1)
	v_mul_f64 v[4:5], v[1:2], v[5:6]
	s_waitcnt vmcnt(0)
	v_subrev_nc_u32_e32 v8, s47, v7
	s_delay_alu instid0(VALU_DEP_1) | instskip(NEXT) | instid1(VALU_DEP_1)
	v_mul_lo_u32 v6, 0x89, v8
	v_and_b32_e32 v9, 0xfff, v6
	s_branch .LBB30_36
.LBB30_35:                              ;   in Loop: Header=BB30_36 Depth=2
	s_or_b32 exec_lo, exec_lo, s4
	s_xor_b32 s4, s5, -1
	s_delay_alu instid0(SALU_CYCLE_1) | instskip(NEXT) | instid1(SALU_CYCLE_1)
	s_and_b32 s4, exec_lo, s4
	s_or_b32 s3, s4, s3
	s_delay_alu instid0(SALU_CYCLE_1)
	s_and_not1_b32 exec_lo, exec_lo, s3
	s_cbranch_execz .LBB30_33
.LBB30_36:                              ;   Parent Loop BB30_34 Depth=1
                                        ; =>  This Loop Header: Depth=2
                                        ;       Child Loop BB30_42 Depth 3
                                        ;       Child Loop BB30_48 Depth 3
	s_delay_alu instid0(VALU_DEP_1)
	v_lshl_add_u32 v6, v9, 2, 0
	s_mov_b32 s4, exec_lo
                                        ; implicit-def: $sgpr5
	ds_load_b32 v7, v6
	s_waitcnt lgkmcnt(0)
	v_cmpx_ne_u32_e64 v7, v8
	s_xor_b32 s4, exec_lo, s4
	s_cbranch_execz .LBB30_46
; %bb.37:                               ;   in Loop: Header=BB30_36 Depth=2
	s_mov_b32 s6, exec_lo
                                        ; implicit-def: $sgpr5
	v_cmpx_ne_u32_e64 s33, v7
	s_xor_b32 s6, exec_lo, s6
; %bb.38:                               ;   in Loop: Header=BB30_36 Depth=2
	v_add_nc_u32_e32 v6, 1, v9
	s_mov_b32 s5, -1
	s_delay_alu instid0(VALU_DEP_1)
	v_and_b32_e32 v9, 0xfff, v6
                                        ; implicit-def: $vgpr6
; %bb.39:                               ;   in Loop: Header=BB30_36 Depth=2
	s_and_not1_saveexec_b32 s6, s6
	s_cbranch_execz .LBB30_45
; %bb.40:                               ;   in Loop: Header=BB30_36 Depth=2
	v_mov_b32_e32 v7, s33
	s_mov_b32 s8, -1
	s_mov_b32 s7, exec_lo
	ds_cmpstore_rtn_b32 v7, v6, v8, v7
	s_waitcnt lgkmcnt(0)
	v_cmpx_eq_u32_e64 s33, v7
	s_cbranch_execz .LBB30_44
; %bb.41:                               ;   in Loop: Header=BB30_36 Depth=2
	v_lshlrev_b32_e32 v7, 2, v9
	s_mov_b32 s8, 0
	s_delay_alu instid0(VALU_DEP_1)
	v_add_nc_u32_e32 v10, v6, v7
	ds_load_b64 v[6:7], v10 offset:16384
.LBB30_42:                              ;   Parent Loop BB30_34 Depth=1
                                        ;     Parent Loop BB30_36 Depth=2
                                        ; =>    This Inner Loop Header: Depth=3
	s_waitcnt lgkmcnt(0)
	v_add_f64 v[11:12], v[6:7], v[4:5]
	ds_cmpstore_rtn_b64 v[11:12], v10, v[11:12], v[6:7] offset:16384
	s_waitcnt lgkmcnt(0)
	v_cmp_eq_u64_e32 vcc_lo, v[11:12], v[6:7]
	v_dual_mov_b32 v6, v11 :: v_dual_mov_b32 v7, v12
	s_or_b32 s8, vcc_lo, s8
	s_delay_alu instid0(SALU_CYCLE_1)
	s_and_not1_b32 exec_lo, exec_lo, s8
	s_cbranch_execnz .LBB30_42
; %bb.43:                               ;   in Loop: Header=BB30_36 Depth=2
	s_or_b32 exec_lo, exec_lo, s8
	s_delay_alu instid0(SALU_CYCLE_1)
	s_xor_b32 s8, exec_lo, -1
.LBB30_44:                              ;   in Loop: Header=BB30_36 Depth=2
	s_or_b32 exec_lo, exec_lo, s7
	s_delay_alu instid0(SALU_CYCLE_1) | instskip(SKIP_1) | instid1(SALU_CYCLE_1)
	s_and_not1_b32 s5, s5, exec_lo
	s_and_b32 s7, s8, exec_lo
	s_or_b32 s5, s5, s7
.LBB30_45:                              ;   in Loop: Header=BB30_36 Depth=2
	s_or_b32 exec_lo, exec_lo, s6
	s_delay_alu instid0(SALU_CYCLE_1)
	s_and_b32 s5, s5, exec_lo
                                        ; implicit-def: $vgpr6
.LBB30_46:                              ;   in Loop: Header=BB30_36 Depth=2
	s_and_not1_saveexec_b32 s4, s4
	s_cbranch_execz .LBB30_35
; %bb.47:                               ;   in Loop: Header=BB30_36 Depth=2
	v_lshlrev_b32_e32 v7, 2, v9
	s_mov_b32 s6, 0
	s_delay_alu instid0(VALU_DEP_1)
	v_add_nc_u32_e32 v10, v6, v7
	ds_load_b64 v[6:7], v10 offset:16384
.LBB30_48:                              ;   Parent Loop BB30_34 Depth=1
                                        ;     Parent Loop BB30_36 Depth=2
                                        ; =>    This Inner Loop Header: Depth=3
	s_waitcnt lgkmcnt(0)
	v_add_f64 v[11:12], v[6:7], v[4:5]
	ds_cmpstore_rtn_b64 v[11:12], v10, v[11:12], v[6:7] offset:16384
	s_waitcnt lgkmcnt(0)
	v_cmp_eq_u64_e32 vcc_lo, v[11:12], v[6:7]
	v_dual_mov_b32 v6, v11 :: v_dual_mov_b32 v7, v12
	s_or_b32 s6, vcc_lo, s6
	s_delay_alu instid0(SALU_CYCLE_1)
	s_and_not1_b32 exec_lo, exec_lo, s6
	s_cbranch_execnz .LBB30_48
; %bb.49:                               ;   in Loop: Header=BB30_36 Depth=2
	s_or_b32 exec_lo, exec_lo, s6
	s_delay_alu instid0(SALU_CYCLE_1)
	s_and_not1_b32 s5, s5, exec_lo
	s_branch .LBB30_35
.LBB30_50:
	s_or_b32 exec_lo, exec_lo, s1
.LBB30_51:
	v_mbcnt_lo_u32_b32 v1, -1, 0
	v_lshrrev_b32_e32 v2, 3, v0
	v_cmp_eq_u32_e32 vcc_lo, 0x3ff, v0
	v_cmp_lt_u32_e64 s0, 31, v0
	v_cmp_lt_u32_e64 s1, 63, v0
	v_xor_b32_e32 v1, 63, v1
	v_dual_mov_b32 v6, 0 :: v_dual_and_b32 v3, 0x7c, v2
	v_cmp_lt_u32_e64 s2, 0x5f, v0
	v_cmp_lt_u32_e64 s3, 0x7f, v0
	s_delay_alu instid0(VALU_DEP_4) | instskip(NEXT) | instid1(VALU_DEP_4)
	v_lshrrev_b64 v[1:2], v1, -1
	v_dual_mov_b32 v5, 0 :: v_dual_add_nc_u32 v4, 0, v3
	v_cmp_lt_u32_e64 s4, 0x9f, v0
	v_cmp_lt_u32_e64 s5, 0xbf, v0
	;; [unrolled: 1-line block ×27, first 2 shown]
	s_mov_b32 s36, 0
	s_waitcnt lgkmcnt(0)
	s_barrier
	buffer_gl0_inv
	s_branch .LBB30_53
.LBB30_52:                              ;   in Loop: Header=BB30_53 Depth=1
	s_or_b32 exec_lo, exec_lo, s31
	s_waitcnt lgkmcnt(0)
	s_barrier
	buffer_gl0_inv
	ds_load_b32 v2, v5 offset:49276
	v_add_nc_u32_e32 v16, 0x400, v16
	v_add_nc_u32_e32 v17, 0x2000, v17
	;; [unrolled: 1-line block ×3, first 2 shown]
	s_delay_alu instid0(VALU_DEP_3) | instskip(NEXT) | instid1(VALU_DEP_1)
	v_cmp_lt_u32_e64 s31, 0xbff, v16
	s_or_b32 s36, s31, s36
	s_waitcnt lgkmcnt(0)
	v_add_nc_u32_e32 v6, v2, v6
	s_and_not1_b32 exec_lo, exec_lo, s36
	s_cbranch_execz .LBB30_119
.LBB30_53:                              ; =>This Inner Loop Header: Depth=1
	ds_load_b32 v7, v15
	ds_load_b64 v[2:3], v17
	s_waitcnt lgkmcnt(0)
	s_barrier
	buffer_gl0_inv
	v_cmp_gt_i32_e64 s31, s33, v7
	s_delay_alu instid0(VALU_DEP_1) | instskip(NEXT) | instid1(SALU_CYCLE_1)
	s_bcnt1_i32_b32 s37, s31
	v_dual_mov_b32 v9, s37 :: v_dual_and_b32 v8, s31, v1
	s_delay_alu instid0(VALU_DEP_1)
	v_bcnt_u32_b32 v8, v8, 0
	ds_store_b32 v4, v9 offset:49152
	s_waitcnt lgkmcnt(0)
	s_barrier
	buffer_gl0_inv
	s_and_saveexec_b32 s37, s0
	s_cbranch_execnz .LBB30_86
; %bb.54:                               ;   in Loop: Header=BB30_53 Depth=1
	s_or_b32 exec_lo, exec_lo, s37
	s_and_saveexec_b32 s37, s1
	s_cbranch_execnz .LBB30_87
.LBB30_55:                              ;   in Loop: Header=BB30_53 Depth=1
	s_or_b32 exec_lo, exec_lo, s37
	s_and_saveexec_b32 s37, s2
	s_cbranch_execnz .LBB30_88
.LBB30_56:                              ;   in Loop: Header=BB30_53 Depth=1
	s_or_b32 exec_lo, exec_lo, s37
	s_and_saveexec_b32 s37, s3
	s_cbranch_execnz .LBB30_89
.LBB30_57:                              ;   in Loop: Header=BB30_53 Depth=1
	s_or_b32 exec_lo, exec_lo, s37
	s_and_saveexec_b32 s37, s4
	s_cbranch_execnz .LBB30_90
.LBB30_58:                              ;   in Loop: Header=BB30_53 Depth=1
	s_or_b32 exec_lo, exec_lo, s37
	s_and_saveexec_b32 s37, s5
	s_cbranch_execnz .LBB30_91
.LBB30_59:                              ;   in Loop: Header=BB30_53 Depth=1
	s_or_b32 exec_lo, exec_lo, s37
	s_and_saveexec_b32 s37, s6
	s_cbranch_execnz .LBB30_92
.LBB30_60:                              ;   in Loop: Header=BB30_53 Depth=1
	s_or_b32 exec_lo, exec_lo, s37
	s_and_saveexec_b32 s37, s7
	s_cbranch_execnz .LBB30_93
.LBB30_61:                              ;   in Loop: Header=BB30_53 Depth=1
	s_or_b32 exec_lo, exec_lo, s37
	s_and_saveexec_b32 s37, s8
	s_cbranch_execnz .LBB30_94
.LBB30_62:                              ;   in Loop: Header=BB30_53 Depth=1
	s_or_b32 exec_lo, exec_lo, s37
	s_and_saveexec_b32 s37, s9
	s_cbranch_execnz .LBB30_95
.LBB30_63:                              ;   in Loop: Header=BB30_53 Depth=1
	s_or_b32 exec_lo, exec_lo, s37
	s_and_saveexec_b32 s37, s10
	s_cbranch_execnz .LBB30_96
.LBB30_64:                              ;   in Loop: Header=BB30_53 Depth=1
	s_or_b32 exec_lo, exec_lo, s37
	s_and_saveexec_b32 s37, s11
	s_cbranch_execnz .LBB30_97
.LBB30_65:                              ;   in Loop: Header=BB30_53 Depth=1
	s_or_b32 exec_lo, exec_lo, s37
	s_and_saveexec_b32 s37, s12
	s_cbranch_execnz .LBB30_98
.LBB30_66:                              ;   in Loop: Header=BB30_53 Depth=1
	s_or_b32 exec_lo, exec_lo, s37
	s_and_saveexec_b32 s37, s13
	s_cbranch_execnz .LBB30_99
.LBB30_67:                              ;   in Loop: Header=BB30_53 Depth=1
	s_or_b32 exec_lo, exec_lo, s37
	s_and_saveexec_b32 s37, s14
	s_cbranch_execnz .LBB30_100
.LBB30_68:                              ;   in Loop: Header=BB30_53 Depth=1
	s_or_b32 exec_lo, exec_lo, s37
	s_and_saveexec_b32 s37, s15
	s_cbranch_execnz .LBB30_101
.LBB30_69:                              ;   in Loop: Header=BB30_53 Depth=1
	s_or_b32 exec_lo, exec_lo, s37
	s_and_saveexec_b32 s37, s16
	s_cbranch_execnz .LBB30_102
.LBB30_70:                              ;   in Loop: Header=BB30_53 Depth=1
	s_or_b32 exec_lo, exec_lo, s37
	s_and_saveexec_b32 s37, s17
	s_cbranch_execnz .LBB30_103
.LBB30_71:                              ;   in Loop: Header=BB30_53 Depth=1
	s_or_b32 exec_lo, exec_lo, s37
	s_and_saveexec_b32 s37, s18
	s_cbranch_execnz .LBB30_104
.LBB30_72:                              ;   in Loop: Header=BB30_53 Depth=1
	s_or_b32 exec_lo, exec_lo, s37
	s_and_saveexec_b32 s37, s19
	s_cbranch_execnz .LBB30_105
.LBB30_73:                              ;   in Loop: Header=BB30_53 Depth=1
	s_or_b32 exec_lo, exec_lo, s37
	s_and_saveexec_b32 s37, s20
	s_cbranch_execnz .LBB30_106
.LBB30_74:                              ;   in Loop: Header=BB30_53 Depth=1
	s_or_b32 exec_lo, exec_lo, s37
	s_and_saveexec_b32 s37, s21
	s_cbranch_execnz .LBB30_107
.LBB30_75:                              ;   in Loop: Header=BB30_53 Depth=1
	s_or_b32 exec_lo, exec_lo, s37
	s_and_saveexec_b32 s37, s22
	s_cbranch_execnz .LBB30_108
.LBB30_76:                              ;   in Loop: Header=BB30_53 Depth=1
	s_or_b32 exec_lo, exec_lo, s37
	s_and_saveexec_b32 s37, s23
	s_cbranch_execnz .LBB30_109
.LBB30_77:                              ;   in Loop: Header=BB30_53 Depth=1
	s_or_b32 exec_lo, exec_lo, s37
	s_and_saveexec_b32 s37, s24
	s_cbranch_execnz .LBB30_110
.LBB30_78:                              ;   in Loop: Header=BB30_53 Depth=1
	s_or_b32 exec_lo, exec_lo, s37
	s_and_saveexec_b32 s37, s25
	s_cbranch_execnz .LBB30_111
.LBB30_79:                              ;   in Loop: Header=BB30_53 Depth=1
	s_or_b32 exec_lo, exec_lo, s37
	s_and_saveexec_b32 s37, s26
	s_cbranch_execnz .LBB30_112
.LBB30_80:                              ;   in Loop: Header=BB30_53 Depth=1
	s_or_b32 exec_lo, exec_lo, s37
	s_and_saveexec_b32 s37, s27
	s_cbranch_execnz .LBB30_113
.LBB30_81:                              ;   in Loop: Header=BB30_53 Depth=1
	s_or_b32 exec_lo, exec_lo, s37
	s_and_saveexec_b32 s37, s28
	s_cbranch_execnz .LBB30_114
.LBB30_82:                              ;   in Loop: Header=BB30_53 Depth=1
	s_or_b32 exec_lo, exec_lo, s37
	s_and_saveexec_b32 s37, s29
	s_cbranch_execnz .LBB30_115
.LBB30_83:                              ;   in Loop: Header=BB30_53 Depth=1
	s_or_b32 exec_lo, exec_lo, s37
	s_and_saveexec_b32 s37, s30
	s_cbranch_execnz .LBB30_116
.LBB30_84:                              ;   in Loop: Header=BB30_53 Depth=1
	s_or_b32 exec_lo, exec_lo, s37
	s_and_saveexec_b32 s37, s31
	s_cbranch_execnz .LBB30_117
.LBB30_85:                              ;   in Loop: Header=BB30_53 Depth=1
	s_or_b32 exec_lo, exec_lo, s37
	s_and_saveexec_b32 s31, vcc_lo
	s_cbranch_execz .LBB30_52
	s_branch .LBB30_118
.LBB30_86:                              ;   in Loop: Header=BB30_53 Depth=1
	ds_load_b32 v9, v5 offset:49152
	s_waitcnt lgkmcnt(0)
	v_add_nc_u32_e32 v8, v9, v8
	s_or_b32 exec_lo, exec_lo, s37
	s_and_saveexec_b32 s37, s1
	s_cbranch_execz .LBB30_55
.LBB30_87:                              ;   in Loop: Header=BB30_53 Depth=1
	ds_load_b32 v9, v5 offset:49156
	s_waitcnt lgkmcnt(0)
	v_add_nc_u32_e32 v8, v9, v8
	s_or_b32 exec_lo, exec_lo, s37
	s_and_saveexec_b32 s37, s2
	s_cbranch_execz .LBB30_56
.LBB30_88:                              ;   in Loop: Header=BB30_53 Depth=1
	ds_load_b32 v9, v5 offset:49160
	s_waitcnt lgkmcnt(0)
	v_add_nc_u32_e32 v8, v9, v8
	s_or_b32 exec_lo, exec_lo, s37
	s_and_saveexec_b32 s37, s3
	s_cbranch_execz .LBB30_57
.LBB30_89:                              ;   in Loop: Header=BB30_53 Depth=1
	ds_load_b32 v9, v5 offset:49164
	s_waitcnt lgkmcnt(0)
	v_add_nc_u32_e32 v8, v9, v8
	s_or_b32 exec_lo, exec_lo, s37
	s_and_saveexec_b32 s37, s4
	s_cbranch_execz .LBB30_58
.LBB30_90:                              ;   in Loop: Header=BB30_53 Depth=1
	ds_load_b32 v9, v5 offset:49168
	s_waitcnt lgkmcnt(0)
	v_add_nc_u32_e32 v8, v9, v8
	s_or_b32 exec_lo, exec_lo, s37
	s_and_saveexec_b32 s37, s5
	s_cbranch_execz .LBB30_59
.LBB30_91:                              ;   in Loop: Header=BB30_53 Depth=1
	ds_load_b32 v9, v5 offset:49172
	s_waitcnt lgkmcnt(0)
	v_add_nc_u32_e32 v8, v9, v8
	s_or_b32 exec_lo, exec_lo, s37
	s_and_saveexec_b32 s37, s6
	s_cbranch_execz .LBB30_60
.LBB30_92:                              ;   in Loop: Header=BB30_53 Depth=1
	ds_load_b32 v9, v5 offset:49176
	s_waitcnt lgkmcnt(0)
	v_add_nc_u32_e32 v8, v9, v8
	s_or_b32 exec_lo, exec_lo, s37
	s_and_saveexec_b32 s37, s7
	s_cbranch_execz .LBB30_61
.LBB30_93:                              ;   in Loop: Header=BB30_53 Depth=1
	ds_load_b32 v9, v5 offset:49180
	s_waitcnt lgkmcnt(0)
	v_add_nc_u32_e32 v8, v9, v8
	s_or_b32 exec_lo, exec_lo, s37
	s_and_saveexec_b32 s37, s8
	s_cbranch_execz .LBB30_62
.LBB30_94:                              ;   in Loop: Header=BB30_53 Depth=1
	ds_load_b32 v9, v5 offset:49184
	s_waitcnt lgkmcnt(0)
	v_add_nc_u32_e32 v8, v9, v8
	s_or_b32 exec_lo, exec_lo, s37
	s_and_saveexec_b32 s37, s9
	s_cbranch_execz .LBB30_63
.LBB30_95:                              ;   in Loop: Header=BB30_53 Depth=1
	ds_load_b32 v9, v5 offset:49188
	s_waitcnt lgkmcnt(0)
	v_add_nc_u32_e32 v8, v9, v8
	s_or_b32 exec_lo, exec_lo, s37
	s_and_saveexec_b32 s37, s10
	s_cbranch_execz .LBB30_64
.LBB30_96:                              ;   in Loop: Header=BB30_53 Depth=1
	ds_load_b32 v9, v5 offset:49192
	s_waitcnt lgkmcnt(0)
	v_add_nc_u32_e32 v8, v9, v8
	s_or_b32 exec_lo, exec_lo, s37
	s_and_saveexec_b32 s37, s11
	s_cbranch_execz .LBB30_65
.LBB30_97:                              ;   in Loop: Header=BB30_53 Depth=1
	ds_load_b32 v9, v5 offset:49196
	s_waitcnt lgkmcnt(0)
	v_add_nc_u32_e32 v8, v9, v8
	s_or_b32 exec_lo, exec_lo, s37
	s_and_saveexec_b32 s37, s12
	s_cbranch_execz .LBB30_66
.LBB30_98:                              ;   in Loop: Header=BB30_53 Depth=1
	ds_load_b32 v9, v5 offset:49200
	s_waitcnt lgkmcnt(0)
	v_add_nc_u32_e32 v8, v9, v8
	s_or_b32 exec_lo, exec_lo, s37
	s_and_saveexec_b32 s37, s13
	s_cbranch_execz .LBB30_67
.LBB30_99:                              ;   in Loop: Header=BB30_53 Depth=1
	ds_load_b32 v9, v5 offset:49204
	s_waitcnt lgkmcnt(0)
	v_add_nc_u32_e32 v8, v9, v8
	s_or_b32 exec_lo, exec_lo, s37
	s_and_saveexec_b32 s37, s14
	s_cbranch_execz .LBB30_68
.LBB30_100:                             ;   in Loop: Header=BB30_53 Depth=1
	ds_load_b32 v9, v5 offset:49208
	s_waitcnt lgkmcnt(0)
	v_add_nc_u32_e32 v8, v9, v8
	s_or_b32 exec_lo, exec_lo, s37
	s_and_saveexec_b32 s37, s15
	s_cbranch_execz .LBB30_69
.LBB30_101:                             ;   in Loop: Header=BB30_53 Depth=1
	ds_load_b32 v9, v5 offset:49212
	s_waitcnt lgkmcnt(0)
	v_add_nc_u32_e32 v8, v9, v8
	s_or_b32 exec_lo, exec_lo, s37
	s_and_saveexec_b32 s37, s16
	s_cbranch_execz .LBB30_70
.LBB30_102:                             ;   in Loop: Header=BB30_53 Depth=1
	ds_load_b32 v9, v5 offset:49216
	s_waitcnt lgkmcnt(0)
	v_add_nc_u32_e32 v8, v9, v8
	s_or_b32 exec_lo, exec_lo, s37
	s_and_saveexec_b32 s37, s17
	s_cbranch_execz .LBB30_71
.LBB30_103:                             ;   in Loop: Header=BB30_53 Depth=1
	ds_load_b32 v9, v5 offset:49220
	s_waitcnt lgkmcnt(0)
	v_add_nc_u32_e32 v8, v9, v8
	s_or_b32 exec_lo, exec_lo, s37
	s_and_saveexec_b32 s37, s18
	s_cbranch_execz .LBB30_72
.LBB30_104:                             ;   in Loop: Header=BB30_53 Depth=1
	ds_load_b32 v9, v5 offset:49224
	s_waitcnt lgkmcnt(0)
	v_add_nc_u32_e32 v8, v9, v8
	s_or_b32 exec_lo, exec_lo, s37
	s_and_saveexec_b32 s37, s19
	s_cbranch_execz .LBB30_73
.LBB30_105:                             ;   in Loop: Header=BB30_53 Depth=1
	ds_load_b32 v9, v5 offset:49228
	s_waitcnt lgkmcnt(0)
	v_add_nc_u32_e32 v8, v9, v8
	s_or_b32 exec_lo, exec_lo, s37
	s_and_saveexec_b32 s37, s20
	s_cbranch_execz .LBB30_74
.LBB30_106:                             ;   in Loop: Header=BB30_53 Depth=1
	ds_load_b32 v9, v5 offset:49232
	s_waitcnt lgkmcnt(0)
	v_add_nc_u32_e32 v8, v9, v8
	s_or_b32 exec_lo, exec_lo, s37
	s_and_saveexec_b32 s37, s21
	s_cbranch_execz .LBB30_75
.LBB30_107:                             ;   in Loop: Header=BB30_53 Depth=1
	ds_load_b32 v9, v5 offset:49236
	s_waitcnt lgkmcnt(0)
	v_add_nc_u32_e32 v8, v9, v8
	s_or_b32 exec_lo, exec_lo, s37
	s_and_saveexec_b32 s37, s22
	s_cbranch_execz .LBB30_76
.LBB30_108:                             ;   in Loop: Header=BB30_53 Depth=1
	ds_load_b32 v9, v5 offset:49240
	s_waitcnt lgkmcnt(0)
	v_add_nc_u32_e32 v8, v9, v8
	s_or_b32 exec_lo, exec_lo, s37
	s_and_saveexec_b32 s37, s23
	s_cbranch_execz .LBB30_77
.LBB30_109:                             ;   in Loop: Header=BB30_53 Depth=1
	ds_load_b32 v9, v5 offset:49244
	s_waitcnt lgkmcnt(0)
	v_add_nc_u32_e32 v8, v9, v8
	s_or_b32 exec_lo, exec_lo, s37
	s_and_saveexec_b32 s37, s24
	s_cbranch_execz .LBB30_78
.LBB30_110:                             ;   in Loop: Header=BB30_53 Depth=1
	ds_load_b32 v9, v5 offset:49248
	s_waitcnt lgkmcnt(0)
	v_add_nc_u32_e32 v8, v9, v8
	s_or_b32 exec_lo, exec_lo, s37
	s_and_saveexec_b32 s37, s25
	s_cbranch_execz .LBB30_79
.LBB30_111:                             ;   in Loop: Header=BB30_53 Depth=1
	ds_load_b32 v9, v5 offset:49252
	s_waitcnt lgkmcnt(0)
	v_add_nc_u32_e32 v8, v9, v8
	s_or_b32 exec_lo, exec_lo, s37
	s_and_saveexec_b32 s37, s26
	s_cbranch_execz .LBB30_80
.LBB30_112:                             ;   in Loop: Header=BB30_53 Depth=1
	ds_load_b32 v9, v5 offset:49256
	s_waitcnt lgkmcnt(0)
	v_add_nc_u32_e32 v8, v9, v8
	s_or_b32 exec_lo, exec_lo, s37
	s_and_saveexec_b32 s37, s27
	s_cbranch_execz .LBB30_81
.LBB30_113:                             ;   in Loop: Header=BB30_53 Depth=1
	ds_load_b32 v9, v5 offset:49260
	s_waitcnt lgkmcnt(0)
	v_add_nc_u32_e32 v8, v9, v8
	s_or_b32 exec_lo, exec_lo, s37
	s_and_saveexec_b32 s37, s28
	s_cbranch_execz .LBB30_82
.LBB30_114:                             ;   in Loop: Header=BB30_53 Depth=1
	ds_load_b32 v9, v5 offset:49264
	s_waitcnt lgkmcnt(0)
	v_add_nc_u32_e32 v8, v9, v8
	s_or_b32 exec_lo, exec_lo, s37
	s_and_saveexec_b32 s37, s29
	s_cbranch_execz .LBB30_83
.LBB30_115:                             ;   in Loop: Header=BB30_53 Depth=1
	ds_load_b32 v9, v5 offset:49268
	s_waitcnt lgkmcnt(0)
	v_add_nc_u32_e32 v8, v9, v8
	s_or_b32 exec_lo, exec_lo, s37
	s_and_saveexec_b32 s37, s30
	s_cbranch_execz .LBB30_84
.LBB30_116:                             ;   in Loop: Header=BB30_53 Depth=1
	ds_load_b32 v9, v5 offset:49272
	s_waitcnt lgkmcnt(0)
	v_add_nc_u32_e32 v8, v9, v8
	s_or_b32 exec_lo, exec_lo, s37
	s_and_saveexec_b32 s37, s31
	s_cbranch_execz .LBB30_85
.LBB30_117:                             ;   in Loop: Header=BB30_53 Depth=1
	s_delay_alu instid0(VALU_DEP_1) | instskip(NEXT) | instid1(VALU_DEP_1)
	v_add3_u32 v9, v6, -1, v8
	v_lshl_add_u32 v10, v9, 2, 0
	v_lshl_add_u32 v9, v9, 3, 0
	ds_store_b32 v10, v7
	ds_store_b64 v9, v[2:3] offset:16384
	s_or_b32 exec_lo, exec_lo, s37
	s_and_saveexec_b32 s31, vcc_lo
	s_cbranch_execz .LBB30_52
.LBB30_118:                             ;   in Loop: Header=BB30_53 Depth=1
	ds_store_b32 v5, v8 offset:49276
	s_branch .LBB30_52
.LBB30_119:
	s_or_b32 exec_lo, exec_lo, s36
	s_ashr_i32 s49, s48, 31
	s_mov_b32 s3, exec_lo
	s_lshl_b64 s[0:1], s[48:49], 2
	s_delay_alu instid0(SALU_CYCLE_1) | instskip(SKIP_4) | instid1(SALU_CYCLE_1)
	s_add_u32 s0, s42, s0
	s_addc_u32 s1, s43, s1
	s_load_b64 s[0:1], s[0:1], 0x0
	s_waitcnt lgkmcnt(0)
	s_sub_i32 s2, s1, s0
	v_cmpx_gt_i32_e64 s2, v0
	s_cbranch_execz .LBB30_129
; %bb.120:
	s_sub_i32 s3, s0, s46
	s_sub_i32 s0, s0, s1
	s_and_b32 s1, s2, 7
	s_cmp_lt_u32 s0, -7
	s_mov_b32 s7, 0
	s_cselect_b32 s4, -1, 0
	s_and_b32 s5, s2, -8
	s_cmp_lg_u32 s1, 0
	s_cselect_b32 s6, -1, 0
	s_branch .LBB30_122
.LBB30_121:                             ;   in Loop: Header=BB30_122 Depth=1
	s_waitcnt lgkmcnt(1)
	s_delay_alu instid0(VALU_DEP_1) | instskip(SKIP_1) | instid1(VALU_DEP_2)
	v_ashrrev_i32_e32 v4, 31, v3
	v_add_nc_u32_e32 v0, 0x400, v0
	v_lshlrev_b64 v[3:4], 3, v[3:4]
	s_delay_alu instid0(VALU_DEP_2) | instskip(SKIP_1) | instid1(VALU_DEP_2)
	v_cmp_le_i32_e32 vcc_lo, s2, v0
	s_or_b32 s7, vcc_lo, s7
	v_add_co_u32 v3, s0, s34, v3
	s_delay_alu instid0(VALU_DEP_1)
	v_add_co_ci_u32_e64 v4, s0, s35, v4, s0
	s_waitcnt lgkmcnt(0)
	global_store_b64 v[3:4], v[1:2], off
	s_and_not1_b32 exec_lo, exec_lo, s7
	s_cbranch_execz .LBB30_129
.LBB30_122:                             ; =>This Loop Header: Depth=1
                                        ;     Child Loop BB30_124 Depth 2
                                        ;     Child Loop BB30_128 Depth 2
	v_lshlrev_b32_e32 v1, 2, v0
	s_and_not1_b32 vcc_lo, exec_lo, s4
	s_mov_b32 s0, 0
	s_delay_alu instid0(VALU_DEP_1) | instskip(NEXT) | instid1(VALU_DEP_1)
	v_dual_mov_b32 v3, s3 :: v_dual_add_nc_u32 v2, 0, v1
	v_add_nc_u32_e32 v1, v2, v1
	ds_load_b32 v4, v2
	ds_load_b64 v[1:2], v1 offset:16384
	s_cbranch_vccnz .LBB30_126
; %bb.123:                              ;   in Loop: Header=BB30_122 Depth=1
	v_mov_b32_e32 v3, s3
	s_mov_b32 s8, 0
	s_set_inst_prefetch_distance 0x1
	.p2align	6
.LBB30_124:                             ;   Parent Loop BB30_122 Depth=1
                                        ; =>  This Inner Loop Header: Depth=2
	v_mov_b32_e32 v11, s8
	s_add_i32 s0, s0, 8
	s_add_i32 s8, s8, 32
	s_cmp_eq_u32 s5, s0
	ds_load_2addr_b32 v[5:6], v11 offset1:1
	ds_load_2addr_b32 v[7:8], v11 offset0:2 offset1:3
	ds_load_2addr_b32 v[9:10], v11 offset0:4 offset1:5
	;; [unrolled: 1-line block ×3, first 2 shown]
	s_waitcnt lgkmcnt(3)
	v_cmp_gt_i32_e32 vcc_lo, v4, v5
	v_cndmask_b32_e64 v5, 0, 1, vcc_lo
	s_waitcnt lgkmcnt(2)
	v_cmp_gt_i32_e32 vcc_lo, v4, v7
	v_cndmask_b32_e64 v7, 0, 1, vcc_lo
	v_cmp_gt_i32_e32 vcc_lo, v4, v6
	v_add_co_ci_u32_e32 v3, vcc_lo, v3, v5, vcc_lo
	s_waitcnt lgkmcnt(1)
	v_cmp_gt_i32_e32 vcc_lo, v4, v9
	v_cndmask_b32_e64 v5, 0, 1, vcc_lo
	v_cmp_gt_i32_e32 vcc_lo, v4, v8
	v_add_co_ci_u32_e32 v3, vcc_lo, v3, v7, vcc_lo
	;; [unrolled: 5-line block ×3, first 2 shown]
	v_cmp_gt_i32_e32 vcc_lo, v4, v12
	s_delay_alu instid0(VALU_DEP_2)
	v_add_co_ci_u32_e32 v3, vcc_lo, v3, v6, vcc_lo
	s_cbranch_scc0 .LBB30_124
; %bb.125:                              ;   in Loop: Header=BB30_122 Depth=1
	s_set_inst_prefetch_distance 0x2
	s_mov_b32 s0, s5
.LBB30_126:                             ;   in Loop: Header=BB30_122 Depth=1
	s_and_not1_b32 vcc_lo, exec_lo, s6
	s_cbranch_vccnz .LBB30_121
; %bb.127:                              ;   in Loop: Header=BB30_122 Depth=1
	s_lshl_b32 s0, s0, 2
	s_mov_b32 s8, s1
	s_add_i32 s0, s0, 0
.LBB30_128:                             ;   Parent Loop BB30_122 Depth=1
                                        ; =>  This Inner Loop Header: Depth=2
	s_delay_alu instid0(SALU_CYCLE_1)
	v_mov_b32_e32 v5, s0
	s_add_i32 s8, s8, -1
	s_add_i32 s0, s0, 4
	s_cmp_lg_u32 s8, 0
	ds_load_b32 v5, v5
	s_waitcnt lgkmcnt(0)
	v_cmp_gt_i32_e32 vcc_lo, v4, v5
	v_add_co_ci_u32_e32 v3, vcc_lo, 0, v3, vcc_lo
	s_cbranch_scc1 .LBB30_128
	s_branch .LBB30_121
.LBB30_129:
	s_nop 0
	s_sendmsg sendmsg(MSG_DEALLOC_VGPRS)
	s_endpgm
	.section	.rodata,"a",@progbits
	.p2align	6, 0x0
	.amdhsa_kernel _ZN9rocsparseL41csrgemm_numeric_fill_block_per_row_kernelILj1024ELj64ELj4096ELj137ELj32EiidEEvT5_PKS1_S3_NS_24const_host_device_scalarIT6_EEPKT4_S3_PKS5_S9_S3_SB_S6_S9_S3_SB_S9_S3_PS5_21rocsparse_index_base_SD_SD_SD_bbb
		.amdhsa_group_segment_fixed_size 0
		.amdhsa_private_segment_fixed_size 0
		.amdhsa_kernarg_size 156
		.amdhsa_user_sgpr_count 15
		.amdhsa_user_sgpr_dispatch_ptr 0
		.amdhsa_user_sgpr_queue_ptr 0
		.amdhsa_user_sgpr_kernarg_segment_ptr 1
		.amdhsa_user_sgpr_dispatch_id 0
		.amdhsa_user_sgpr_private_segment_size 0
		.amdhsa_wavefront_size32 1
		.amdhsa_uses_dynamic_stack 0
		.amdhsa_enable_private_segment 0
		.amdhsa_system_sgpr_workgroup_id_x 1
		.amdhsa_system_sgpr_workgroup_id_y 0
		.amdhsa_system_sgpr_workgroup_id_z 0
		.amdhsa_system_sgpr_workgroup_info 0
		.amdhsa_system_vgpr_workitem_id 0
		.amdhsa_next_free_vgpr 23
		.amdhsa_next_free_sgpr 50
		.amdhsa_reserve_vcc 1
		.amdhsa_float_round_mode_32 0
		.amdhsa_float_round_mode_16_64 0
		.amdhsa_float_denorm_mode_32 3
		.amdhsa_float_denorm_mode_16_64 3
		.amdhsa_dx10_clamp 1
		.amdhsa_ieee_mode 1
		.amdhsa_fp16_overflow 0
		.amdhsa_workgroup_processor_mode 1
		.amdhsa_memory_ordered 1
		.amdhsa_forward_progress 0
		.amdhsa_shared_vgpr_count 0
		.amdhsa_exception_fp_ieee_invalid_op 0
		.amdhsa_exception_fp_denorm_src 0
		.amdhsa_exception_fp_ieee_div_zero 0
		.amdhsa_exception_fp_ieee_overflow 0
		.amdhsa_exception_fp_ieee_underflow 0
		.amdhsa_exception_fp_ieee_inexact 0
		.amdhsa_exception_int_div_zero 0
	.end_amdhsa_kernel
	.section	.text._ZN9rocsparseL41csrgemm_numeric_fill_block_per_row_kernelILj1024ELj64ELj4096ELj137ELj32EiidEEvT5_PKS1_S3_NS_24const_host_device_scalarIT6_EEPKT4_S3_PKS5_S9_S3_SB_S6_S9_S3_SB_S9_S3_PS5_21rocsparse_index_base_SD_SD_SD_bbb,"axG",@progbits,_ZN9rocsparseL41csrgemm_numeric_fill_block_per_row_kernelILj1024ELj64ELj4096ELj137ELj32EiidEEvT5_PKS1_S3_NS_24const_host_device_scalarIT6_EEPKT4_S3_PKS5_S9_S3_SB_S6_S9_S3_SB_S9_S3_PS5_21rocsparse_index_base_SD_SD_SD_bbb,comdat
.Lfunc_end30:
	.size	_ZN9rocsparseL41csrgemm_numeric_fill_block_per_row_kernelILj1024ELj64ELj4096ELj137ELj32EiidEEvT5_PKS1_S3_NS_24const_host_device_scalarIT6_EEPKT4_S3_PKS5_S9_S3_SB_S6_S9_S3_SB_S9_S3_PS5_21rocsparse_index_base_SD_SD_SD_bbb, .Lfunc_end30-_ZN9rocsparseL41csrgemm_numeric_fill_block_per_row_kernelILj1024ELj64ELj4096ELj137ELj32EiidEEvT5_PKS1_S3_NS_24const_host_device_scalarIT6_EEPKT4_S3_PKS5_S9_S3_SB_S6_S9_S3_SB_S9_S3_PS5_21rocsparse_index_base_SD_SD_SD_bbb
                                        ; -- End function
	.section	.AMDGPU.csdata,"",@progbits
; Kernel info:
; codeLenInByte = 4328
; NumSgprs: 52
; NumVgprs: 23
; ScratchSize: 0
; MemoryBound: 0
; FloatMode: 240
; IeeeMode: 1
; LDSByteSize: 0 bytes/workgroup (compile time only)
; SGPRBlocks: 6
; VGPRBlocks: 2
; NumSGPRsForWavesPerEU: 52
; NumVGPRsForWavesPerEU: 23
; Occupancy: 16
; WaveLimiterHint : 1
; COMPUTE_PGM_RSRC2:SCRATCH_EN: 0
; COMPUTE_PGM_RSRC2:USER_SGPR: 15
; COMPUTE_PGM_RSRC2:TRAP_HANDLER: 0
; COMPUTE_PGM_RSRC2:TGID_X_EN: 1
; COMPUTE_PGM_RSRC2:TGID_Y_EN: 0
; COMPUTE_PGM_RSRC2:TGID_Z_EN: 0
; COMPUTE_PGM_RSRC2:TIDIG_COMP_CNT: 0
	.section	.text._ZN9rocsparseL41csrgemm_numeric_fill_block_per_row_kernelILj1024ELj64ELj4096ELj137ELj64EiidEEvT5_PKS1_S3_NS_24const_host_device_scalarIT6_EEPKT4_S3_PKS5_S9_S3_SB_S6_S9_S3_SB_S9_S3_PS5_21rocsparse_index_base_SD_SD_SD_bbb,"axG",@progbits,_ZN9rocsparseL41csrgemm_numeric_fill_block_per_row_kernelILj1024ELj64ELj4096ELj137ELj64EiidEEvT5_PKS1_S3_NS_24const_host_device_scalarIT6_EEPKT4_S3_PKS5_S9_S3_SB_S6_S9_S3_SB_S9_S3_PS5_21rocsparse_index_base_SD_SD_SD_bbb,comdat
	.globl	_ZN9rocsparseL41csrgemm_numeric_fill_block_per_row_kernelILj1024ELj64ELj4096ELj137ELj64EiidEEvT5_PKS1_S3_NS_24const_host_device_scalarIT6_EEPKT4_S3_PKS5_S9_S3_SB_S6_S9_S3_SB_S9_S3_PS5_21rocsparse_index_base_SD_SD_SD_bbb ; -- Begin function _ZN9rocsparseL41csrgemm_numeric_fill_block_per_row_kernelILj1024ELj64ELj4096ELj137ELj64EiidEEvT5_PKS1_S3_NS_24const_host_device_scalarIT6_EEPKT4_S3_PKS5_S9_S3_SB_S6_S9_S3_SB_S9_S3_PS5_21rocsparse_index_base_SD_SD_SD_bbb
	.p2align	8
	.type	_ZN9rocsparseL41csrgemm_numeric_fill_block_per_row_kernelILj1024ELj64ELj4096ELj137ELj64EiidEEvT5_PKS1_S3_NS_24const_host_device_scalarIT6_EEPKT4_S3_PKS5_S9_S3_SB_S6_S9_S3_SB_S9_S3_PS5_21rocsparse_index_base_SD_SD_SD_bbb,@function
_ZN9rocsparseL41csrgemm_numeric_fill_block_per_row_kernelILj1024ELj64ELj4096ELj137ELj64EiidEEvT5_PKS1_S3_NS_24const_host_device_scalarIT6_EEPKT4_S3_PKS5_S9_S3_SB_S6_S9_S3_SB_S9_S3_PS5_21rocsparse_index_base_SD_SD_SD_bbb: ; @_ZN9rocsparseL41csrgemm_numeric_fill_block_per_row_kernelILj1024ELj64ELj4096ELj137ELj64EiidEEvT5_PKS1_S3_NS_24const_host_device_scalarIT6_EEPKT4_S3_PKS5_S9_S3_SB_S6_S9_S3_SB_S9_S3_PS5_21rocsparse_index_base_SD_SD_SD_bbb
; %bb.0:
	s_clause 0x3
	s_load_b32 s12, s[0:1], 0x98
	s_load_b64 s[4:5], s[0:1], 0x18
	s_load_b128 s[24:27], s[0:1], 0x88
	s_load_b64 s[2:3], s[0:1], 0x50
	s_waitcnt lgkmcnt(0)
	s_and_b32 s6, 1, s12
	s_bitcmp1_b32 s12, 16
	s_cselect_b32 s14, -1, 0
	s_cmp_eq_u32 s6, 1
	s_cselect_b32 s13, -1, 0
	s_delay_alu instid0(SALU_CYCLE_1)
	s_and_b32 s6, s13, exec_lo
	s_cselect_b32 s7, s5, 0
	s_cselect_b32 s6, s4, 0
	s_xor_b32 s8, s13, -1
	v_dual_mov_b32 v3, s6 :: v_dual_mov_b32 v4, s7
	s_or_b32 s8, s8, s14
	s_delay_alu instid0(SALU_CYCLE_1)
	s_and_b32 vcc_lo, exec_lo, s8
	s_cbranch_vccnz .LBB31_2
; %bb.1:
	v_dual_mov_b32 v1, s4 :: v_dual_mov_b32 v2, s5
	flat_load_b64 v[3:4], v[1:2]
.LBB31_2:
	s_clause 0x4
	s_load_b64 s[34:35], s[0:1], 0x80
	s_load_b256 s[16:23], s[0:1], 0x58
	s_load_b128 s[28:31], s[0:1], 0x40
	s_load_b128 s[36:39], s[0:1], 0x8
	s_load_b256 s[4:11], s[0:1], 0x20
	s_bitcmp1_b32 s12, 8
	s_cselect_b32 s12, -1, 0
	s_delay_alu instid0(SALU_CYCLE_1)
	s_and_b32 s33, s12, exec_lo
	s_cselect_b32 s41, s3, 0
	s_cselect_b32 s40, s2, 0
	s_xor_b32 s33, s12, -1
	v_dual_mov_b32 v1, s40 :: v_dual_mov_b32 v2, s41
	s_or_b32 s14, s33, s14
	s_delay_alu instid0(SALU_CYCLE_1)
	s_and_b32 vcc_lo, exec_lo, s14
	s_cbranch_vccnz .LBB31_4
; %bb.3:
	v_dual_mov_b32 v1, s2 :: v_dual_mov_b32 v2, s3
	flat_load_b64 v[1:2], v[1:2]
.LBB31_4:
	s_load_b32 s33, s[0:1], 0x0
	v_dual_mov_b32 v5, 0 :: v_dual_lshlrev_b32 v6, 3, v0
	v_lshl_add_u32 v15, v0, 2, 0
	v_or_b32_e32 v16, 0xfffffc00, v0
	s_mov_b32 s0, 0
	s_delay_alu instid0(VALU_DEP_3) | instskip(NEXT) | instid1(VALU_DEP_3)
	v_add3_u32 v17, v6, 0, 0x4000
	v_dual_mov_b32 v6, v5 :: v_dual_mov_b32 v7, v15
	s_delay_alu instid0(VALU_DEP_3) | instskip(SKIP_1) | instid1(VALU_DEP_3)
	v_mov_b32_e32 v8, v16
	s_waitcnt lgkmcnt(0)
	v_dual_mov_b32 v10, v17 :: v_dual_mov_b32 v9, s33
.LBB31_5:                               ; =>This Inner Loop Header: Depth=1
	s_delay_alu instid0(VALU_DEP_2)
	v_add_nc_u32_e32 v8, 0x400, v8
	ds_store_b32 v7, v9
	ds_store_b64 v10, v[5:6]
	v_add_nc_u32_e32 v10, 0x2000, v10
	v_add_nc_u32_e32 v7, 0x1000, v7
	v_cmp_lt_u32_e32 vcc_lo, 0xbff, v8
	s_or_b32 s0, vcc_lo, s0
	s_delay_alu instid0(SALU_CYCLE_1)
	s_and_not1_b32 exec_lo, exec_lo, s0
	s_cbranch_execnz .LBB31_5
; %bb.6:
	s_or_b32 exec_lo, exec_lo, s0
	s_waitcnt vmcnt(0) lgkmcnt(0)
	s_barrier
	buffer_gl0_inv
	s_load_b32 s0, s[36:37], 0x0
	s_mov_b32 s1, 0
	v_lshrrev_b32_e32 v18, 6, v0
	s_waitcnt lgkmcnt(0)
	s_add_i32 s0, s0, s15
	s_delay_alu instid0(SALU_CYCLE_1) | instskip(NEXT) | instid1(SALU_CYCLE_1)
	s_lshl_b64 s[0:1], s[0:1], 2
	s_add_u32 s0, s38, s0
	s_addc_u32 s1, s39, s1
	s_and_b32 vcc_lo, exec_lo, s13
	s_load_b32 s36, s[0:1], 0x0
	s_cbranch_vccz .LBB31_30
; %bb.7:
	s_waitcnt lgkmcnt(0)
	s_ashr_i32 s37, s36, 31
	v_subrev_nc_u32_e32 v5, s24, v18
	s_lshl_b64 s[0:1], s[36:37], 2
	s_delay_alu instid0(SALU_CYCLE_1)
	s_add_u32 s0, s4, s0
	s_addc_u32 s1, s5, s1
	s_load_b64 s[0:1], s[0:1], 0x0
	s_waitcnt lgkmcnt(0)
	v_add_nc_u32_e32 v5, s0, v5
	s_sub_i32 s0, s1, s24
	s_mov_b32 s1, exec_lo
	s_delay_alu instid0(VALU_DEP_1)
	v_cmpx_gt_i32_e64 s0, v5
	s_cbranch_execz .LBB31_29
; %bb.8:
	v_and_b32_e32 v6, 63, v0
	s_mov_b32 s2, 0
	s_delay_alu instid0(VALU_DEP_1)
	v_subrev_nc_u32_e32 v19, s25, v6
	s_branch .LBB31_10
.LBB31_9:                               ;   in Loop: Header=BB31_10 Depth=1
	s_or_b32 exec_lo, exec_lo, s3
	v_add_nc_u32_e32 v5, 16, v5
	s_delay_alu instid0(VALU_DEP_1) | instskip(SKIP_1) | instid1(SALU_CYCLE_1)
	v_cmp_le_i32_e32 vcc_lo, s0, v5
	s_or_b32 s2, vcc_lo, s2
	s_and_not1_b32 exec_lo, exec_lo, s2
	s_cbranch_execz .LBB31_29
.LBB31_10:                              ; =>This Loop Header: Depth=1
                                        ;     Child Loop BB31_13 Depth 2
                                        ;       Child Loop BB31_15 Depth 3
                                        ;         Child Loop BB31_21 Depth 4
                                        ;         Child Loop BB31_27 Depth 4
	v_ashrrev_i32_e32 v6, 31, v5
	s_mov_b32 s3, exec_lo
	s_delay_alu instid0(VALU_DEP_1) | instskip(NEXT) | instid1(VALU_DEP_1)
	v_lshlrev_b64 v[7:8], 2, v[5:6]
	v_add_co_u32 v7, vcc_lo, s6, v7
	s_delay_alu instid0(VALU_DEP_2) | instskip(SKIP_3) | instid1(VALU_DEP_1)
	v_add_co_ci_u32_e32 v8, vcc_lo, s7, v8, vcc_lo
	global_load_b32 v7, v[7:8], off
	s_waitcnt vmcnt(0)
	v_subrev_nc_u32_e32 v7, s24, v7
	v_ashrrev_i32_e32 v8, 31, v7
	s_delay_alu instid0(VALU_DEP_1) | instskip(NEXT) | instid1(VALU_DEP_1)
	v_lshlrev_b64 v[7:8], 2, v[7:8]
	v_add_co_u32 v7, vcc_lo, s10, v7
	s_delay_alu instid0(VALU_DEP_2) | instskip(SKIP_4) | instid1(VALU_DEP_1)
	v_add_co_ci_u32_e32 v8, vcc_lo, s11, v8, vcc_lo
	global_load_b64 v[7:8], v[7:8], off
	s_waitcnt vmcnt(0)
	v_subrev_nc_u32_e32 v20, s25, v8
	v_add_nc_u32_e32 v7, v7, v19
	v_cmpx_lt_i32_e64 v7, v20
	s_cbranch_execz .LBB31_9
; %bb.11:                               ;   in Loop: Header=BB31_10 Depth=1
	v_lshlrev_b64 v[8:9], 3, v[5:6]
	s_mov_b32 s4, 0
	s_delay_alu instid0(VALU_DEP_1) | instskip(NEXT) | instid1(VALU_DEP_2)
	v_add_co_u32 v8, vcc_lo, s8, v8
	v_add_co_ci_u32_e32 v9, vcc_lo, s9, v9, vcc_lo
	global_load_b64 v[8:9], v[8:9], off
	s_waitcnt vmcnt(0)
	v_mul_f64 v[9:10], v[3:4], v[8:9]
	s_branch .LBB31_13
.LBB31_12:                              ;   in Loop: Header=BB31_13 Depth=2
	s_or_b32 exec_lo, exec_lo, s5
	v_add_nc_u32_e32 v7, 64, v7
	s_delay_alu instid0(VALU_DEP_1) | instskip(SKIP_1) | instid1(SALU_CYCLE_1)
	v_cmp_ge_i32_e32 vcc_lo, v7, v20
	s_or_b32 s4, vcc_lo, s4
	s_and_not1_b32 exec_lo, exec_lo, s4
	s_cbranch_execz .LBB31_9
.LBB31_13:                              ;   Parent Loop BB31_10 Depth=1
                                        ; =>  This Loop Header: Depth=2
                                        ;       Child Loop BB31_15 Depth 3
                                        ;         Child Loop BB31_21 Depth 4
                                        ;         Child Loop BB31_27 Depth 4
	v_ashrrev_i32_e32 v8, 31, v7
	s_mov_b32 s5, 0
	s_delay_alu instid0(VALU_DEP_1) | instskip(SKIP_1) | instid1(VALU_DEP_2)
	v_lshlrev_b64 v[11:12], 3, v[7:8]
	v_lshlrev_b64 v[13:14], 2, v[7:8]
	v_add_co_u32 v11, vcc_lo, s30, v11
	s_delay_alu instid0(VALU_DEP_3) | instskip(NEXT) | instid1(VALU_DEP_3)
	v_add_co_ci_u32_e32 v12, vcc_lo, s31, v12, vcc_lo
	v_add_co_u32 v13, vcc_lo, s28, v13
	s_delay_alu instid0(VALU_DEP_4)
	v_add_co_ci_u32_e32 v14, vcc_lo, s29, v14, vcc_lo
	global_load_b64 v[11:12], v[11:12], off
	global_load_b32 v6, v[13:14], off
	s_waitcnt vmcnt(1)
	v_mul_f64 v[11:12], v[9:10], v[11:12]
	s_waitcnt vmcnt(0)
	v_subrev_nc_u32_e32 v6, s25, v6
	s_delay_alu instid0(VALU_DEP_1) | instskip(NEXT) | instid1(VALU_DEP_1)
	v_mul_lo_u32 v8, 0x89, v6
	v_and_b32_e32 v8, 0xfff, v8
	s_branch .LBB31_15
.LBB31_14:                              ;   in Loop: Header=BB31_15 Depth=3
	s_or_b32 exec_lo, exec_lo, s13
	s_xor_b32 s13, s14, -1
	s_delay_alu instid0(SALU_CYCLE_1) | instskip(NEXT) | instid1(SALU_CYCLE_1)
	s_and_b32 s13, exec_lo, s13
	s_or_b32 s5, s13, s5
	s_delay_alu instid0(SALU_CYCLE_1)
	s_and_not1_b32 exec_lo, exec_lo, s5
	s_cbranch_execz .LBB31_12
.LBB31_15:                              ;   Parent Loop BB31_10 Depth=1
                                        ;     Parent Loop BB31_13 Depth=2
                                        ; =>    This Loop Header: Depth=3
                                        ;         Child Loop BB31_21 Depth 4
                                        ;         Child Loop BB31_27 Depth 4
	s_delay_alu instid0(VALU_DEP_1)
	v_lshl_add_u32 v13, v8, 2, 0
	s_mov_b32 s13, exec_lo
                                        ; implicit-def: $sgpr14
	ds_load_b32 v14, v13
	s_waitcnt lgkmcnt(0)
	v_cmpx_ne_u32_e64 v14, v6
	s_xor_b32 s13, exec_lo, s13
	s_cbranch_execz .LBB31_25
; %bb.16:                               ;   in Loop: Header=BB31_15 Depth=3
	s_mov_b32 s15, exec_lo
                                        ; implicit-def: $sgpr14
	v_cmpx_ne_u32_e64 s33, v14
	s_xor_b32 s15, exec_lo, s15
; %bb.17:                               ;   in Loop: Header=BB31_15 Depth=3
	v_add_nc_u32_e32 v8, 1, v8
	s_mov_b32 s14, -1
                                        ; implicit-def: $vgpr13
	s_delay_alu instid0(VALU_DEP_1)
	v_and_b32_e32 v8, 0xfff, v8
; %bb.18:                               ;   in Loop: Header=BB31_15 Depth=3
	s_and_not1_saveexec_b32 s15, s15
	s_cbranch_execz .LBB31_24
; %bb.19:                               ;   in Loop: Header=BB31_15 Depth=3
	v_mov_b32_e32 v14, s33
	s_mov_b32 s38, -1
	s_mov_b32 s37, exec_lo
	ds_cmpstore_rtn_b32 v14, v13, v6, v14
	s_waitcnt lgkmcnt(0)
	v_cmpx_eq_u32_e64 s33, v14
	s_cbranch_execz .LBB31_23
; %bb.20:                               ;   in Loop: Header=BB31_15 Depth=3
	v_lshlrev_b32_e32 v14, 2, v8
	s_mov_b32 s38, 0
	s_delay_alu instid0(VALU_DEP_1)
	v_add_nc_u32_e32 v21, v13, v14
	ds_load_b64 v[13:14], v21 offset:16384
.LBB31_21:                              ;   Parent Loop BB31_10 Depth=1
                                        ;     Parent Loop BB31_13 Depth=2
                                        ;       Parent Loop BB31_15 Depth=3
                                        ; =>      This Inner Loop Header: Depth=4
	s_waitcnt lgkmcnt(0)
	v_add_f64 v[22:23], v[13:14], v[11:12]
	ds_cmpstore_rtn_b64 v[22:23], v21, v[22:23], v[13:14] offset:16384
	s_waitcnt lgkmcnt(0)
	v_cmp_eq_u64_e32 vcc_lo, v[22:23], v[13:14]
	v_dual_mov_b32 v13, v22 :: v_dual_mov_b32 v14, v23
	s_or_b32 s38, vcc_lo, s38
	s_delay_alu instid0(SALU_CYCLE_1)
	s_and_not1_b32 exec_lo, exec_lo, s38
	s_cbranch_execnz .LBB31_21
; %bb.22:                               ;   in Loop: Header=BB31_15 Depth=3
	s_or_b32 exec_lo, exec_lo, s38
	s_delay_alu instid0(SALU_CYCLE_1)
	s_xor_b32 s38, exec_lo, -1
.LBB31_23:                              ;   in Loop: Header=BB31_15 Depth=3
	s_or_b32 exec_lo, exec_lo, s37
	s_delay_alu instid0(SALU_CYCLE_1) | instskip(SKIP_1) | instid1(SALU_CYCLE_1)
	s_and_not1_b32 s14, s14, exec_lo
	s_and_b32 s37, s38, exec_lo
	s_or_b32 s14, s14, s37
.LBB31_24:                              ;   in Loop: Header=BB31_15 Depth=3
	s_or_b32 exec_lo, exec_lo, s15
	s_delay_alu instid0(SALU_CYCLE_1)
	s_and_b32 s14, s14, exec_lo
                                        ; implicit-def: $vgpr13
.LBB31_25:                              ;   in Loop: Header=BB31_15 Depth=3
	s_and_not1_saveexec_b32 s13, s13
	s_cbranch_execz .LBB31_14
; %bb.26:                               ;   in Loop: Header=BB31_15 Depth=3
	v_lshlrev_b32_e32 v14, 2, v8
	s_mov_b32 s15, 0
	s_delay_alu instid0(VALU_DEP_1)
	v_add_nc_u32_e32 v21, v13, v14
	ds_load_b64 v[13:14], v21 offset:16384
.LBB31_27:                              ;   Parent Loop BB31_10 Depth=1
                                        ;     Parent Loop BB31_13 Depth=2
                                        ;       Parent Loop BB31_15 Depth=3
                                        ; =>      This Inner Loop Header: Depth=4
	s_waitcnt lgkmcnt(0)
	v_add_f64 v[22:23], v[13:14], v[11:12]
	ds_cmpstore_rtn_b64 v[22:23], v21, v[22:23], v[13:14] offset:16384
	s_waitcnt lgkmcnt(0)
	v_cmp_eq_u64_e32 vcc_lo, v[22:23], v[13:14]
	v_dual_mov_b32 v13, v22 :: v_dual_mov_b32 v14, v23
	s_or_b32 s15, vcc_lo, s15
	s_delay_alu instid0(SALU_CYCLE_1)
	s_and_not1_b32 exec_lo, exec_lo, s15
	s_cbranch_execnz .LBB31_27
; %bb.28:                               ;   in Loop: Header=BB31_15 Depth=3
	s_or_b32 exec_lo, exec_lo, s15
	s_delay_alu instid0(SALU_CYCLE_1)
	s_and_not1_b32 s14, s14, exec_lo
	s_branch .LBB31_14
.LBB31_29:
	s_or_b32 exec_lo, exec_lo, s1
.LBB31_30:
	s_delay_alu instid0(SALU_CYCLE_1)
	s_and_not1_b32 vcc_lo, exec_lo, s12
	s_cbranch_vccnz .LBB31_51
; %bb.31:
	s_waitcnt lgkmcnt(0)
	s_ashr_i32 s37, s36, 31
	v_subrev_nc_u32_e32 v3, s27, v0
	s_lshl_b64 s[0:1], s[36:37], 2
	s_delay_alu instid0(SALU_CYCLE_1)
	s_add_u32 s0, s16, s0
	s_addc_u32 s1, s17, s1
	s_load_b64 s[0:1], s[0:1], 0x0
	s_waitcnt lgkmcnt(0)
	v_add_nc_u32_e32 v3, s0, v3
	s_sub_i32 s0, s1, s27
	s_mov_b32 s1, exec_lo
	s_delay_alu instid0(VALU_DEP_1)
	v_cmpx_gt_i32_e64 s0, v3
	s_cbranch_execz .LBB31_50
; %bb.32:
	s_mov_b32 s2, 0
	s_branch .LBB31_34
.LBB31_33:                              ;   in Loop: Header=BB31_34 Depth=1
	s_or_b32 exec_lo, exec_lo, s3
	v_add_nc_u32_e32 v3, 0x400, v3
	s_delay_alu instid0(VALU_DEP_1) | instskip(SKIP_1) | instid1(SALU_CYCLE_1)
	v_cmp_le_i32_e32 vcc_lo, s0, v3
	s_or_b32 s2, vcc_lo, s2
	s_and_not1_b32 exec_lo, exec_lo, s2
	s_cbranch_execz .LBB31_50
.LBB31_34:                              ; =>This Loop Header: Depth=1
                                        ;     Child Loop BB31_36 Depth 2
                                        ;       Child Loop BB31_42 Depth 3
                                        ;       Child Loop BB31_48 Depth 3
	v_ashrrev_i32_e32 v4, 31, v3
	s_mov_b32 s3, 0
	s_delay_alu instid0(VALU_DEP_1) | instskip(SKIP_1) | instid1(VALU_DEP_2)
	v_lshlrev_b64 v[5:6], 3, v[3:4]
	v_lshlrev_b64 v[7:8], 2, v[3:4]
	v_add_co_u32 v5, vcc_lo, s20, v5
	s_delay_alu instid0(VALU_DEP_3) | instskip(NEXT) | instid1(VALU_DEP_3)
	v_add_co_ci_u32_e32 v6, vcc_lo, s21, v6, vcc_lo
	v_add_co_u32 v7, vcc_lo, s18, v7
	s_delay_alu instid0(VALU_DEP_4)
	v_add_co_ci_u32_e32 v8, vcc_lo, s19, v8, vcc_lo
	global_load_b64 v[5:6], v[5:6], off
	global_load_b32 v7, v[7:8], off
	s_waitcnt vmcnt(1)
	v_mul_f64 v[4:5], v[1:2], v[5:6]
	s_waitcnt vmcnt(0)
	v_subrev_nc_u32_e32 v8, s27, v7
	s_delay_alu instid0(VALU_DEP_1) | instskip(NEXT) | instid1(VALU_DEP_1)
	v_mul_lo_u32 v6, 0x89, v8
	v_and_b32_e32 v9, 0xfff, v6
	s_branch .LBB31_36
.LBB31_35:                              ;   in Loop: Header=BB31_36 Depth=2
	s_or_b32 exec_lo, exec_lo, s4
	s_xor_b32 s4, s5, -1
	s_delay_alu instid0(SALU_CYCLE_1) | instskip(NEXT) | instid1(SALU_CYCLE_1)
	s_and_b32 s4, exec_lo, s4
	s_or_b32 s3, s4, s3
	s_delay_alu instid0(SALU_CYCLE_1)
	s_and_not1_b32 exec_lo, exec_lo, s3
	s_cbranch_execz .LBB31_33
.LBB31_36:                              ;   Parent Loop BB31_34 Depth=1
                                        ; =>  This Loop Header: Depth=2
                                        ;       Child Loop BB31_42 Depth 3
                                        ;       Child Loop BB31_48 Depth 3
	s_delay_alu instid0(VALU_DEP_1)
	v_lshl_add_u32 v6, v9, 2, 0
	s_mov_b32 s4, exec_lo
                                        ; implicit-def: $sgpr5
	ds_load_b32 v7, v6
	s_waitcnt lgkmcnt(0)
	v_cmpx_ne_u32_e64 v7, v8
	s_xor_b32 s4, exec_lo, s4
	s_cbranch_execz .LBB31_46
; %bb.37:                               ;   in Loop: Header=BB31_36 Depth=2
	s_mov_b32 s6, exec_lo
                                        ; implicit-def: $sgpr5
	v_cmpx_ne_u32_e64 s33, v7
	s_xor_b32 s6, exec_lo, s6
; %bb.38:                               ;   in Loop: Header=BB31_36 Depth=2
	v_add_nc_u32_e32 v6, 1, v9
	s_mov_b32 s5, -1
	s_delay_alu instid0(VALU_DEP_1)
	v_and_b32_e32 v9, 0xfff, v6
                                        ; implicit-def: $vgpr6
; %bb.39:                               ;   in Loop: Header=BB31_36 Depth=2
	s_and_not1_saveexec_b32 s6, s6
	s_cbranch_execz .LBB31_45
; %bb.40:                               ;   in Loop: Header=BB31_36 Depth=2
	v_mov_b32_e32 v7, s33
	s_mov_b32 s8, -1
	s_mov_b32 s7, exec_lo
	ds_cmpstore_rtn_b32 v7, v6, v8, v7
	s_waitcnt lgkmcnt(0)
	v_cmpx_eq_u32_e64 s33, v7
	s_cbranch_execz .LBB31_44
; %bb.41:                               ;   in Loop: Header=BB31_36 Depth=2
	v_lshlrev_b32_e32 v7, 2, v9
	s_mov_b32 s8, 0
	s_delay_alu instid0(VALU_DEP_1)
	v_add_nc_u32_e32 v10, v6, v7
	ds_load_b64 v[6:7], v10 offset:16384
.LBB31_42:                              ;   Parent Loop BB31_34 Depth=1
                                        ;     Parent Loop BB31_36 Depth=2
                                        ; =>    This Inner Loop Header: Depth=3
	s_waitcnt lgkmcnt(0)
	v_add_f64 v[11:12], v[6:7], v[4:5]
	ds_cmpstore_rtn_b64 v[11:12], v10, v[11:12], v[6:7] offset:16384
	s_waitcnt lgkmcnt(0)
	v_cmp_eq_u64_e32 vcc_lo, v[11:12], v[6:7]
	v_dual_mov_b32 v6, v11 :: v_dual_mov_b32 v7, v12
	s_or_b32 s8, vcc_lo, s8
	s_delay_alu instid0(SALU_CYCLE_1)
	s_and_not1_b32 exec_lo, exec_lo, s8
	s_cbranch_execnz .LBB31_42
; %bb.43:                               ;   in Loop: Header=BB31_36 Depth=2
	s_or_b32 exec_lo, exec_lo, s8
	s_delay_alu instid0(SALU_CYCLE_1)
	s_xor_b32 s8, exec_lo, -1
.LBB31_44:                              ;   in Loop: Header=BB31_36 Depth=2
	s_or_b32 exec_lo, exec_lo, s7
	s_delay_alu instid0(SALU_CYCLE_1) | instskip(SKIP_1) | instid1(SALU_CYCLE_1)
	s_and_not1_b32 s5, s5, exec_lo
	s_and_b32 s7, s8, exec_lo
	s_or_b32 s5, s5, s7
.LBB31_45:                              ;   in Loop: Header=BB31_36 Depth=2
	s_or_b32 exec_lo, exec_lo, s6
	s_delay_alu instid0(SALU_CYCLE_1)
	s_and_b32 s5, s5, exec_lo
                                        ; implicit-def: $vgpr6
.LBB31_46:                              ;   in Loop: Header=BB31_36 Depth=2
	s_and_not1_saveexec_b32 s4, s4
	s_cbranch_execz .LBB31_35
; %bb.47:                               ;   in Loop: Header=BB31_36 Depth=2
	v_lshlrev_b32_e32 v7, 2, v9
	s_mov_b32 s6, 0
	s_delay_alu instid0(VALU_DEP_1)
	v_add_nc_u32_e32 v10, v6, v7
	ds_load_b64 v[6:7], v10 offset:16384
.LBB31_48:                              ;   Parent Loop BB31_34 Depth=1
                                        ;     Parent Loop BB31_36 Depth=2
                                        ; =>    This Inner Loop Header: Depth=3
	s_waitcnt lgkmcnt(0)
	v_add_f64 v[11:12], v[6:7], v[4:5]
	ds_cmpstore_rtn_b64 v[11:12], v10, v[11:12], v[6:7] offset:16384
	s_waitcnt lgkmcnt(0)
	v_cmp_eq_u64_e32 vcc_lo, v[11:12], v[6:7]
	v_dual_mov_b32 v6, v11 :: v_dual_mov_b32 v7, v12
	s_or_b32 s6, vcc_lo, s6
	s_delay_alu instid0(SALU_CYCLE_1)
	s_and_not1_b32 exec_lo, exec_lo, s6
	s_cbranch_execnz .LBB31_48
; %bb.49:                               ;   in Loop: Header=BB31_36 Depth=2
	s_or_b32 exec_lo, exec_lo, s6
	s_delay_alu instid0(SALU_CYCLE_1)
	s_and_not1_b32 s5, s5, exec_lo
	s_branch .LBB31_35
.LBB31_50:
	s_or_b32 exec_lo, exec_lo, s1
.LBB31_51:
	v_mbcnt_lo_u32_b32 v1, -1, 0
	v_lshl_add_u32 v4, v18, 2, 0
	v_cmp_eq_u32_e32 vcc_lo, 0x3ff, v0
	v_cmp_lt_u32_e64 s0, 63, v0
	v_cmp_lt_u32_e64 s1, 0x7f, v0
	v_xor_b32_e32 v1, 63, v1
	v_cmp_lt_u32_e64 s2, 0xbf, v0
	v_cmp_lt_u32_e64 s3, 0xff, v0
	;; [unrolled: 1-line block ×4, first 2 shown]
	v_lshrrev_b64 v[1:2], v1, -1
	v_cmp_lt_u32_e64 s6, 0x1bf, v0
	v_cmp_lt_u32_e64 s7, 0x1ff, v0
	;; [unrolled: 1-line block ×9, first 2 shown]
	v_dual_mov_b32 v5, 0 :: v_dual_mov_b32 v6, 0
	s_mov_b32 s16, 0
	s_waitcnt lgkmcnt(0)
	s_barrier
	buffer_gl0_inv
	s_branch .LBB31_53
.LBB31_52:                              ;   in Loop: Header=BB31_53 Depth=1
	s_or_b32 exec_lo, exec_lo, s15
	s_waitcnt lgkmcnt(0)
	s_barrier
	buffer_gl0_inv
	ds_load_b32 v2, v5 offset:49212
	v_add_nc_u32_e32 v16, 0x400, v16
	v_add_nc_u32_e32 v17, 0x2000, v17
	;; [unrolled: 1-line block ×3, first 2 shown]
	s_delay_alu instid0(VALU_DEP_3) | instskip(NEXT) | instid1(VALU_DEP_1)
	v_cmp_lt_u32_e64 s15, 0xbff, v16
	s_or_b32 s16, s15, s16
	s_waitcnt lgkmcnt(0)
	v_add_nc_u32_e32 v6, v2, v6
	s_and_not1_b32 exec_lo, exec_lo, s16
	s_cbranch_execz .LBB31_87
.LBB31_53:                              ; =>This Inner Loop Header: Depth=1
	ds_load_b32 v7, v15
	ds_load_b64 v[2:3], v17
	s_waitcnt lgkmcnt(0)
	s_barrier
	buffer_gl0_inv
	v_cmp_gt_i32_e64 s15, s33, v7
	s_delay_alu instid0(VALU_DEP_1) | instskip(NEXT) | instid1(SALU_CYCLE_1)
	s_bcnt1_i32_b32 s17, s15
	v_dual_mov_b32 v9, s17 :: v_dual_and_b32 v8, s15, v1
	s_delay_alu instid0(VALU_DEP_1)
	v_bcnt_u32_b32 v8, v8, 0
	ds_store_b32 v4, v9 offset:49152
	s_waitcnt lgkmcnt(0)
	s_barrier
	buffer_gl0_inv
	s_and_saveexec_b32 s17, s0
	s_cbranch_execnz .LBB31_70
; %bb.54:                               ;   in Loop: Header=BB31_53 Depth=1
	s_or_b32 exec_lo, exec_lo, s17
	s_and_saveexec_b32 s17, s1
	s_cbranch_execnz .LBB31_71
.LBB31_55:                              ;   in Loop: Header=BB31_53 Depth=1
	s_or_b32 exec_lo, exec_lo, s17
	s_and_saveexec_b32 s17, s2
	s_cbranch_execnz .LBB31_72
.LBB31_56:                              ;   in Loop: Header=BB31_53 Depth=1
	s_or_b32 exec_lo, exec_lo, s17
	s_and_saveexec_b32 s17, s3
	s_cbranch_execnz .LBB31_73
.LBB31_57:                              ;   in Loop: Header=BB31_53 Depth=1
	s_or_b32 exec_lo, exec_lo, s17
	s_and_saveexec_b32 s17, s4
	s_cbranch_execnz .LBB31_74
.LBB31_58:                              ;   in Loop: Header=BB31_53 Depth=1
	s_or_b32 exec_lo, exec_lo, s17
	s_and_saveexec_b32 s17, s5
	s_cbranch_execnz .LBB31_75
.LBB31_59:                              ;   in Loop: Header=BB31_53 Depth=1
	s_or_b32 exec_lo, exec_lo, s17
	s_and_saveexec_b32 s17, s6
	s_cbranch_execnz .LBB31_76
.LBB31_60:                              ;   in Loop: Header=BB31_53 Depth=1
	s_or_b32 exec_lo, exec_lo, s17
	s_and_saveexec_b32 s17, s7
	s_cbranch_execnz .LBB31_77
.LBB31_61:                              ;   in Loop: Header=BB31_53 Depth=1
	s_or_b32 exec_lo, exec_lo, s17
	s_and_saveexec_b32 s17, s8
	s_cbranch_execnz .LBB31_78
.LBB31_62:                              ;   in Loop: Header=BB31_53 Depth=1
	s_or_b32 exec_lo, exec_lo, s17
	s_and_saveexec_b32 s17, s9
	s_cbranch_execnz .LBB31_79
.LBB31_63:                              ;   in Loop: Header=BB31_53 Depth=1
	s_or_b32 exec_lo, exec_lo, s17
	s_and_saveexec_b32 s17, s10
	s_cbranch_execnz .LBB31_80
.LBB31_64:                              ;   in Loop: Header=BB31_53 Depth=1
	s_or_b32 exec_lo, exec_lo, s17
	s_and_saveexec_b32 s17, s11
	s_cbranch_execnz .LBB31_81
.LBB31_65:                              ;   in Loop: Header=BB31_53 Depth=1
	s_or_b32 exec_lo, exec_lo, s17
	s_and_saveexec_b32 s17, s12
	s_cbranch_execnz .LBB31_82
.LBB31_66:                              ;   in Loop: Header=BB31_53 Depth=1
	s_or_b32 exec_lo, exec_lo, s17
	s_and_saveexec_b32 s17, s13
	s_cbranch_execnz .LBB31_83
.LBB31_67:                              ;   in Loop: Header=BB31_53 Depth=1
	s_or_b32 exec_lo, exec_lo, s17
	s_and_saveexec_b32 s17, s14
	s_cbranch_execnz .LBB31_84
.LBB31_68:                              ;   in Loop: Header=BB31_53 Depth=1
	s_or_b32 exec_lo, exec_lo, s17
	s_and_saveexec_b32 s17, s15
	s_cbranch_execnz .LBB31_85
.LBB31_69:                              ;   in Loop: Header=BB31_53 Depth=1
	s_or_b32 exec_lo, exec_lo, s17
	s_and_saveexec_b32 s15, vcc_lo
	s_cbranch_execz .LBB31_52
	s_branch .LBB31_86
.LBB31_70:                              ;   in Loop: Header=BB31_53 Depth=1
	ds_load_b32 v9, v5 offset:49152
	s_waitcnt lgkmcnt(0)
	v_add_nc_u32_e32 v8, v9, v8
	s_or_b32 exec_lo, exec_lo, s17
	s_and_saveexec_b32 s17, s1
	s_cbranch_execz .LBB31_55
.LBB31_71:                              ;   in Loop: Header=BB31_53 Depth=1
	ds_load_b32 v9, v5 offset:49156
	s_waitcnt lgkmcnt(0)
	v_add_nc_u32_e32 v8, v9, v8
	s_or_b32 exec_lo, exec_lo, s17
	s_and_saveexec_b32 s17, s2
	s_cbranch_execz .LBB31_56
.LBB31_72:                              ;   in Loop: Header=BB31_53 Depth=1
	ds_load_b32 v9, v5 offset:49160
	s_waitcnt lgkmcnt(0)
	v_add_nc_u32_e32 v8, v9, v8
	s_or_b32 exec_lo, exec_lo, s17
	s_and_saveexec_b32 s17, s3
	s_cbranch_execz .LBB31_57
.LBB31_73:                              ;   in Loop: Header=BB31_53 Depth=1
	ds_load_b32 v9, v5 offset:49164
	s_waitcnt lgkmcnt(0)
	v_add_nc_u32_e32 v8, v9, v8
	s_or_b32 exec_lo, exec_lo, s17
	s_and_saveexec_b32 s17, s4
	s_cbranch_execz .LBB31_58
.LBB31_74:                              ;   in Loop: Header=BB31_53 Depth=1
	ds_load_b32 v9, v5 offset:49168
	s_waitcnt lgkmcnt(0)
	v_add_nc_u32_e32 v8, v9, v8
	s_or_b32 exec_lo, exec_lo, s17
	s_and_saveexec_b32 s17, s5
	s_cbranch_execz .LBB31_59
.LBB31_75:                              ;   in Loop: Header=BB31_53 Depth=1
	ds_load_b32 v9, v5 offset:49172
	s_waitcnt lgkmcnt(0)
	v_add_nc_u32_e32 v8, v9, v8
	s_or_b32 exec_lo, exec_lo, s17
	s_and_saveexec_b32 s17, s6
	s_cbranch_execz .LBB31_60
.LBB31_76:                              ;   in Loop: Header=BB31_53 Depth=1
	ds_load_b32 v9, v5 offset:49176
	s_waitcnt lgkmcnt(0)
	v_add_nc_u32_e32 v8, v9, v8
	s_or_b32 exec_lo, exec_lo, s17
	s_and_saveexec_b32 s17, s7
	s_cbranch_execz .LBB31_61
.LBB31_77:                              ;   in Loop: Header=BB31_53 Depth=1
	ds_load_b32 v9, v5 offset:49180
	s_waitcnt lgkmcnt(0)
	v_add_nc_u32_e32 v8, v9, v8
	s_or_b32 exec_lo, exec_lo, s17
	s_and_saveexec_b32 s17, s8
	s_cbranch_execz .LBB31_62
.LBB31_78:                              ;   in Loop: Header=BB31_53 Depth=1
	ds_load_b32 v9, v5 offset:49184
	s_waitcnt lgkmcnt(0)
	v_add_nc_u32_e32 v8, v9, v8
	s_or_b32 exec_lo, exec_lo, s17
	s_and_saveexec_b32 s17, s9
	s_cbranch_execz .LBB31_63
.LBB31_79:                              ;   in Loop: Header=BB31_53 Depth=1
	ds_load_b32 v9, v5 offset:49188
	s_waitcnt lgkmcnt(0)
	v_add_nc_u32_e32 v8, v9, v8
	s_or_b32 exec_lo, exec_lo, s17
	s_and_saveexec_b32 s17, s10
	s_cbranch_execz .LBB31_64
.LBB31_80:                              ;   in Loop: Header=BB31_53 Depth=1
	ds_load_b32 v9, v5 offset:49192
	s_waitcnt lgkmcnt(0)
	v_add_nc_u32_e32 v8, v9, v8
	s_or_b32 exec_lo, exec_lo, s17
	s_and_saveexec_b32 s17, s11
	s_cbranch_execz .LBB31_65
.LBB31_81:                              ;   in Loop: Header=BB31_53 Depth=1
	ds_load_b32 v9, v5 offset:49196
	s_waitcnt lgkmcnt(0)
	v_add_nc_u32_e32 v8, v9, v8
	s_or_b32 exec_lo, exec_lo, s17
	s_and_saveexec_b32 s17, s12
	s_cbranch_execz .LBB31_66
.LBB31_82:                              ;   in Loop: Header=BB31_53 Depth=1
	ds_load_b32 v9, v5 offset:49200
	s_waitcnt lgkmcnt(0)
	v_add_nc_u32_e32 v8, v9, v8
	s_or_b32 exec_lo, exec_lo, s17
	s_and_saveexec_b32 s17, s13
	s_cbranch_execz .LBB31_67
.LBB31_83:                              ;   in Loop: Header=BB31_53 Depth=1
	ds_load_b32 v9, v5 offset:49204
	s_waitcnt lgkmcnt(0)
	v_add_nc_u32_e32 v8, v9, v8
	s_or_b32 exec_lo, exec_lo, s17
	s_and_saveexec_b32 s17, s14
	s_cbranch_execz .LBB31_68
.LBB31_84:                              ;   in Loop: Header=BB31_53 Depth=1
	ds_load_b32 v9, v5 offset:49208
	s_waitcnt lgkmcnt(0)
	v_add_nc_u32_e32 v8, v9, v8
	s_or_b32 exec_lo, exec_lo, s17
	s_and_saveexec_b32 s17, s15
	s_cbranch_execz .LBB31_69
.LBB31_85:                              ;   in Loop: Header=BB31_53 Depth=1
	s_delay_alu instid0(VALU_DEP_1) | instskip(NEXT) | instid1(VALU_DEP_1)
	v_add3_u32 v9, v6, -1, v8
	v_lshl_add_u32 v10, v9, 2, 0
	v_lshl_add_u32 v9, v9, 3, 0
	ds_store_b32 v10, v7
	ds_store_b64 v9, v[2:3] offset:16384
	s_or_b32 exec_lo, exec_lo, s17
	s_and_saveexec_b32 s15, vcc_lo
	s_cbranch_execz .LBB31_52
.LBB31_86:                              ;   in Loop: Header=BB31_53 Depth=1
	ds_store_b32 v5, v8 offset:49212
	s_branch .LBB31_52
.LBB31_87:
	s_or_b32 exec_lo, exec_lo, s16
	s_ashr_i32 s37, s36, 31
	s_mov_b32 s3, exec_lo
	s_lshl_b64 s[0:1], s[36:37], 2
	s_delay_alu instid0(SALU_CYCLE_1) | instskip(SKIP_4) | instid1(SALU_CYCLE_1)
	s_add_u32 s0, s22, s0
	s_addc_u32 s1, s23, s1
	s_load_b64 s[0:1], s[0:1], 0x0
	s_waitcnt lgkmcnt(0)
	s_sub_i32 s2, s1, s0
	v_cmpx_gt_i32_e64 s2, v0
	s_cbranch_execz .LBB31_97
; %bb.88:
	s_sub_i32 s3, s0, s26
	s_sub_i32 s0, s0, s1
	s_and_b32 s1, s2, 7
	s_cmp_lt_u32 s0, -7
	s_mov_b32 s7, 0
	s_cselect_b32 s4, -1, 0
	s_and_b32 s5, s2, -8
	s_cmp_lg_u32 s1, 0
	s_cselect_b32 s6, -1, 0
	s_branch .LBB31_90
.LBB31_89:                              ;   in Loop: Header=BB31_90 Depth=1
	s_waitcnt lgkmcnt(1)
	s_delay_alu instid0(VALU_DEP_1) | instskip(SKIP_1) | instid1(VALU_DEP_2)
	v_ashrrev_i32_e32 v4, 31, v3
	v_add_nc_u32_e32 v0, 0x400, v0
	v_lshlrev_b64 v[3:4], 3, v[3:4]
	s_delay_alu instid0(VALU_DEP_2) | instskip(SKIP_1) | instid1(VALU_DEP_2)
	v_cmp_le_i32_e32 vcc_lo, s2, v0
	s_or_b32 s7, vcc_lo, s7
	v_add_co_u32 v3, s0, s34, v3
	s_delay_alu instid0(VALU_DEP_1)
	v_add_co_ci_u32_e64 v4, s0, s35, v4, s0
	s_waitcnt lgkmcnt(0)
	global_store_b64 v[3:4], v[1:2], off
	s_and_not1_b32 exec_lo, exec_lo, s7
	s_cbranch_execz .LBB31_97
.LBB31_90:                              ; =>This Loop Header: Depth=1
                                        ;     Child Loop BB31_92 Depth 2
                                        ;     Child Loop BB31_96 Depth 2
	v_lshlrev_b32_e32 v1, 2, v0
	s_and_not1_b32 vcc_lo, exec_lo, s4
	s_mov_b32 s0, 0
	s_delay_alu instid0(VALU_DEP_1) | instskip(NEXT) | instid1(VALU_DEP_1)
	v_dual_mov_b32 v3, s3 :: v_dual_add_nc_u32 v2, 0, v1
	v_add_nc_u32_e32 v1, v2, v1
	ds_load_b32 v4, v2
	ds_load_b64 v[1:2], v1 offset:16384
	s_cbranch_vccnz .LBB31_94
; %bb.91:                               ;   in Loop: Header=BB31_90 Depth=1
	v_mov_b32_e32 v3, s3
	s_mov_b32 s8, 0
	s_set_inst_prefetch_distance 0x1
	.p2align	6
.LBB31_92:                              ;   Parent Loop BB31_90 Depth=1
                                        ; =>  This Inner Loop Header: Depth=2
	v_mov_b32_e32 v11, s8
	s_add_i32 s0, s0, 8
	s_add_i32 s8, s8, 32
	s_cmp_eq_u32 s5, s0
	ds_load_2addr_b32 v[5:6], v11 offset1:1
	ds_load_2addr_b32 v[7:8], v11 offset0:2 offset1:3
	ds_load_2addr_b32 v[9:10], v11 offset0:4 offset1:5
	;; [unrolled: 1-line block ×3, first 2 shown]
	s_waitcnt lgkmcnt(3)
	v_cmp_gt_i32_e32 vcc_lo, v4, v5
	v_cndmask_b32_e64 v5, 0, 1, vcc_lo
	s_waitcnt lgkmcnt(2)
	v_cmp_gt_i32_e32 vcc_lo, v4, v7
	v_cndmask_b32_e64 v7, 0, 1, vcc_lo
	v_cmp_gt_i32_e32 vcc_lo, v4, v6
	v_add_co_ci_u32_e32 v3, vcc_lo, v3, v5, vcc_lo
	s_waitcnt lgkmcnt(1)
	v_cmp_gt_i32_e32 vcc_lo, v4, v9
	v_cndmask_b32_e64 v5, 0, 1, vcc_lo
	v_cmp_gt_i32_e32 vcc_lo, v4, v8
	v_add_co_ci_u32_e32 v3, vcc_lo, v3, v7, vcc_lo
	;; [unrolled: 5-line block ×3, first 2 shown]
	v_cmp_gt_i32_e32 vcc_lo, v4, v12
	s_delay_alu instid0(VALU_DEP_2)
	v_add_co_ci_u32_e32 v3, vcc_lo, v3, v6, vcc_lo
	s_cbranch_scc0 .LBB31_92
; %bb.93:                               ;   in Loop: Header=BB31_90 Depth=1
	s_set_inst_prefetch_distance 0x2
	s_mov_b32 s0, s5
.LBB31_94:                              ;   in Loop: Header=BB31_90 Depth=1
	s_and_not1_b32 vcc_lo, exec_lo, s6
	s_cbranch_vccnz .LBB31_89
; %bb.95:                               ;   in Loop: Header=BB31_90 Depth=1
	s_lshl_b32 s0, s0, 2
	s_mov_b32 s8, s1
	s_add_i32 s0, s0, 0
.LBB31_96:                              ;   Parent Loop BB31_90 Depth=1
                                        ; =>  This Inner Loop Header: Depth=2
	s_delay_alu instid0(SALU_CYCLE_1)
	v_mov_b32_e32 v5, s0
	s_add_i32 s8, s8, -1
	s_add_i32 s0, s0, 4
	s_cmp_lg_u32 s8, 0
	ds_load_b32 v5, v5
	s_waitcnt lgkmcnt(0)
	v_cmp_gt_i32_e32 vcc_lo, v4, v5
	v_add_co_ci_u32_e32 v3, vcc_lo, 0, v3, vcc_lo
	s_cbranch_scc1 .LBB31_96
	s_branch .LBB31_89
.LBB31_97:
	s_nop 0
	s_sendmsg sendmsg(MSG_DEALLOC_VGPRS)
	s_endpgm
	.section	.rodata,"a",@progbits
	.p2align	6, 0x0
	.amdhsa_kernel _ZN9rocsparseL41csrgemm_numeric_fill_block_per_row_kernelILj1024ELj64ELj4096ELj137ELj64EiidEEvT5_PKS1_S3_NS_24const_host_device_scalarIT6_EEPKT4_S3_PKS5_S9_S3_SB_S6_S9_S3_SB_S9_S3_PS5_21rocsparse_index_base_SD_SD_SD_bbb
		.amdhsa_group_segment_fixed_size 0
		.amdhsa_private_segment_fixed_size 0
		.amdhsa_kernarg_size 156
		.amdhsa_user_sgpr_count 15
		.amdhsa_user_sgpr_dispatch_ptr 0
		.amdhsa_user_sgpr_queue_ptr 0
		.amdhsa_user_sgpr_kernarg_segment_ptr 1
		.amdhsa_user_sgpr_dispatch_id 0
		.amdhsa_user_sgpr_private_segment_size 0
		.amdhsa_wavefront_size32 1
		.amdhsa_uses_dynamic_stack 0
		.amdhsa_enable_private_segment 0
		.amdhsa_system_sgpr_workgroup_id_x 1
		.amdhsa_system_sgpr_workgroup_id_y 0
		.amdhsa_system_sgpr_workgroup_id_z 0
		.amdhsa_system_sgpr_workgroup_info 0
		.amdhsa_system_vgpr_workitem_id 0
		.amdhsa_next_free_vgpr 24
		.amdhsa_next_free_sgpr 42
		.amdhsa_reserve_vcc 1
		.amdhsa_float_round_mode_32 0
		.amdhsa_float_round_mode_16_64 0
		.amdhsa_float_denorm_mode_32 3
		.amdhsa_float_denorm_mode_16_64 3
		.amdhsa_dx10_clamp 1
		.amdhsa_ieee_mode 1
		.amdhsa_fp16_overflow 0
		.amdhsa_workgroup_processor_mode 1
		.amdhsa_memory_ordered 1
		.amdhsa_forward_progress 0
		.amdhsa_shared_vgpr_count 0
		.amdhsa_exception_fp_ieee_invalid_op 0
		.amdhsa_exception_fp_denorm_src 0
		.amdhsa_exception_fp_ieee_div_zero 0
		.amdhsa_exception_fp_ieee_overflow 0
		.amdhsa_exception_fp_ieee_underflow 0
		.amdhsa_exception_fp_ieee_inexact 0
		.amdhsa_exception_int_div_zero 0
	.end_amdhsa_kernel
	.section	.text._ZN9rocsparseL41csrgemm_numeric_fill_block_per_row_kernelILj1024ELj64ELj4096ELj137ELj64EiidEEvT5_PKS1_S3_NS_24const_host_device_scalarIT6_EEPKT4_S3_PKS5_S9_S3_SB_S6_S9_S3_SB_S9_S3_PS5_21rocsparse_index_base_SD_SD_SD_bbb,"axG",@progbits,_ZN9rocsparseL41csrgemm_numeric_fill_block_per_row_kernelILj1024ELj64ELj4096ELj137ELj64EiidEEvT5_PKS1_S3_NS_24const_host_device_scalarIT6_EEPKT4_S3_PKS5_S9_S3_SB_S6_S9_S3_SB_S9_S3_PS5_21rocsparse_index_base_SD_SD_SD_bbb,comdat
.Lfunc_end31:
	.size	_ZN9rocsparseL41csrgemm_numeric_fill_block_per_row_kernelILj1024ELj64ELj4096ELj137ELj64EiidEEvT5_PKS1_S3_NS_24const_host_device_scalarIT6_EEPKT4_S3_PKS5_S9_S3_SB_S6_S9_S3_SB_S9_S3_PS5_21rocsparse_index_base_SD_SD_SD_bbb, .Lfunc_end31-_ZN9rocsparseL41csrgemm_numeric_fill_block_per_row_kernelILj1024ELj64ELj4096ELj137ELj64EiidEEvT5_PKS1_S3_NS_24const_host_device_scalarIT6_EEPKT4_S3_PKS5_S9_S3_SB_S6_S9_S3_SB_S9_S3_PS5_21rocsparse_index_base_SD_SD_SD_bbb
                                        ; -- End function
	.section	.AMDGPU.csdata,"",@progbits
; Kernel info:
; codeLenInByte = 3488
; NumSgprs: 44
; NumVgprs: 24
; ScratchSize: 0
; MemoryBound: 0
; FloatMode: 240
; IeeeMode: 1
; LDSByteSize: 0 bytes/workgroup (compile time only)
; SGPRBlocks: 5
; VGPRBlocks: 2
; NumSGPRsForWavesPerEU: 44
; NumVGPRsForWavesPerEU: 24
; Occupancy: 16
; WaveLimiterHint : 1
; COMPUTE_PGM_RSRC2:SCRATCH_EN: 0
; COMPUTE_PGM_RSRC2:USER_SGPR: 15
; COMPUTE_PGM_RSRC2:TRAP_HANDLER: 0
; COMPUTE_PGM_RSRC2:TGID_X_EN: 1
; COMPUTE_PGM_RSRC2:TGID_Y_EN: 0
; COMPUTE_PGM_RSRC2:TGID_Z_EN: 0
; COMPUTE_PGM_RSRC2:TIDIG_COMP_CNT: 0
	.section	.text._ZN9rocsparseL41csrgemm_numeric_fill_block_per_row_kernelILj1024ELj64ELj8192ELj137ELj32EiidEEvT5_PKS1_S3_NS_24const_host_device_scalarIT6_EEPKT4_S3_PKS5_S9_S3_SB_S6_S9_S3_SB_S9_S3_PS5_21rocsparse_index_base_SD_SD_SD_bbb,"axG",@progbits,_ZN9rocsparseL41csrgemm_numeric_fill_block_per_row_kernelILj1024ELj64ELj8192ELj137ELj32EiidEEvT5_PKS1_S3_NS_24const_host_device_scalarIT6_EEPKT4_S3_PKS5_S9_S3_SB_S6_S9_S3_SB_S9_S3_PS5_21rocsparse_index_base_SD_SD_SD_bbb,comdat
	.globl	_ZN9rocsparseL41csrgemm_numeric_fill_block_per_row_kernelILj1024ELj64ELj8192ELj137ELj32EiidEEvT5_PKS1_S3_NS_24const_host_device_scalarIT6_EEPKT4_S3_PKS5_S9_S3_SB_S6_S9_S3_SB_S9_S3_PS5_21rocsparse_index_base_SD_SD_SD_bbb ; -- Begin function _ZN9rocsparseL41csrgemm_numeric_fill_block_per_row_kernelILj1024ELj64ELj8192ELj137ELj32EiidEEvT5_PKS1_S3_NS_24const_host_device_scalarIT6_EEPKT4_S3_PKS5_S9_S3_SB_S6_S9_S3_SB_S9_S3_PS5_21rocsparse_index_base_SD_SD_SD_bbb
	.p2align	8
	.type	_ZN9rocsparseL41csrgemm_numeric_fill_block_per_row_kernelILj1024ELj64ELj8192ELj137ELj32EiidEEvT5_PKS1_S3_NS_24const_host_device_scalarIT6_EEPKT4_S3_PKS5_S9_S3_SB_S6_S9_S3_SB_S9_S3_PS5_21rocsparse_index_base_SD_SD_SD_bbb,@function
_ZN9rocsparseL41csrgemm_numeric_fill_block_per_row_kernelILj1024ELj64ELj8192ELj137ELj32EiidEEvT5_PKS1_S3_NS_24const_host_device_scalarIT6_EEPKT4_S3_PKS5_S9_S3_SB_S6_S9_S3_SB_S9_S3_PS5_21rocsparse_index_base_SD_SD_SD_bbb: ; @_ZN9rocsparseL41csrgemm_numeric_fill_block_per_row_kernelILj1024ELj64ELj8192ELj137ELj32EiidEEvT5_PKS1_S3_NS_24const_host_device_scalarIT6_EEPKT4_S3_PKS5_S9_S3_SB_S6_S9_S3_SB_S9_S3_PS5_21rocsparse_index_base_SD_SD_SD_bbb
; %bb.0:
	s_clause 0x4
	s_load_b32 s11, s[0:1], 0x98
	s_load_b64 s[8:9], s[0:1], 0x18
	s_load_b128 s[4:7], s[0:1], 0x8
	s_load_b128 s[36:39], s[0:1], 0x88
	s_load_b64 s[2:3], s[0:1], 0x50
	s_waitcnt lgkmcnt(0)
	s_and_b32 s10, 1, s11
	s_bitcmp1_b32 s11, 16
	s_cselect_b32 s13, -1, 0
	s_cmp_eq_u32 s10, 1
	s_cselect_b32 s10, -1, 0
	s_delay_alu instid0(SALU_CYCLE_1)
	s_and_b32 s12, s10, exec_lo
	s_cselect_b32 s17, s9, 0
	s_cselect_b32 s16, s8, 0
	s_xor_b32 s12, s10, -1
	v_dual_mov_b32 v3, s16 :: v_dual_mov_b32 v4, s17
	s_or_b32 s12, s12, s13
	s_delay_alu instid0(SALU_CYCLE_1)
	s_and_b32 vcc_lo, exec_lo, s12
	s_cbranch_vccnz .LBB32_2
; %bb.1:
	v_dual_mov_b32 v1, s8 :: v_dual_mov_b32 v2, s9
	flat_load_b64 v[3:4], v[1:2]
.LBB32_2:
	s_bitcmp1_b32 s11, 8
	s_cselect_b32 s12, -1, 0
	s_delay_alu instid0(SALU_CYCLE_1)
	s_and_b32 s8, s12, exec_lo
	s_cselect_b32 s9, s3, 0
	s_cselect_b32 s8, s2, 0
	s_xor_b32 s11, s12, -1
	v_dual_mov_b32 v1, s8 :: v_dual_mov_b32 v2, s9
	s_or_b32 s11, s11, s13
	s_delay_alu instid0(SALU_CYCLE_1)
	s_and_b32 vcc_lo, exec_lo, s11
	s_cbranch_vccnz .LBB32_4
; %bb.3:
	v_dual_mov_b32 v1, s2 :: v_dual_mov_b32 v2, s3
	flat_load_b64 v[1:2], v[1:2]
.LBB32_4:
	s_load_b32 s33, s[0:1], 0x0
	s_mov_b32 s2, 0
	s_delay_alu instid0(SALU_CYCLE_1) | instskip(NEXT) | instid1(SALU_CYCLE_1)
	s_mov_b32 s3, s2
	v_dual_mov_b32 v6, s3 :: v_dual_lshlrev_b32 v7, 2, v0
	v_dual_mov_b32 v5, s2 :: v_dual_lshlrev_b32 v16, 3, v0
	s_delay_alu instid0(VALU_DEP_2) | instskip(NEXT) | instid1(VALU_DEP_2)
	v_add_nc_u32_e32 v15, 0, v7
	v_add3_u32 v8, 0, 0x8000, v16
	ds_store_2addr_stride64_b64 v8, v[5:6], v[5:6] offset0:16 offset1:32
	ds_store_2addr_stride64_b64 v8, v[5:6], v[5:6] offset0:48 offset1:64
	;; [unrolled: 1-line block ×3, first 2 shown]
	s_waitcnt lgkmcnt(0)
	v_dual_mov_b32 v10, s33 :: v_dual_add_nc_u32 v7, v15, v7
	v_dual_mov_b32 v12, s33 :: v_dual_mov_b32 v9, s33
	v_dual_mov_b32 v14, s33 :: v_dual_mov_b32 v11, s33
	;; [unrolled: 1-line block ×3, first 2 shown]
	v_mov_b32_e32 v17, s33
	ds_store_b64 v7, v[5:6] offset:32768
	ds_store_b64 v8, v[5:6] offset:57344
	ds_store_2addr_stride64_b32 v15, v9, v10 offset1:16
	ds_store_2addr_stride64_b32 v15, v11, v12 offset0:32 offset1:48
	ds_store_2addr_stride64_b32 v15, v13, v14 offset0:64 offset1:80
	ds_store_2addr_stride64_b32 v15, v17, v18 offset0:96 offset1:112
	s_waitcnt vmcnt(0) lgkmcnt(0)
	s_barrier
	buffer_gl0_inv
	s_load_b32 s3, s[4:5], 0x0
	s_mov_b32 s5, s2
	s_waitcnt lgkmcnt(0)
	s_add_i32 s4, s3, s15
	s_delay_alu instid0(SALU_CYCLE_1) | instskip(NEXT) | instid1(SALU_CYCLE_1)
	s_lshl_b64 s[2:3], s[4:5], 2
	s_add_u32 s2, s6, s2
	s_addc_u32 s3, s7, s3
	s_and_not1_b32 vcc_lo, exec_lo, s10
	s_load_b32 s34, s[2:3], 0x0
	s_cbranch_vccnz .LBB32_28
; %bb.5:
	s_load_b64 s[2:3], s[0:1], 0x20
	s_waitcnt lgkmcnt(0)
	s_ashr_i32 s35, s34, 31
	v_lshrrev_b32_e32 v5, 6, v0
	s_lshl_b64 s[4:5], s[34:35], 2
	s_mov_b32 s14, exec_lo
	s_delay_alu instid0(VALU_DEP_1)
	v_subrev_nc_u32_e32 v5, s36, v5
	s_add_u32 s2, s2, s4
	s_addc_u32 s3, s3, s5
	s_load_b64 s[2:3], s[2:3], 0x0
	s_waitcnt lgkmcnt(0)
	v_add_nc_u32_e32 v5, s2, v5
	s_sub_i32 s13, s3, s36
	s_delay_alu instid0(VALU_DEP_1) | instid1(SALU_CYCLE_1)
	v_cmpx_gt_i32_e64 s13, v5
	s_cbranch_execz .LBB32_27
; %bb.6:
	s_clause 0x1
	s_load_b64 s[2:3], s[0:1], 0x48
	s_load_b256 s[4:11], s[0:1], 0x28
	v_and_b32_e32 v6, 63, v0
	s_mov_b32 s15, 0
	s_delay_alu instid0(VALU_DEP_1)
	v_subrev_nc_u32_e32 v17, s37, v6
	s_branch .LBB32_8
.LBB32_7:                               ;   in Loop: Header=BB32_8 Depth=1
	s_or_b32 exec_lo, exec_lo, s16
	v_add_nc_u32_e32 v5, 16, v5
	s_delay_alu instid0(VALU_DEP_1) | instskip(SKIP_1) | instid1(SALU_CYCLE_1)
	v_cmp_le_i32_e32 vcc_lo, s13, v5
	s_or_b32 s15, vcc_lo, s15
	s_and_not1_b32 exec_lo, exec_lo, s15
	s_cbranch_execz .LBB32_27
.LBB32_8:                               ; =>This Loop Header: Depth=1
                                        ;     Child Loop BB32_11 Depth 2
                                        ;       Child Loop BB32_13 Depth 3
                                        ;         Child Loop BB32_19 Depth 4
                                        ;         Child Loop BB32_25 Depth 4
	v_ashrrev_i32_e32 v6, 31, v5
	s_mov_b32 s16, exec_lo
	s_delay_alu instid0(VALU_DEP_1) | instskip(SKIP_1) | instid1(VALU_DEP_1)
	v_lshlrev_b64 v[7:8], 2, v[5:6]
	s_waitcnt lgkmcnt(0)
	v_add_co_u32 v7, vcc_lo, s4, v7
	s_delay_alu instid0(VALU_DEP_2) | instskip(SKIP_3) | instid1(VALU_DEP_1)
	v_add_co_ci_u32_e32 v8, vcc_lo, s5, v8, vcc_lo
	global_load_b32 v7, v[7:8], off
	s_waitcnt vmcnt(0)
	v_subrev_nc_u32_e32 v7, s36, v7
	v_ashrrev_i32_e32 v8, 31, v7
	s_delay_alu instid0(VALU_DEP_1) | instskip(NEXT) | instid1(VALU_DEP_1)
	v_lshlrev_b64 v[7:8], 2, v[7:8]
	v_add_co_u32 v7, vcc_lo, s8, v7
	s_delay_alu instid0(VALU_DEP_2) | instskip(SKIP_4) | instid1(VALU_DEP_1)
	v_add_co_ci_u32_e32 v8, vcc_lo, s9, v8, vcc_lo
	global_load_b64 v[7:8], v[7:8], off
	s_waitcnt vmcnt(0)
	v_subrev_nc_u32_e32 v18, s37, v8
	v_add_nc_u32_e32 v7, v7, v17
	v_cmpx_lt_i32_e64 v7, v18
	s_cbranch_execz .LBB32_7
; %bb.9:                                ;   in Loop: Header=BB32_8 Depth=1
	v_lshlrev_b64 v[8:9], 3, v[5:6]
	s_mov_b32 s17, 0
	s_delay_alu instid0(VALU_DEP_1) | instskip(NEXT) | instid1(VALU_DEP_2)
	v_add_co_u32 v8, vcc_lo, s6, v8
	v_add_co_ci_u32_e32 v9, vcc_lo, s7, v9, vcc_lo
	global_load_b64 v[8:9], v[8:9], off
	s_waitcnt vmcnt(0)
	v_mul_f64 v[9:10], v[3:4], v[8:9]
	s_branch .LBB32_11
.LBB32_10:                              ;   in Loop: Header=BB32_11 Depth=2
	s_or_b32 exec_lo, exec_lo, s18
	v_add_nc_u32_e32 v7, 64, v7
	s_delay_alu instid0(VALU_DEP_1) | instskip(SKIP_1) | instid1(SALU_CYCLE_1)
	v_cmp_ge_i32_e32 vcc_lo, v7, v18
	s_or_b32 s17, vcc_lo, s17
	s_and_not1_b32 exec_lo, exec_lo, s17
	s_cbranch_execz .LBB32_7
.LBB32_11:                              ;   Parent Loop BB32_8 Depth=1
                                        ; =>  This Loop Header: Depth=2
                                        ;       Child Loop BB32_13 Depth 3
                                        ;         Child Loop BB32_19 Depth 4
                                        ;         Child Loop BB32_25 Depth 4
	v_ashrrev_i32_e32 v8, 31, v7
	s_mov_b32 s18, 0
	s_delay_alu instid0(VALU_DEP_1) | instskip(SKIP_1) | instid1(VALU_DEP_2)
	v_lshlrev_b64 v[11:12], 3, v[7:8]
	v_lshlrev_b64 v[13:14], 2, v[7:8]
	v_add_co_u32 v11, vcc_lo, s2, v11
	s_delay_alu instid0(VALU_DEP_3) | instskip(NEXT) | instid1(VALU_DEP_3)
	v_add_co_ci_u32_e32 v12, vcc_lo, s3, v12, vcc_lo
	v_add_co_u32 v13, vcc_lo, s10, v13
	s_delay_alu instid0(VALU_DEP_4)
	v_add_co_ci_u32_e32 v14, vcc_lo, s11, v14, vcc_lo
	global_load_b64 v[11:12], v[11:12], off
	global_load_b32 v6, v[13:14], off
	s_waitcnt vmcnt(1)
	v_mul_f64 v[11:12], v[9:10], v[11:12]
	s_waitcnt vmcnt(0)
	v_subrev_nc_u32_e32 v6, s37, v6
	s_delay_alu instid0(VALU_DEP_1) | instskip(NEXT) | instid1(VALU_DEP_1)
	v_mul_lo_u32 v8, 0x89, v6
	v_and_b32_e32 v8, 0x1fff, v8
	s_branch .LBB32_13
.LBB32_12:                              ;   in Loop: Header=BB32_13 Depth=3
	s_or_b32 exec_lo, exec_lo, s19
	s_xor_b32 s19, s20, -1
	s_delay_alu instid0(SALU_CYCLE_1) | instskip(NEXT) | instid1(SALU_CYCLE_1)
	s_and_b32 s19, exec_lo, s19
	s_or_b32 s18, s19, s18
	s_delay_alu instid0(SALU_CYCLE_1)
	s_and_not1_b32 exec_lo, exec_lo, s18
	s_cbranch_execz .LBB32_10
.LBB32_13:                              ;   Parent Loop BB32_8 Depth=1
                                        ;     Parent Loop BB32_11 Depth=2
                                        ; =>    This Loop Header: Depth=3
                                        ;         Child Loop BB32_19 Depth 4
                                        ;         Child Loop BB32_25 Depth 4
	s_delay_alu instid0(VALU_DEP_1)
	v_lshl_add_u32 v13, v8, 2, 0
	s_mov_b32 s19, exec_lo
                                        ; implicit-def: $sgpr20
	ds_load_b32 v14, v13
	s_waitcnt lgkmcnt(0)
	v_cmpx_ne_u32_e64 v14, v6
	s_xor_b32 s19, exec_lo, s19
	s_cbranch_execz .LBB32_23
; %bb.14:                               ;   in Loop: Header=BB32_13 Depth=3
	s_mov_b32 s21, exec_lo
                                        ; implicit-def: $sgpr20
	v_cmpx_ne_u32_e64 s33, v14
	s_xor_b32 s21, exec_lo, s21
; %bb.15:                               ;   in Loop: Header=BB32_13 Depth=3
	v_add_nc_u32_e32 v8, 1, v8
	s_mov_b32 s20, -1
                                        ; implicit-def: $vgpr13
	s_delay_alu instid0(VALU_DEP_1)
	v_and_b32_e32 v8, 0x1fff, v8
; %bb.16:                               ;   in Loop: Header=BB32_13 Depth=3
	s_and_not1_saveexec_b32 s21, s21
	s_cbranch_execz .LBB32_22
; %bb.17:                               ;   in Loop: Header=BB32_13 Depth=3
	v_mov_b32_e32 v14, s33
	s_mov_b32 s23, -1
	s_mov_b32 s22, exec_lo
	ds_cmpstore_rtn_b32 v14, v13, v6, v14
	s_waitcnt lgkmcnt(0)
	v_cmpx_eq_u32_e64 s33, v14
	s_cbranch_execz .LBB32_21
; %bb.18:                               ;   in Loop: Header=BB32_13 Depth=3
	v_lshlrev_b32_e32 v14, 2, v8
	s_mov_b32 s23, 0
	s_delay_alu instid0(VALU_DEP_1)
	v_add_nc_u32_e32 v19, v13, v14
	ds_load_b64 v[13:14], v19 offset:32768
.LBB32_19:                              ;   Parent Loop BB32_8 Depth=1
                                        ;     Parent Loop BB32_11 Depth=2
                                        ;       Parent Loop BB32_13 Depth=3
                                        ; =>      This Inner Loop Header: Depth=4
	s_waitcnt lgkmcnt(0)
	v_add_f64 v[20:21], v[13:14], v[11:12]
	ds_cmpstore_rtn_b64 v[20:21], v19, v[20:21], v[13:14] offset:32768
	s_waitcnt lgkmcnt(0)
	v_cmp_eq_u64_e32 vcc_lo, v[20:21], v[13:14]
	v_dual_mov_b32 v13, v20 :: v_dual_mov_b32 v14, v21
	s_or_b32 s23, vcc_lo, s23
	s_delay_alu instid0(SALU_CYCLE_1)
	s_and_not1_b32 exec_lo, exec_lo, s23
	s_cbranch_execnz .LBB32_19
; %bb.20:                               ;   in Loop: Header=BB32_13 Depth=3
	s_or_b32 exec_lo, exec_lo, s23
	s_delay_alu instid0(SALU_CYCLE_1)
	s_xor_b32 s23, exec_lo, -1
.LBB32_21:                              ;   in Loop: Header=BB32_13 Depth=3
	s_or_b32 exec_lo, exec_lo, s22
	s_delay_alu instid0(SALU_CYCLE_1) | instskip(SKIP_1) | instid1(SALU_CYCLE_1)
	s_and_not1_b32 s20, s20, exec_lo
	s_and_b32 s22, s23, exec_lo
	s_or_b32 s20, s20, s22
.LBB32_22:                              ;   in Loop: Header=BB32_13 Depth=3
	s_or_b32 exec_lo, exec_lo, s21
	s_delay_alu instid0(SALU_CYCLE_1)
	s_and_b32 s20, s20, exec_lo
                                        ; implicit-def: $vgpr13
.LBB32_23:                              ;   in Loop: Header=BB32_13 Depth=3
	s_and_not1_saveexec_b32 s19, s19
	s_cbranch_execz .LBB32_12
; %bb.24:                               ;   in Loop: Header=BB32_13 Depth=3
	v_lshlrev_b32_e32 v14, 2, v8
	s_mov_b32 s21, 0
	s_delay_alu instid0(VALU_DEP_1)
	v_add_nc_u32_e32 v19, v13, v14
	ds_load_b64 v[13:14], v19 offset:32768
.LBB32_25:                              ;   Parent Loop BB32_8 Depth=1
                                        ;     Parent Loop BB32_11 Depth=2
                                        ;       Parent Loop BB32_13 Depth=3
                                        ; =>      This Inner Loop Header: Depth=4
	s_waitcnt lgkmcnt(0)
	v_add_f64 v[20:21], v[13:14], v[11:12]
	ds_cmpstore_rtn_b64 v[20:21], v19, v[20:21], v[13:14] offset:32768
	s_waitcnt lgkmcnt(0)
	v_cmp_eq_u64_e32 vcc_lo, v[20:21], v[13:14]
	v_dual_mov_b32 v13, v20 :: v_dual_mov_b32 v14, v21
	s_or_b32 s21, vcc_lo, s21
	s_delay_alu instid0(SALU_CYCLE_1)
	s_and_not1_b32 exec_lo, exec_lo, s21
	s_cbranch_execnz .LBB32_25
; %bb.26:                               ;   in Loop: Header=BB32_13 Depth=3
	s_or_b32 exec_lo, exec_lo, s21
	s_delay_alu instid0(SALU_CYCLE_1)
	s_and_not1_b32 s20, s20, exec_lo
	s_branch .LBB32_12
.LBB32_27:
	s_or_b32 exec_lo, exec_lo, s14
.LBB32_28:
	s_clause 0x1
	s_load_b64 s[36:37], s[0:1], 0x80
	s_load_b64 s[40:41], s[0:1], 0x70
	s_and_not1_b32 vcc_lo, exec_lo, s12
	s_cbranch_vccnz .LBB32_49
; %bb.29:
	s_load_b64 s[2:3], s[0:1], 0x58
	s_waitcnt lgkmcnt(0)
	s_ashr_i32 s35, s34, 31
	v_subrev_nc_u32_e32 v3, s39, v0
	s_lshl_b64 s[4:5], s[34:35], 2
	s_delay_alu instid0(SALU_CYCLE_1)
	s_add_u32 s2, s2, s4
	s_addc_u32 s3, s3, s5
	s_mov_b32 s5, exec_lo
	s_load_b64 s[2:3], s[2:3], 0x0
	s_waitcnt lgkmcnt(0)
	v_add_nc_u32_e32 v3, s2, v3
	s_sub_i32 s4, s3, s39
	s_delay_alu instid0(VALU_DEP_1) | instid1(SALU_CYCLE_1)
	v_cmpx_gt_i32_e64 s4, v3
	s_cbranch_execz .LBB32_48
; %bb.30:
	s_load_b128 s[0:3], s[0:1], 0x60
	s_mov_b32 s6, 0
	s_branch .LBB32_32
.LBB32_31:                              ;   in Loop: Header=BB32_32 Depth=1
	s_or_b32 exec_lo, exec_lo, s7
	v_add_nc_u32_e32 v3, 0x400, v3
	s_delay_alu instid0(VALU_DEP_1) | instskip(SKIP_1) | instid1(SALU_CYCLE_1)
	v_cmp_le_i32_e32 vcc_lo, s4, v3
	s_or_b32 s6, vcc_lo, s6
	s_and_not1_b32 exec_lo, exec_lo, s6
	s_cbranch_execz .LBB32_48
.LBB32_32:                              ; =>This Loop Header: Depth=1
                                        ;     Child Loop BB32_34 Depth 2
                                        ;       Child Loop BB32_40 Depth 3
                                        ;       Child Loop BB32_46 Depth 3
	v_ashrrev_i32_e32 v4, 31, v3
	s_mov_b32 s7, 0
	s_delay_alu instid0(VALU_DEP_1) | instskip(SKIP_2) | instid1(VALU_DEP_2)
	v_lshlrev_b64 v[5:6], 3, v[3:4]
	v_lshlrev_b64 v[7:8], 2, v[3:4]
	s_waitcnt lgkmcnt(0)
	v_add_co_u32 v5, vcc_lo, s2, v5
	s_delay_alu instid0(VALU_DEP_3) | instskip(NEXT) | instid1(VALU_DEP_3)
	v_add_co_ci_u32_e32 v6, vcc_lo, s3, v6, vcc_lo
	v_add_co_u32 v7, vcc_lo, s0, v7
	s_delay_alu instid0(VALU_DEP_4)
	v_add_co_ci_u32_e32 v8, vcc_lo, s1, v8, vcc_lo
	global_load_b64 v[5:6], v[5:6], off
	global_load_b32 v7, v[7:8], off
	s_waitcnt vmcnt(1)
	v_mul_f64 v[4:5], v[1:2], v[5:6]
	s_waitcnt vmcnt(0)
	v_subrev_nc_u32_e32 v8, s39, v7
	s_delay_alu instid0(VALU_DEP_1) | instskip(NEXT) | instid1(VALU_DEP_1)
	v_mul_lo_u32 v6, 0x89, v8
	v_and_b32_e32 v9, 0x1fff, v6
	s_branch .LBB32_34
.LBB32_33:                              ;   in Loop: Header=BB32_34 Depth=2
	s_or_b32 exec_lo, exec_lo, s8
	s_xor_b32 s8, s9, -1
	s_delay_alu instid0(SALU_CYCLE_1) | instskip(NEXT) | instid1(SALU_CYCLE_1)
	s_and_b32 s8, exec_lo, s8
	s_or_b32 s7, s8, s7
	s_delay_alu instid0(SALU_CYCLE_1)
	s_and_not1_b32 exec_lo, exec_lo, s7
	s_cbranch_execz .LBB32_31
.LBB32_34:                              ;   Parent Loop BB32_32 Depth=1
                                        ; =>  This Loop Header: Depth=2
                                        ;       Child Loop BB32_40 Depth 3
                                        ;       Child Loop BB32_46 Depth 3
	s_delay_alu instid0(VALU_DEP_1)
	v_lshl_add_u32 v6, v9, 2, 0
	s_mov_b32 s8, exec_lo
                                        ; implicit-def: $sgpr9
	ds_load_b32 v7, v6
	s_waitcnt lgkmcnt(0)
	v_cmpx_ne_u32_e64 v7, v8
	s_xor_b32 s8, exec_lo, s8
	s_cbranch_execz .LBB32_44
; %bb.35:                               ;   in Loop: Header=BB32_34 Depth=2
	s_mov_b32 s10, exec_lo
                                        ; implicit-def: $sgpr9
	v_cmpx_ne_u32_e64 s33, v7
	s_xor_b32 s10, exec_lo, s10
; %bb.36:                               ;   in Loop: Header=BB32_34 Depth=2
	v_add_nc_u32_e32 v6, 1, v9
	s_mov_b32 s9, -1
	s_delay_alu instid0(VALU_DEP_1)
	v_and_b32_e32 v9, 0x1fff, v6
                                        ; implicit-def: $vgpr6
; %bb.37:                               ;   in Loop: Header=BB32_34 Depth=2
	s_and_not1_saveexec_b32 s10, s10
	s_cbranch_execz .LBB32_43
; %bb.38:                               ;   in Loop: Header=BB32_34 Depth=2
	v_mov_b32_e32 v7, s33
	s_mov_b32 s12, -1
	s_mov_b32 s11, exec_lo
	ds_cmpstore_rtn_b32 v7, v6, v8, v7
	s_waitcnt lgkmcnt(0)
	v_cmpx_eq_u32_e64 s33, v7
	s_cbranch_execz .LBB32_42
; %bb.39:                               ;   in Loop: Header=BB32_34 Depth=2
	v_lshlrev_b32_e32 v7, 2, v9
	s_mov_b32 s12, 0
	s_delay_alu instid0(VALU_DEP_1)
	v_add_nc_u32_e32 v10, v6, v7
	ds_load_b64 v[6:7], v10 offset:32768
.LBB32_40:                              ;   Parent Loop BB32_32 Depth=1
                                        ;     Parent Loop BB32_34 Depth=2
                                        ; =>    This Inner Loop Header: Depth=3
	s_waitcnt lgkmcnt(0)
	v_add_f64 v[11:12], v[6:7], v[4:5]
	ds_cmpstore_rtn_b64 v[11:12], v10, v[11:12], v[6:7] offset:32768
	s_waitcnt lgkmcnt(0)
	v_cmp_eq_u64_e32 vcc_lo, v[11:12], v[6:7]
	v_dual_mov_b32 v6, v11 :: v_dual_mov_b32 v7, v12
	s_or_b32 s12, vcc_lo, s12
	s_delay_alu instid0(SALU_CYCLE_1)
	s_and_not1_b32 exec_lo, exec_lo, s12
	s_cbranch_execnz .LBB32_40
; %bb.41:                               ;   in Loop: Header=BB32_34 Depth=2
	s_or_b32 exec_lo, exec_lo, s12
	s_delay_alu instid0(SALU_CYCLE_1)
	s_xor_b32 s12, exec_lo, -1
.LBB32_42:                              ;   in Loop: Header=BB32_34 Depth=2
	s_or_b32 exec_lo, exec_lo, s11
	s_delay_alu instid0(SALU_CYCLE_1) | instskip(SKIP_1) | instid1(SALU_CYCLE_1)
	s_and_not1_b32 s9, s9, exec_lo
	s_and_b32 s11, s12, exec_lo
	s_or_b32 s9, s9, s11
.LBB32_43:                              ;   in Loop: Header=BB32_34 Depth=2
	s_or_b32 exec_lo, exec_lo, s10
	s_delay_alu instid0(SALU_CYCLE_1)
	s_and_b32 s9, s9, exec_lo
                                        ; implicit-def: $vgpr6
.LBB32_44:                              ;   in Loop: Header=BB32_34 Depth=2
	s_and_not1_saveexec_b32 s8, s8
	s_cbranch_execz .LBB32_33
; %bb.45:                               ;   in Loop: Header=BB32_34 Depth=2
	v_lshlrev_b32_e32 v7, 2, v9
	s_mov_b32 s10, 0
	s_delay_alu instid0(VALU_DEP_1)
	v_add_nc_u32_e32 v10, v6, v7
	ds_load_b64 v[6:7], v10 offset:32768
.LBB32_46:                              ;   Parent Loop BB32_32 Depth=1
                                        ;     Parent Loop BB32_34 Depth=2
                                        ; =>    This Inner Loop Header: Depth=3
	s_waitcnt lgkmcnt(0)
	v_add_f64 v[11:12], v[6:7], v[4:5]
	ds_cmpstore_rtn_b64 v[11:12], v10, v[11:12], v[6:7] offset:32768
	s_waitcnt lgkmcnt(0)
	v_cmp_eq_u64_e32 vcc_lo, v[11:12], v[6:7]
	v_dual_mov_b32 v6, v11 :: v_dual_mov_b32 v7, v12
	s_or_b32 s10, vcc_lo, s10
	s_delay_alu instid0(SALU_CYCLE_1)
	s_and_not1_b32 exec_lo, exec_lo, s10
	s_cbranch_execnz .LBB32_46
; %bb.47:                               ;   in Loop: Header=BB32_34 Depth=2
	s_or_b32 exec_lo, exec_lo, s10
	s_delay_alu instid0(SALU_CYCLE_1)
	s_and_not1_b32 s9, s9, exec_lo
	s_branch .LBB32_33
.LBB32_48:
	s_or_b32 exec_lo, exec_lo, s5
.LBB32_49:
	v_mbcnt_lo_u32_b32 v1, -1, 0
	v_lshrrev_b32_e32 v2, 3, v0
	s_add_i32 s68, 0, 0x1807c
	v_cmp_eq_u32_e32 vcc_lo, 0x3ff, v0
	v_cmp_lt_u32_e64 s0, 31, v0
	v_xor_b32_e32 v1, 63, v1
	v_dual_mov_b32 v8, s68 :: v_dual_and_b32 v3, 0x7c, v2
	v_cmp_lt_u32_e64 s1, 63, v0
	v_cmp_lt_u32_e64 s2, 0x5f, v0
	s_delay_alu instid0(VALU_DEP_4) | instskip(NEXT) | instid1(VALU_DEP_4)
	v_lshrrev_b64 v[1:2], v1, -1
	v_add3_u32 v4, 0, 0x18000, v3
	v_cmp_lt_u32_e64 s3, 0x7f, v0
	v_cmp_lt_u32_e64 s4, 0x9f, v0
	;; [unrolled: 1-line block ×28, first 2 shown]
	v_add3_u32 v5, v16, 0, 0x8000
	v_or_b32_e32 v6, 0xfffffc00, v0
	v_mov_b32_e32 v7, 0
	s_mov_b32 s35, 0
	s_add_i32 s39, 0, 0x18000
	s_add_i32 s42, 0, 0x18004
	;; [unrolled: 1-line block ×31, first 2 shown]
	s_waitcnt lgkmcnt(0)
	s_barrier
	buffer_gl0_inv
	s_branch .LBB32_51
.LBB32_50:                              ;   in Loop: Header=BB32_51 Depth=1
	s_or_b32 exec_lo, exec_lo, s31
	s_waitcnt lgkmcnt(0)
	s_barrier
	buffer_gl0_inv
	ds_load_b32 v2, v8
	v_add_nc_u32_e32 v6, 0x400, v6
	v_add_nc_u32_e32 v5, 0x2000, v5
	;; [unrolled: 1-line block ×3, first 2 shown]
	s_delay_alu instid0(VALU_DEP_3) | instskip(NEXT) | instid1(VALU_DEP_1)
	v_cmp_lt_u32_e64 s31, 0x1bff, v6
	s_or_b32 s35, s31, s35
	s_waitcnt lgkmcnt(0)
	v_add_nc_u32_e32 v7, v2, v7
	s_and_not1_b32 exec_lo, exec_lo, s35
	s_cbranch_execz .LBB32_117
.LBB32_51:                              ; =>This Inner Loop Header: Depth=1
	ds_load_b32 v9, v15
	ds_load_b64 v[2:3], v5
	s_waitcnt lgkmcnt(0)
	s_barrier
	buffer_gl0_inv
	v_cmp_gt_i32_e64 s31, s33, v9
	s_delay_alu instid0(VALU_DEP_1) | instskip(NEXT) | instid1(SALU_CYCLE_1)
	s_bcnt1_i32_b32 s73, s31
	v_dual_mov_b32 v11, s73 :: v_dual_and_b32 v10, s31, v1
	s_delay_alu instid0(VALU_DEP_1)
	v_bcnt_u32_b32 v10, v10, 0
	ds_store_b32 v4, v11
	s_waitcnt lgkmcnt(0)
	s_barrier
	buffer_gl0_inv
	s_and_saveexec_b32 s73, s0
	s_cbranch_execnz .LBB32_84
; %bb.52:                               ;   in Loop: Header=BB32_51 Depth=1
	s_or_b32 exec_lo, exec_lo, s73
	s_and_saveexec_b32 s73, s1
	s_cbranch_execnz .LBB32_85
.LBB32_53:                              ;   in Loop: Header=BB32_51 Depth=1
	s_or_b32 exec_lo, exec_lo, s73
	s_and_saveexec_b32 s73, s2
	s_cbranch_execnz .LBB32_86
.LBB32_54:                              ;   in Loop: Header=BB32_51 Depth=1
	s_or_b32 exec_lo, exec_lo, s73
	s_and_saveexec_b32 s73, s3
	s_cbranch_execnz .LBB32_87
.LBB32_55:                              ;   in Loop: Header=BB32_51 Depth=1
	s_or_b32 exec_lo, exec_lo, s73
	s_and_saveexec_b32 s73, s4
	s_cbranch_execnz .LBB32_88
.LBB32_56:                              ;   in Loop: Header=BB32_51 Depth=1
	s_or_b32 exec_lo, exec_lo, s73
	s_and_saveexec_b32 s73, s5
	s_cbranch_execnz .LBB32_89
.LBB32_57:                              ;   in Loop: Header=BB32_51 Depth=1
	s_or_b32 exec_lo, exec_lo, s73
	s_and_saveexec_b32 s73, s6
	s_cbranch_execnz .LBB32_90
.LBB32_58:                              ;   in Loop: Header=BB32_51 Depth=1
	s_or_b32 exec_lo, exec_lo, s73
	s_and_saveexec_b32 s73, s7
	s_cbranch_execnz .LBB32_91
.LBB32_59:                              ;   in Loop: Header=BB32_51 Depth=1
	s_or_b32 exec_lo, exec_lo, s73
	s_and_saveexec_b32 s73, s8
	s_cbranch_execnz .LBB32_92
.LBB32_60:                              ;   in Loop: Header=BB32_51 Depth=1
	s_or_b32 exec_lo, exec_lo, s73
	s_and_saveexec_b32 s73, s9
	s_cbranch_execnz .LBB32_93
.LBB32_61:                              ;   in Loop: Header=BB32_51 Depth=1
	s_or_b32 exec_lo, exec_lo, s73
	s_and_saveexec_b32 s73, s10
	s_cbranch_execnz .LBB32_94
.LBB32_62:                              ;   in Loop: Header=BB32_51 Depth=1
	s_or_b32 exec_lo, exec_lo, s73
	s_and_saveexec_b32 s73, s11
	s_cbranch_execnz .LBB32_95
.LBB32_63:                              ;   in Loop: Header=BB32_51 Depth=1
	s_or_b32 exec_lo, exec_lo, s73
	s_and_saveexec_b32 s73, s12
	s_cbranch_execnz .LBB32_96
.LBB32_64:                              ;   in Loop: Header=BB32_51 Depth=1
	s_or_b32 exec_lo, exec_lo, s73
	s_and_saveexec_b32 s73, s13
	s_cbranch_execnz .LBB32_97
.LBB32_65:                              ;   in Loop: Header=BB32_51 Depth=1
	s_or_b32 exec_lo, exec_lo, s73
	s_and_saveexec_b32 s73, s14
	s_cbranch_execnz .LBB32_98
.LBB32_66:                              ;   in Loop: Header=BB32_51 Depth=1
	s_or_b32 exec_lo, exec_lo, s73
	s_and_saveexec_b32 s73, s15
	s_cbranch_execnz .LBB32_99
.LBB32_67:                              ;   in Loop: Header=BB32_51 Depth=1
	s_or_b32 exec_lo, exec_lo, s73
	s_and_saveexec_b32 s73, s16
	s_cbranch_execnz .LBB32_100
.LBB32_68:                              ;   in Loop: Header=BB32_51 Depth=1
	s_or_b32 exec_lo, exec_lo, s73
	s_and_saveexec_b32 s73, s17
	s_cbranch_execnz .LBB32_101
.LBB32_69:                              ;   in Loop: Header=BB32_51 Depth=1
	s_or_b32 exec_lo, exec_lo, s73
	s_and_saveexec_b32 s73, s18
	s_cbranch_execnz .LBB32_102
.LBB32_70:                              ;   in Loop: Header=BB32_51 Depth=1
	s_or_b32 exec_lo, exec_lo, s73
	s_and_saveexec_b32 s73, s19
	s_cbranch_execnz .LBB32_103
.LBB32_71:                              ;   in Loop: Header=BB32_51 Depth=1
	s_or_b32 exec_lo, exec_lo, s73
	s_and_saveexec_b32 s73, s20
	s_cbranch_execnz .LBB32_104
.LBB32_72:                              ;   in Loop: Header=BB32_51 Depth=1
	s_or_b32 exec_lo, exec_lo, s73
	s_and_saveexec_b32 s73, s21
	s_cbranch_execnz .LBB32_105
.LBB32_73:                              ;   in Loop: Header=BB32_51 Depth=1
	s_or_b32 exec_lo, exec_lo, s73
	s_and_saveexec_b32 s73, s22
	s_cbranch_execnz .LBB32_106
.LBB32_74:                              ;   in Loop: Header=BB32_51 Depth=1
	s_or_b32 exec_lo, exec_lo, s73
	s_and_saveexec_b32 s73, s23
	s_cbranch_execnz .LBB32_107
.LBB32_75:                              ;   in Loop: Header=BB32_51 Depth=1
	s_or_b32 exec_lo, exec_lo, s73
	s_and_saveexec_b32 s73, s24
	s_cbranch_execnz .LBB32_108
.LBB32_76:                              ;   in Loop: Header=BB32_51 Depth=1
	s_or_b32 exec_lo, exec_lo, s73
	s_and_saveexec_b32 s73, s25
	s_cbranch_execnz .LBB32_109
.LBB32_77:                              ;   in Loop: Header=BB32_51 Depth=1
	s_or_b32 exec_lo, exec_lo, s73
	s_and_saveexec_b32 s73, s26
	s_cbranch_execnz .LBB32_110
.LBB32_78:                              ;   in Loop: Header=BB32_51 Depth=1
	s_or_b32 exec_lo, exec_lo, s73
	s_and_saveexec_b32 s73, s27
	s_cbranch_execnz .LBB32_111
.LBB32_79:                              ;   in Loop: Header=BB32_51 Depth=1
	s_or_b32 exec_lo, exec_lo, s73
	s_and_saveexec_b32 s73, s28
	s_cbranch_execnz .LBB32_112
.LBB32_80:                              ;   in Loop: Header=BB32_51 Depth=1
	s_or_b32 exec_lo, exec_lo, s73
	s_and_saveexec_b32 s73, s29
	s_cbranch_execnz .LBB32_113
.LBB32_81:                              ;   in Loop: Header=BB32_51 Depth=1
	s_or_b32 exec_lo, exec_lo, s73
	s_and_saveexec_b32 s73, s30
	s_cbranch_execnz .LBB32_114
.LBB32_82:                              ;   in Loop: Header=BB32_51 Depth=1
	s_or_b32 exec_lo, exec_lo, s73
	s_and_saveexec_b32 s73, s31
	s_cbranch_execnz .LBB32_115
.LBB32_83:                              ;   in Loop: Header=BB32_51 Depth=1
	s_or_b32 exec_lo, exec_lo, s73
	s_and_saveexec_b32 s31, vcc_lo
	s_cbranch_execz .LBB32_50
	s_branch .LBB32_116
.LBB32_84:                              ;   in Loop: Header=BB32_51 Depth=1
	v_mov_b32_e32 v11, s39
	ds_load_b32 v11, v11
	s_waitcnt lgkmcnt(0)
	v_add_nc_u32_e32 v10, v11, v10
	s_or_b32 exec_lo, exec_lo, s73
	s_and_saveexec_b32 s73, s1
	s_cbranch_execz .LBB32_53
.LBB32_85:                              ;   in Loop: Header=BB32_51 Depth=1
	v_mov_b32_e32 v11, s42
	ds_load_b32 v11, v11
	s_waitcnt lgkmcnt(0)
	v_add_nc_u32_e32 v10, v11, v10
	s_or_b32 exec_lo, exec_lo, s73
	s_and_saveexec_b32 s73, s2
	s_cbranch_execz .LBB32_54
.LBB32_86:                              ;   in Loop: Header=BB32_51 Depth=1
	v_mov_b32_e32 v11, s43
	ds_load_b32 v11, v11
	s_waitcnt lgkmcnt(0)
	v_add_nc_u32_e32 v10, v11, v10
	s_or_b32 exec_lo, exec_lo, s73
	s_and_saveexec_b32 s73, s3
	s_cbranch_execz .LBB32_55
.LBB32_87:                              ;   in Loop: Header=BB32_51 Depth=1
	v_mov_b32_e32 v11, s44
	ds_load_b32 v11, v11
	s_waitcnt lgkmcnt(0)
	v_add_nc_u32_e32 v10, v11, v10
	s_or_b32 exec_lo, exec_lo, s73
	s_and_saveexec_b32 s73, s4
	s_cbranch_execz .LBB32_56
.LBB32_88:                              ;   in Loop: Header=BB32_51 Depth=1
	v_mov_b32_e32 v11, s45
	ds_load_b32 v11, v11
	s_waitcnt lgkmcnt(0)
	v_add_nc_u32_e32 v10, v11, v10
	s_or_b32 exec_lo, exec_lo, s73
	s_and_saveexec_b32 s73, s5
	s_cbranch_execz .LBB32_57
.LBB32_89:                              ;   in Loop: Header=BB32_51 Depth=1
	v_mov_b32_e32 v11, s46
	ds_load_b32 v11, v11
	s_waitcnt lgkmcnt(0)
	v_add_nc_u32_e32 v10, v11, v10
	s_or_b32 exec_lo, exec_lo, s73
	s_and_saveexec_b32 s73, s6
	s_cbranch_execz .LBB32_58
.LBB32_90:                              ;   in Loop: Header=BB32_51 Depth=1
	v_mov_b32_e32 v11, s47
	ds_load_b32 v11, v11
	s_waitcnt lgkmcnt(0)
	v_add_nc_u32_e32 v10, v11, v10
	s_or_b32 exec_lo, exec_lo, s73
	s_and_saveexec_b32 s73, s7
	s_cbranch_execz .LBB32_59
.LBB32_91:                              ;   in Loop: Header=BB32_51 Depth=1
	v_mov_b32_e32 v11, s48
	ds_load_b32 v11, v11
	s_waitcnt lgkmcnt(0)
	v_add_nc_u32_e32 v10, v11, v10
	s_or_b32 exec_lo, exec_lo, s73
	s_and_saveexec_b32 s73, s8
	s_cbranch_execz .LBB32_60
.LBB32_92:                              ;   in Loop: Header=BB32_51 Depth=1
	v_mov_b32_e32 v11, s49
	ds_load_b32 v11, v11
	s_waitcnt lgkmcnt(0)
	v_add_nc_u32_e32 v10, v11, v10
	s_or_b32 exec_lo, exec_lo, s73
	s_and_saveexec_b32 s73, s9
	s_cbranch_execz .LBB32_61
.LBB32_93:                              ;   in Loop: Header=BB32_51 Depth=1
	v_mov_b32_e32 v11, s50
	ds_load_b32 v11, v11
	s_waitcnt lgkmcnt(0)
	v_add_nc_u32_e32 v10, v11, v10
	s_or_b32 exec_lo, exec_lo, s73
	s_and_saveexec_b32 s73, s10
	s_cbranch_execz .LBB32_62
.LBB32_94:                              ;   in Loop: Header=BB32_51 Depth=1
	v_mov_b32_e32 v11, s51
	ds_load_b32 v11, v11
	s_waitcnt lgkmcnt(0)
	v_add_nc_u32_e32 v10, v11, v10
	s_or_b32 exec_lo, exec_lo, s73
	s_and_saveexec_b32 s73, s11
	s_cbranch_execz .LBB32_63
.LBB32_95:                              ;   in Loop: Header=BB32_51 Depth=1
	v_mov_b32_e32 v11, s52
	ds_load_b32 v11, v11
	s_waitcnt lgkmcnt(0)
	v_add_nc_u32_e32 v10, v11, v10
	s_or_b32 exec_lo, exec_lo, s73
	s_and_saveexec_b32 s73, s12
	s_cbranch_execz .LBB32_64
.LBB32_96:                              ;   in Loop: Header=BB32_51 Depth=1
	v_mov_b32_e32 v11, s53
	ds_load_b32 v11, v11
	s_waitcnt lgkmcnt(0)
	v_add_nc_u32_e32 v10, v11, v10
	s_or_b32 exec_lo, exec_lo, s73
	s_and_saveexec_b32 s73, s13
	s_cbranch_execz .LBB32_65
.LBB32_97:                              ;   in Loop: Header=BB32_51 Depth=1
	v_mov_b32_e32 v11, s54
	ds_load_b32 v11, v11
	s_waitcnt lgkmcnt(0)
	v_add_nc_u32_e32 v10, v11, v10
	s_or_b32 exec_lo, exec_lo, s73
	s_and_saveexec_b32 s73, s14
	s_cbranch_execz .LBB32_66
.LBB32_98:                              ;   in Loop: Header=BB32_51 Depth=1
	v_mov_b32_e32 v11, s55
	ds_load_b32 v11, v11
	s_waitcnt lgkmcnt(0)
	v_add_nc_u32_e32 v10, v11, v10
	s_or_b32 exec_lo, exec_lo, s73
	s_and_saveexec_b32 s73, s15
	s_cbranch_execz .LBB32_67
.LBB32_99:                              ;   in Loop: Header=BB32_51 Depth=1
	v_mov_b32_e32 v11, s56
	ds_load_b32 v11, v11
	s_waitcnt lgkmcnt(0)
	v_add_nc_u32_e32 v10, v11, v10
	s_or_b32 exec_lo, exec_lo, s73
	s_and_saveexec_b32 s73, s16
	s_cbranch_execz .LBB32_68
.LBB32_100:                             ;   in Loop: Header=BB32_51 Depth=1
	v_mov_b32_e32 v11, s57
	ds_load_b32 v11, v11
	s_waitcnt lgkmcnt(0)
	v_add_nc_u32_e32 v10, v11, v10
	s_or_b32 exec_lo, exec_lo, s73
	s_and_saveexec_b32 s73, s17
	s_cbranch_execz .LBB32_69
.LBB32_101:                             ;   in Loop: Header=BB32_51 Depth=1
	v_mov_b32_e32 v11, s58
	ds_load_b32 v11, v11
	s_waitcnt lgkmcnt(0)
	v_add_nc_u32_e32 v10, v11, v10
	s_or_b32 exec_lo, exec_lo, s73
	s_and_saveexec_b32 s73, s18
	s_cbranch_execz .LBB32_70
.LBB32_102:                             ;   in Loop: Header=BB32_51 Depth=1
	v_mov_b32_e32 v11, s59
	ds_load_b32 v11, v11
	s_waitcnt lgkmcnt(0)
	v_add_nc_u32_e32 v10, v11, v10
	s_or_b32 exec_lo, exec_lo, s73
	s_and_saveexec_b32 s73, s19
	s_cbranch_execz .LBB32_71
.LBB32_103:                             ;   in Loop: Header=BB32_51 Depth=1
	v_mov_b32_e32 v11, s60
	ds_load_b32 v11, v11
	s_waitcnt lgkmcnt(0)
	v_add_nc_u32_e32 v10, v11, v10
	s_or_b32 exec_lo, exec_lo, s73
	s_and_saveexec_b32 s73, s20
	s_cbranch_execz .LBB32_72
.LBB32_104:                             ;   in Loop: Header=BB32_51 Depth=1
	v_mov_b32_e32 v11, s61
	ds_load_b32 v11, v11
	s_waitcnt lgkmcnt(0)
	v_add_nc_u32_e32 v10, v11, v10
	s_or_b32 exec_lo, exec_lo, s73
	s_and_saveexec_b32 s73, s21
	s_cbranch_execz .LBB32_73
.LBB32_105:                             ;   in Loop: Header=BB32_51 Depth=1
	v_mov_b32_e32 v11, s62
	ds_load_b32 v11, v11
	s_waitcnt lgkmcnt(0)
	v_add_nc_u32_e32 v10, v11, v10
	s_or_b32 exec_lo, exec_lo, s73
	s_and_saveexec_b32 s73, s22
	s_cbranch_execz .LBB32_74
.LBB32_106:                             ;   in Loop: Header=BB32_51 Depth=1
	v_mov_b32_e32 v11, s63
	ds_load_b32 v11, v11
	s_waitcnt lgkmcnt(0)
	v_add_nc_u32_e32 v10, v11, v10
	s_or_b32 exec_lo, exec_lo, s73
	s_and_saveexec_b32 s73, s23
	s_cbranch_execz .LBB32_75
.LBB32_107:                             ;   in Loop: Header=BB32_51 Depth=1
	v_mov_b32_e32 v11, s64
	ds_load_b32 v11, v11
	s_waitcnt lgkmcnt(0)
	v_add_nc_u32_e32 v10, v11, v10
	s_or_b32 exec_lo, exec_lo, s73
	s_and_saveexec_b32 s73, s24
	s_cbranch_execz .LBB32_76
.LBB32_108:                             ;   in Loop: Header=BB32_51 Depth=1
	v_mov_b32_e32 v11, s65
	ds_load_b32 v11, v11
	s_waitcnt lgkmcnt(0)
	v_add_nc_u32_e32 v10, v11, v10
	s_or_b32 exec_lo, exec_lo, s73
	s_and_saveexec_b32 s73, s25
	s_cbranch_execz .LBB32_77
.LBB32_109:                             ;   in Loop: Header=BB32_51 Depth=1
	v_mov_b32_e32 v11, s66
	ds_load_b32 v11, v11
	s_waitcnt lgkmcnt(0)
	v_add_nc_u32_e32 v10, v11, v10
	s_or_b32 exec_lo, exec_lo, s73
	s_and_saveexec_b32 s73, s26
	s_cbranch_execz .LBB32_78
.LBB32_110:                             ;   in Loop: Header=BB32_51 Depth=1
	v_mov_b32_e32 v11, s67
	ds_load_b32 v11, v11
	s_waitcnt lgkmcnt(0)
	v_add_nc_u32_e32 v10, v11, v10
	s_or_b32 exec_lo, exec_lo, s73
	s_and_saveexec_b32 s73, s27
	s_cbranch_execz .LBB32_79
.LBB32_111:                             ;   in Loop: Header=BB32_51 Depth=1
	v_mov_b32_e32 v11, s69
	ds_load_b32 v11, v11
	s_waitcnt lgkmcnt(0)
	v_add_nc_u32_e32 v10, v11, v10
	s_or_b32 exec_lo, exec_lo, s73
	s_and_saveexec_b32 s73, s28
	s_cbranch_execz .LBB32_80
.LBB32_112:                             ;   in Loop: Header=BB32_51 Depth=1
	v_mov_b32_e32 v11, s70
	ds_load_b32 v11, v11
	s_waitcnt lgkmcnt(0)
	v_add_nc_u32_e32 v10, v11, v10
	s_or_b32 exec_lo, exec_lo, s73
	s_and_saveexec_b32 s73, s29
	s_cbranch_execz .LBB32_81
.LBB32_113:                             ;   in Loop: Header=BB32_51 Depth=1
	v_mov_b32_e32 v11, s71
	ds_load_b32 v11, v11
	s_waitcnt lgkmcnt(0)
	v_add_nc_u32_e32 v10, v11, v10
	s_or_b32 exec_lo, exec_lo, s73
	s_and_saveexec_b32 s73, s30
	s_cbranch_execz .LBB32_82
.LBB32_114:                             ;   in Loop: Header=BB32_51 Depth=1
	v_mov_b32_e32 v11, s72
	ds_load_b32 v11, v11
	s_waitcnt lgkmcnt(0)
	v_add_nc_u32_e32 v10, v11, v10
	s_or_b32 exec_lo, exec_lo, s73
	s_and_saveexec_b32 s73, s31
	s_cbranch_execz .LBB32_83
.LBB32_115:                             ;   in Loop: Header=BB32_51 Depth=1
	s_delay_alu instid0(VALU_DEP_1) | instskip(NEXT) | instid1(VALU_DEP_1)
	v_add3_u32 v11, v7, -1, v10
	v_lshl_add_u32 v12, v11, 2, 0
	v_lshl_add_u32 v11, v11, 3, 0
	ds_store_b32 v12, v9
	ds_store_b64 v11, v[2:3] offset:32768
	s_or_b32 exec_lo, exec_lo, s73
	s_and_saveexec_b32 s31, vcc_lo
	s_cbranch_execz .LBB32_50
.LBB32_116:                             ;   in Loop: Header=BB32_51 Depth=1
	v_mov_b32_e32 v2, s68
	ds_store_b32 v2, v10
	s_branch .LBB32_50
.LBB32_117:
	s_or_b32 exec_lo, exec_lo, s35
	s_ashr_i32 s35, s34, 31
	s_mov_b32 s3, exec_lo
	s_lshl_b64 s[0:1], s[34:35], 2
	s_delay_alu instid0(SALU_CYCLE_1) | instskip(SKIP_4) | instid1(SALU_CYCLE_1)
	s_add_u32 s0, s40, s0
	s_addc_u32 s1, s41, s1
	s_load_b64 s[0:1], s[0:1], 0x0
	s_waitcnt lgkmcnt(0)
	s_sub_i32 s2, s1, s0
	v_cmpx_gt_i32_e64 s2, v0
	s_cbranch_execz .LBB32_127
; %bb.118:
	s_sub_i32 s3, s0, s38
	s_sub_i32 s0, s0, s1
	s_and_b32 s1, s2, 7
	s_cmp_lt_u32 s0, -7
	s_mov_b32 s7, 0
	s_cselect_b32 s4, -1, 0
	s_and_b32 s5, s2, -8
	s_cmp_lg_u32 s1, 0
	s_cselect_b32 s6, -1, 0
	s_branch .LBB32_120
.LBB32_119:                             ;   in Loop: Header=BB32_120 Depth=1
	s_waitcnt lgkmcnt(1)
	s_delay_alu instid0(VALU_DEP_1) | instskip(SKIP_1) | instid1(VALU_DEP_2)
	v_ashrrev_i32_e32 v4, 31, v3
	v_add_nc_u32_e32 v0, 0x400, v0
	v_lshlrev_b64 v[3:4], 3, v[3:4]
	s_delay_alu instid0(VALU_DEP_2) | instskip(SKIP_1) | instid1(VALU_DEP_2)
	v_cmp_le_i32_e32 vcc_lo, s2, v0
	s_or_b32 s7, vcc_lo, s7
	v_add_co_u32 v3, s0, s36, v3
	s_delay_alu instid0(VALU_DEP_1)
	v_add_co_ci_u32_e64 v4, s0, s37, v4, s0
	s_waitcnt lgkmcnt(0)
	global_store_b64 v[3:4], v[1:2], off
	s_and_not1_b32 exec_lo, exec_lo, s7
	s_cbranch_execz .LBB32_127
.LBB32_120:                             ; =>This Loop Header: Depth=1
                                        ;     Child Loop BB32_122 Depth 2
                                        ;     Child Loop BB32_126 Depth 2
	v_lshlrev_b32_e32 v1, 2, v0
	s_and_not1_b32 vcc_lo, exec_lo, s4
	s_mov_b32 s0, 0
	s_delay_alu instid0(VALU_DEP_1) | instskip(NEXT) | instid1(VALU_DEP_1)
	v_dual_mov_b32 v3, s3 :: v_dual_add_nc_u32 v2, 0, v1
	v_add_nc_u32_e32 v1, v2, v1
	ds_load_b32 v4, v2
	ds_load_b64 v[1:2], v1 offset:32768
	s_cbranch_vccnz .LBB32_124
; %bb.121:                              ;   in Loop: Header=BB32_120 Depth=1
	v_mov_b32_e32 v3, s3
	s_mov_b32 s8, 0
	s_set_inst_prefetch_distance 0x1
	.p2align	6
.LBB32_122:                             ;   Parent Loop BB32_120 Depth=1
                                        ; =>  This Inner Loop Header: Depth=2
	v_mov_b32_e32 v11, s8
	s_add_i32 s0, s0, 8
	s_add_i32 s8, s8, 32
	s_cmp_eq_u32 s5, s0
	ds_load_2addr_b32 v[5:6], v11 offset1:1
	ds_load_2addr_b32 v[7:8], v11 offset0:2 offset1:3
	ds_load_2addr_b32 v[9:10], v11 offset0:4 offset1:5
	;; [unrolled: 1-line block ×3, first 2 shown]
	s_waitcnt lgkmcnt(3)
	v_cmp_gt_i32_e32 vcc_lo, v4, v5
	v_cndmask_b32_e64 v5, 0, 1, vcc_lo
	s_waitcnt lgkmcnt(2)
	v_cmp_gt_i32_e32 vcc_lo, v4, v7
	v_cndmask_b32_e64 v7, 0, 1, vcc_lo
	v_cmp_gt_i32_e32 vcc_lo, v4, v6
	v_add_co_ci_u32_e32 v3, vcc_lo, v3, v5, vcc_lo
	s_waitcnt lgkmcnt(1)
	v_cmp_gt_i32_e32 vcc_lo, v4, v9
	v_cndmask_b32_e64 v5, 0, 1, vcc_lo
	v_cmp_gt_i32_e32 vcc_lo, v4, v8
	v_add_co_ci_u32_e32 v3, vcc_lo, v3, v7, vcc_lo
	;; [unrolled: 5-line block ×3, first 2 shown]
	v_cmp_gt_i32_e32 vcc_lo, v4, v12
	s_delay_alu instid0(VALU_DEP_2)
	v_add_co_ci_u32_e32 v3, vcc_lo, v3, v6, vcc_lo
	s_cbranch_scc0 .LBB32_122
; %bb.123:                              ;   in Loop: Header=BB32_120 Depth=1
	s_set_inst_prefetch_distance 0x2
	s_mov_b32 s0, s5
.LBB32_124:                             ;   in Loop: Header=BB32_120 Depth=1
	s_and_not1_b32 vcc_lo, exec_lo, s6
	s_cbranch_vccnz .LBB32_119
; %bb.125:                              ;   in Loop: Header=BB32_120 Depth=1
	s_lshl_b32 s0, s0, 2
	s_mov_b32 s8, s1
	s_add_i32 s0, s0, 0
.LBB32_126:                             ;   Parent Loop BB32_120 Depth=1
                                        ; =>  This Inner Loop Header: Depth=2
	s_delay_alu instid0(SALU_CYCLE_1)
	v_mov_b32_e32 v5, s0
	s_add_i32 s8, s8, -1
	s_add_i32 s0, s0, 4
	s_cmp_lg_u32 s8, 0
	ds_load_b32 v5, v5
	s_waitcnt lgkmcnt(0)
	v_cmp_gt_i32_e32 vcc_lo, v4, v5
	v_add_co_ci_u32_e32 v3, vcc_lo, 0, v3, vcc_lo
	s_cbranch_scc1 .LBB32_126
	s_branch .LBB32_119
.LBB32_127:
	s_nop 0
	s_sendmsg sendmsg(MSG_DEALLOC_VGPRS)
	s_endpgm
	.section	.rodata,"a",@progbits
	.p2align	6, 0x0
	.amdhsa_kernel _ZN9rocsparseL41csrgemm_numeric_fill_block_per_row_kernelILj1024ELj64ELj8192ELj137ELj32EiidEEvT5_PKS1_S3_NS_24const_host_device_scalarIT6_EEPKT4_S3_PKS5_S9_S3_SB_S6_S9_S3_SB_S9_S3_PS5_21rocsparse_index_base_SD_SD_SD_bbb
		.amdhsa_group_segment_fixed_size 0
		.amdhsa_private_segment_fixed_size 0
		.amdhsa_kernarg_size 156
		.amdhsa_user_sgpr_count 15
		.amdhsa_user_sgpr_dispatch_ptr 0
		.amdhsa_user_sgpr_queue_ptr 0
		.amdhsa_user_sgpr_kernarg_segment_ptr 1
		.amdhsa_user_sgpr_dispatch_id 0
		.amdhsa_user_sgpr_private_segment_size 0
		.amdhsa_wavefront_size32 1
		.amdhsa_uses_dynamic_stack 0
		.amdhsa_enable_private_segment 0
		.amdhsa_system_sgpr_workgroup_id_x 1
		.amdhsa_system_sgpr_workgroup_id_y 0
		.amdhsa_system_sgpr_workgroup_id_z 0
		.amdhsa_system_sgpr_workgroup_info 0
		.amdhsa_system_vgpr_workitem_id 0
		.amdhsa_next_free_vgpr 22
		.amdhsa_next_free_sgpr 74
		.amdhsa_reserve_vcc 1
		.amdhsa_float_round_mode_32 0
		.amdhsa_float_round_mode_16_64 0
		.amdhsa_float_denorm_mode_32 3
		.amdhsa_float_denorm_mode_16_64 3
		.amdhsa_dx10_clamp 1
		.amdhsa_ieee_mode 1
		.amdhsa_fp16_overflow 0
		.amdhsa_workgroup_processor_mode 1
		.amdhsa_memory_ordered 1
		.amdhsa_forward_progress 0
		.amdhsa_shared_vgpr_count 0
		.amdhsa_exception_fp_ieee_invalid_op 0
		.amdhsa_exception_fp_denorm_src 0
		.amdhsa_exception_fp_ieee_div_zero 0
		.amdhsa_exception_fp_ieee_overflow 0
		.amdhsa_exception_fp_ieee_underflow 0
		.amdhsa_exception_fp_ieee_inexact 0
		.amdhsa_exception_int_div_zero 0
	.end_amdhsa_kernel
	.section	.text._ZN9rocsparseL41csrgemm_numeric_fill_block_per_row_kernelILj1024ELj64ELj8192ELj137ELj32EiidEEvT5_PKS1_S3_NS_24const_host_device_scalarIT6_EEPKT4_S3_PKS5_S9_S3_SB_S6_S9_S3_SB_S9_S3_PS5_21rocsparse_index_base_SD_SD_SD_bbb,"axG",@progbits,_ZN9rocsparseL41csrgemm_numeric_fill_block_per_row_kernelILj1024ELj64ELj8192ELj137ELj32EiidEEvT5_PKS1_S3_NS_24const_host_device_scalarIT6_EEPKT4_S3_PKS5_S9_S3_SB_S6_S9_S3_SB_S9_S3_PS5_21rocsparse_index_base_SD_SD_SD_bbb,comdat
.Lfunc_end32:
	.size	_ZN9rocsparseL41csrgemm_numeric_fill_block_per_row_kernelILj1024ELj64ELj8192ELj137ELj32EiidEEvT5_PKS1_S3_NS_24const_host_device_scalarIT6_EEPKT4_S3_PKS5_S9_S3_SB_S6_S9_S3_SB_S9_S3_PS5_21rocsparse_index_base_SD_SD_SD_bbb, .Lfunc_end32-_ZN9rocsparseL41csrgemm_numeric_fill_block_per_row_kernelILj1024ELj64ELj8192ELj137ELj32EiidEEvT5_PKS1_S3_NS_24const_host_device_scalarIT6_EEPKT4_S3_PKS5_S9_S3_SB_S6_S9_S3_SB_S9_S3_PS5_21rocsparse_index_base_SD_SD_SD_bbb
                                        ; -- End function
	.section	.AMDGPU.csdata,"",@progbits
; Kernel info:
; codeLenInByte = 4788
; NumSgprs: 76
; NumVgprs: 22
; ScratchSize: 0
; MemoryBound: 0
; FloatMode: 240
; IeeeMode: 1
; LDSByteSize: 0 bytes/workgroup (compile time only)
; SGPRBlocks: 9
; VGPRBlocks: 2
; NumSGPRsForWavesPerEU: 76
; NumVGPRsForWavesPerEU: 22
; Occupancy: 16
; WaveLimiterHint : 1
; COMPUTE_PGM_RSRC2:SCRATCH_EN: 0
; COMPUTE_PGM_RSRC2:USER_SGPR: 15
; COMPUTE_PGM_RSRC2:TRAP_HANDLER: 0
; COMPUTE_PGM_RSRC2:TGID_X_EN: 1
; COMPUTE_PGM_RSRC2:TGID_Y_EN: 0
; COMPUTE_PGM_RSRC2:TGID_Z_EN: 0
; COMPUTE_PGM_RSRC2:TIDIG_COMP_CNT: 0
	.section	.text._ZN9rocsparseL41csrgemm_numeric_fill_block_per_row_kernelILj1024ELj64ELj8192ELj137ELj64EiidEEvT5_PKS1_S3_NS_24const_host_device_scalarIT6_EEPKT4_S3_PKS5_S9_S3_SB_S6_S9_S3_SB_S9_S3_PS5_21rocsparse_index_base_SD_SD_SD_bbb,"axG",@progbits,_ZN9rocsparseL41csrgemm_numeric_fill_block_per_row_kernelILj1024ELj64ELj8192ELj137ELj64EiidEEvT5_PKS1_S3_NS_24const_host_device_scalarIT6_EEPKT4_S3_PKS5_S9_S3_SB_S6_S9_S3_SB_S9_S3_PS5_21rocsparse_index_base_SD_SD_SD_bbb,comdat
	.globl	_ZN9rocsparseL41csrgemm_numeric_fill_block_per_row_kernelILj1024ELj64ELj8192ELj137ELj64EiidEEvT5_PKS1_S3_NS_24const_host_device_scalarIT6_EEPKT4_S3_PKS5_S9_S3_SB_S6_S9_S3_SB_S9_S3_PS5_21rocsparse_index_base_SD_SD_SD_bbb ; -- Begin function _ZN9rocsparseL41csrgemm_numeric_fill_block_per_row_kernelILj1024ELj64ELj8192ELj137ELj64EiidEEvT5_PKS1_S3_NS_24const_host_device_scalarIT6_EEPKT4_S3_PKS5_S9_S3_SB_S6_S9_S3_SB_S9_S3_PS5_21rocsparse_index_base_SD_SD_SD_bbb
	.p2align	8
	.type	_ZN9rocsparseL41csrgemm_numeric_fill_block_per_row_kernelILj1024ELj64ELj8192ELj137ELj64EiidEEvT5_PKS1_S3_NS_24const_host_device_scalarIT6_EEPKT4_S3_PKS5_S9_S3_SB_S6_S9_S3_SB_S9_S3_PS5_21rocsparse_index_base_SD_SD_SD_bbb,@function
_ZN9rocsparseL41csrgemm_numeric_fill_block_per_row_kernelILj1024ELj64ELj8192ELj137ELj64EiidEEvT5_PKS1_S3_NS_24const_host_device_scalarIT6_EEPKT4_S3_PKS5_S9_S3_SB_S6_S9_S3_SB_S9_S3_PS5_21rocsparse_index_base_SD_SD_SD_bbb: ; @_ZN9rocsparseL41csrgemm_numeric_fill_block_per_row_kernelILj1024ELj64ELj8192ELj137ELj64EiidEEvT5_PKS1_S3_NS_24const_host_device_scalarIT6_EEPKT4_S3_PKS5_S9_S3_SB_S6_S9_S3_SB_S9_S3_PS5_21rocsparse_index_base_SD_SD_SD_bbb
; %bb.0:
	s_clause 0x4
	s_load_b32 s11, s[0:1], 0x98
	s_load_b64 s[8:9], s[0:1], 0x18
	s_load_b128 s[4:7], s[0:1], 0x8
	s_load_b128 s[16:19], s[0:1], 0x88
	s_load_b64 s[2:3], s[0:1], 0x50
	s_waitcnt lgkmcnt(0)
	s_and_b32 s10, 1, s11
	s_bitcmp1_b32 s11, 16
	s_cselect_b32 s13, -1, 0
	s_cmp_eq_u32 s10, 1
	s_cselect_b32 s10, -1, 0
	s_delay_alu instid0(SALU_CYCLE_1)
	s_and_b32 s12, s10, exec_lo
	s_cselect_b32 s21, s9, 0
	s_cselect_b32 s20, s8, 0
	s_xor_b32 s12, s10, -1
	v_dual_mov_b32 v3, s20 :: v_dual_mov_b32 v4, s21
	s_or_b32 s12, s12, s13
	s_delay_alu instid0(SALU_CYCLE_1)
	s_and_b32 vcc_lo, exec_lo, s12
	s_cbranch_vccnz .LBB33_2
; %bb.1:
	v_dual_mov_b32 v1, s8 :: v_dual_mov_b32 v2, s9
	flat_load_b64 v[3:4], v[1:2]
.LBB33_2:
	s_bitcmp1_b32 s11, 8
	s_cselect_b32 s12, -1, 0
	s_delay_alu instid0(SALU_CYCLE_1)
	s_and_b32 s8, s12, exec_lo
	s_cselect_b32 s9, s3, 0
	s_cselect_b32 s8, s2, 0
	s_xor_b32 s11, s12, -1
	v_dual_mov_b32 v1, s8 :: v_dual_mov_b32 v2, s9
	s_or_b32 s11, s11, s13
	s_delay_alu instid0(SALU_CYCLE_1)
	s_and_b32 vcc_lo, exec_lo, s11
	s_cbranch_vccnz .LBB33_4
; %bb.3:
	v_dual_mov_b32 v1, s2 :: v_dual_mov_b32 v2, s3
	flat_load_b64 v[1:2], v[1:2]
.LBB33_4:
	s_load_b32 s24, s[0:1], 0x0
	s_mov_b32 s2, 0
	s_delay_alu instid0(SALU_CYCLE_1) | instskip(NEXT) | instid1(SALU_CYCLE_1)
	s_mov_b32 s3, s2
	v_dual_mov_b32 v6, s3 :: v_dual_lshlrev_b32 v7, 2, v0
	v_dual_mov_b32 v5, s2 :: v_dual_lshlrev_b32 v16, 3, v0
	s_delay_alu instid0(VALU_DEP_2) | instskip(NEXT) | instid1(VALU_DEP_2)
	v_add_nc_u32_e32 v15, 0, v7
	v_add3_u32 v8, 0, 0x8000, v16
	ds_store_2addr_stride64_b64 v8, v[5:6], v[5:6] offset0:16 offset1:32
	ds_store_2addr_stride64_b64 v8, v[5:6], v[5:6] offset0:48 offset1:64
	;; [unrolled: 1-line block ×3, first 2 shown]
	s_waitcnt lgkmcnt(0)
	v_dual_mov_b32 v10, s24 :: v_dual_add_nc_u32 v7, v15, v7
	v_dual_mov_b32 v12, s24 :: v_dual_mov_b32 v9, s24
	v_dual_mov_b32 v14, s24 :: v_dual_mov_b32 v11, s24
	;; [unrolled: 1-line block ×3, first 2 shown]
	v_mov_b32_e32 v17, s24
	ds_store_b64 v7, v[5:6] offset:32768
	ds_store_b64 v8, v[5:6] offset:57344
	ds_store_2addr_stride64_b32 v15, v9, v10 offset1:16
	ds_store_2addr_stride64_b32 v15, v11, v12 offset0:32 offset1:48
	ds_store_2addr_stride64_b32 v15, v13, v14 offset0:64 offset1:80
	;; [unrolled: 1-line block ×3, first 2 shown]
	s_waitcnt vmcnt(0) lgkmcnt(0)
	s_barrier
	buffer_gl0_inv
	s_load_b32 s3, s[4:5], 0x0
	s_mov_b32 s5, s2
	v_lshrrev_b32_e32 v17, 6, v0
	s_waitcnt lgkmcnt(0)
	s_add_i32 s4, s3, s15
	s_delay_alu instid0(SALU_CYCLE_1) | instskip(NEXT) | instid1(SALU_CYCLE_1)
	s_lshl_b64 s[2:3], s[4:5], 2
	s_add_u32 s2, s6, s2
	s_addc_u32 s3, s7, s3
	s_and_not1_b32 vcc_lo, exec_lo, s10
	s_load_b32 s20, s[2:3], 0x0
	s_cbranch_vccnz .LBB33_28
; %bb.5:
	s_load_b64 s[2:3], s[0:1], 0x20
	s_waitcnt lgkmcnt(0)
	s_ashr_i32 s21, s20, 31
	v_subrev_nc_u32_e32 v5, s16, v17
	s_lshl_b64 s[4:5], s[20:21], 2
	s_mov_b32 s14, exec_lo
	s_add_u32 s2, s2, s4
	s_addc_u32 s3, s3, s5
	s_load_b64 s[2:3], s[2:3], 0x0
	s_waitcnt lgkmcnt(0)
	v_add_nc_u32_e32 v5, s2, v5
	s_sub_i32 s13, s3, s16
	s_delay_alu instid0(VALU_DEP_1) | instid1(SALU_CYCLE_1)
	v_cmpx_gt_i32_e64 s13, v5
	s_cbranch_execz .LBB33_27
; %bb.6:
	s_clause 0x1
	s_load_b64 s[2:3], s[0:1], 0x48
	s_load_b256 s[4:11], s[0:1], 0x28
	v_and_b32_e32 v6, 63, v0
	s_mov_b32 s15, 0
	s_delay_alu instid0(VALU_DEP_1)
	v_subrev_nc_u32_e32 v18, s17, v6
	s_branch .LBB33_8
.LBB33_7:                               ;   in Loop: Header=BB33_8 Depth=1
	s_or_b32 exec_lo, exec_lo, s21
	v_add_nc_u32_e32 v5, 16, v5
	s_delay_alu instid0(VALU_DEP_1) | instskip(SKIP_1) | instid1(SALU_CYCLE_1)
	v_cmp_le_i32_e32 vcc_lo, s13, v5
	s_or_b32 s15, vcc_lo, s15
	s_and_not1_b32 exec_lo, exec_lo, s15
	s_cbranch_execz .LBB33_27
.LBB33_8:                               ; =>This Loop Header: Depth=1
                                        ;     Child Loop BB33_11 Depth 2
                                        ;       Child Loop BB33_13 Depth 3
                                        ;         Child Loop BB33_19 Depth 4
                                        ;         Child Loop BB33_25 Depth 4
	v_ashrrev_i32_e32 v6, 31, v5
	s_mov_b32 s21, exec_lo
	s_delay_alu instid0(VALU_DEP_1) | instskip(SKIP_1) | instid1(VALU_DEP_1)
	v_lshlrev_b64 v[7:8], 2, v[5:6]
	s_waitcnt lgkmcnt(0)
	v_add_co_u32 v7, vcc_lo, s4, v7
	s_delay_alu instid0(VALU_DEP_2) | instskip(SKIP_3) | instid1(VALU_DEP_1)
	v_add_co_ci_u32_e32 v8, vcc_lo, s5, v8, vcc_lo
	global_load_b32 v7, v[7:8], off
	s_waitcnt vmcnt(0)
	v_subrev_nc_u32_e32 v7, s16, v7
	v_ashrrev_i32_e32 v8, 31, v7
	s_delay_alu instid0(VALU_DEP_1) | instskip(NEXT) | instid1(VALU_DEP_1)
	v_lshlrev_b64 v[7:8], 2, v[7:8]
	v_add_co_u32 v7, vcc_lo, s8, v7
	s_delay_alu instid0(VALU_DEP_2) | instskip(SKIP_4) | instid1(VALU_DEP_1)
	v_add_co_ci_u32_e32 v8, vcc_lo, s9, v8, vcc_lo
	global_load_b64 v[7:8], v[7:8], off
	s_waitcnt vmcnt(0)
	v_subrev_nc_u32_e32 v19, s17, v8
	v_add_nc_u32_e32 v7, v7, v18
	v_cmpx_lt_i32_e64 v7, v19
	s_cbranch_execz .LBB33_7
; %bb.9:                                ;   in Loop: Header=BB33_8 Depth=1
	v_lshlrev_b64 v[8:9], 3, v[5:6]
	s_mov_b32 s22, 0
	s_delay_alu instid0(VALU_DEP_1) | instskip(NEXT) | instid1(VALU_DEP_2)
	v_add_co_u32 v8, vcc_lo, s6, v8
	v_add_co_ci_u32_e32 v9, vcc_lo, s7, v9, vcc_lo
	global_load_b64 v[8:9], v[8:9], off
	s_waitcnt vmcnt(0)
	v_mul_f64 v[9:10], v[3:4], v[8:9]
	s_branch .LBB33_11
.LBB33_10:                              ;   in Loop: Header=BB33_11 Depth=2
	s_or_b32 exec_lo, exec_lo, s23
	v_add_nc_u32_e32 v7, 64, v7
	s_delay_alu instid0(VALU_DEP_1) | instskip(SKIP_1) | instid1(SALU_CYCLE_1)
	v_cmp_ge_i32_e32 vcc_lo, v7, v19
	s_or_b32 s22, vcc_lo, s22
	s_and_not1_b32 exec_lo, exec_lo, s22
	s_cbranch_execz .LBB33_7
.LBB33_11:                              ;   Parent Loop BB33_8 Depth=1
                                        ; =>  This Loop Header: Depth=2
                                        ;       Child Loop BB33_13 Depth 3
                                        ;         Child Loop BB33_19 Depth 4
                                        ;         Child Loop BB33_25 Depth 4
	v_ashrrev_i32_e32 v8, 31, v7
	s_mov_b32 s23, 0
	s_delay_alu instid0(VALU_DEP_1) | instskip(SKIP_1) | instid1(VALU_DEP_2)
	v_lshlrev_b64 v[11:12], 3, v[7:8]
	v_lshlrev_b64 v[13:14], 2, v[7:8]
	v_add_co_u32 v11, vcc_lo, s2, v11
	s_delay_alu instid0(VALU_DEP_3) | instskip(NEXT) | instid1(VALU_DEP_3)
	v_add_co_ci_u32_e32 v12, vcc_lo, s3, v12, vcc_lo
	v_add_co_u32 v13, vcc_lo, s10, v13
	s_delay_alu instid0(VALU_DEP_4)
	v_add_co_ci_u32_e32 v14, vcc_lo, s11, v14, vcc_lo
	global_load_b64 v[11:12], v[11:12], off
	global_load_b32 v6, v[13:14], off
	s_waitcnt vmcnt(1)
	v_mul_f64 v[11:12], v[9:10], v[11:12]
	s_waitcnt vmcnt(0)
	v_subrev_nc_u32_e32 v6, s17, v6
	s_delay_alu instid0(VALU_DEP_1) | instskip(NEXT) | instid1(VALU_DEP_1)
	v_mul_lo_u32 v8, 0x89, v6
	v_and_b32_e32 v8, 0x1fff, v8
	s_branch .LBB33_13
.LBB33_12:                              ;   in Loop: Header=BB33_13 Depth=3
	s_or_b32 exec_lo, exec_lo, s25
	s_xor_b32 s25, s26, -1
	s_delay_alu instid0(SALU_CYCLE_1) | instskip(NEXT) | instid1(SALU_CYCLE_1)
	s_and_b32 s25, exec_lo, s25
	s_or_b32 s23, s25, s23
	s_delay_alu instid0(SALU_CYCLE_1)
	s_and_not1_b32 exec_lo, exec_lo, s23
	s_cbranch_execz .LBB33_10
.LBB33_13:                              ;   Parent Loop BB33_8 Depth=1
                                        ;     Parent Loop BB33_11 Depth=2
                                        ; =>    This Loop Header: Depth=3
                                        ;         Child Loop BB33_19 Depth 4
                                        ;         Child Loop BB33_25 Depth 4
	s_delay_alu instid0(VALU_DEP_1)
	v_lshl_add_u32 v13, v8, 2, 0
	s_mov_b32 s25, exec_lo
                                        ; implicit-def: $sgpr26
	ds_load_b32 v14, v13
	s_waitcnt lgkmcnt(0)
	v_cmpx_ne_u32_e64 v14, v6
	s_xor_b32 s25, exec_lo, s25
	s_cbranch_execz .LBB33_23
; %bb.14:                               ;   in Loop: Header=BB33_13 Depth=3
	s_mov_b32 s27, exec_lo
                                        ; implicit-def: $sgpr26
	v_cmpx_ne_u32_e64 s24, v14
	s_xor_b32 s27, exec_lo, s27
; %bb.15:                               ;   in Loop: Header=BB33_13 Depth=3
	v_add_nc_u32_e32 v8, 1, v8
	s_mov_b32 s26, -1
                                        ; implicit-def: $vgpr13
	s_delay_alu instid0(VALU_DEP_1)
	v_and_b32_e32 v8, 0x1fff, v8
; %bb.16:                               ;   in Loop: Header=BB33_13 Depth=3
	s_and_not1_saveexec_b32 s27, s27
	s_cbranch_execz .LBB33_22
; %bb.17:                               ;   in Loop: Header=BB33_13 Depth=3
	v_mov_b32_e32 v14, s24
	s_mov_b32 s29, -1
	s_mov_b32 s28, exec_lo
	ds_cmpstore_rtn_b32 v14, v13, v6, v14
	s_waitcnt lgkmcnt(0)
	v_cmpx_eq_u32_e64 s24, v14
	s_cbranch_execz .LBB33_21
; %bb.18:                               ;   in Loop: Header=BB33_13 Depth=3
	v_lshlrev_b32_e32 v14, 2, v8
	s_mov_b32 s29, 0
	s_delay_alu instid0(VALU_DEP_1)
	v_add_nc_u32_e32 v20, v13, v14
	ds_load_b64 v[13:14], v20 offset:32768
.LBB33_19:                              ;   Parent Loop BB33_8 Depth=1
                                        ;     Parent Loop BB33_11 Depth=2
                                        ;       Parent Loop BB33_13 Depth=3
                                        ; =>      This Inner Loop Header: Depth=4
	s_waitcnt lgkmcnt(0)
	v_add_f64 v[21:22], v[13:14], v[11:12]
	ds_cmpstore_rtn_b64 v[21:22], v20, v[21:22], v[13:14] offset:32768
	s_waitcnt lgkmcnt(0)
	v_cmp_eq_u64_e32 vcc_lo, v[21:22], v[13:14]
	v_dual_mov_b32 v13, v21 :: v_dual_mov_b32 v14, v22
	s_or_b32 s29, vcc_lo, s29
	s_delay_alu instid0(SALU_CYCLE_1)
	s_and_not1_b32 exec_lo, exec_lo, s29
	s_cbranch_execnz .LBB33_19
; %bb.20:                               ;   in Loop: Header=BB33_13 Depth=3
	s_or_b32 exec_lo, exec_lo, s29
	s_delay_alu instid0(SALU_CYCLE_1)
	s_xor_b32 s29, exec_lo, -1
.LBB33_21:                              ;   in Loop: Header=BB33_13 Depth=3
	s_or_b32 exec_lo, exec_lo, s28
	s_delay_alu instid0(SALU_CYCLE_1) | instskip(SKIP_1) | instid1(SALU_CYCLE_1)
	s_and_not1_b32 s26, s26, exec_lo
	s_and_b32 s28, s29, exec_lo
	s_or_b32 s26, s26, s28
.LBB33_22:                              ;   in Loop: Header=BB33_13 Depth=3
	s_or_b32 exec_lo, exec_lo, s27
	s_delay_alu instid0(SALU_CYCLE_1)
	s_and_b32 s26, s26, exec_lo
                                        ; implicit-def: $vgpr13
.LBB33_23:                              ;   in Loop: Header=BB33_13 Depth=3
	s_and_not1_saveexec_b32 s25, s25
	s_cbranch_execz .LBB33_12
; %bb.24:                               ;   in Loop: Header=BB33_13 Depth=3
	v_lshlrev_b32_e32 v14, 2, v8
	s_mov_b32 s27, 0
	s_delay_alu instid0(VALU_DEP_1)
	v_add_nc_u32_e32 v20, v13, v14
	ds_load_b64 v[13:14], v20 offset:32768
.LBB33_25:                              ;   Parent Loop BB33_8 Depth=1
                                        ;     Parent Loop BB33_11 Depth=2
                                        ;       Parent Loop BB33_13 Depth=3
                                        ; =>      This Inner Loop Header: Depth=4
	s_waitcnt lgkmcnt(0)
	v_add_f64 v[21:22], v[13:14], v[11:12]
	ds_cmpstore_rtn_b64 v[21:22], v20, v[21:22], v[13:14] offset:32768
	s_waitcnt lgkmcnt(0)
	v_cmp_eq_u64_e32 vcc_lo, v[21:22], v[13:14]
	v_dual_mov_b32 v13, v21 :: v_dual_mov_b32 v14, v22
	s_or_b32 s27, vcc_lo, s27
	s_delay_alu instid0(SALU_CYCLE_1)
	s_and_not1_b32 exec_lo, exec_lo, s27
	s_cbranch_execnz .LBB33_25
; %bb.26:                               ;   in Loop: Header=BB33_13 Depth=3
	s_or_b32 exec_lo, exec_lo, s27
	s_delay_alu instid0(SALU_CYCLE_1)
	s_and_not1_b32 s26, s26, exec_lo
	s_branch .LBB33_12
.LBB33_27:
	s_or_b32 exec_lo, exec_lo, s14
.LBB33_28:
	s_clause 0x1
	s_load_b64 s[16:17], s[0:1], 0x80
	s_load_b64 s[22:23], s[0:1], 0x70
	s_and_not1_b32 vcc_lo, exec_lo, s12
	s_cbranch_vccnz .LBB33_49
; %bb.29:
	s_load_b64 s[2:3], s[0:1], 0x58
	s_waitcnt lgkmcnt(0)
	s_ashr_i32 s21, s20, 31
	v_subrev_nc_u32_e32 v3, s19, v0
	s_lshl_b64 s[4:5], s[20:21], 2
	s_delay_alu instid0(SALU_CYCLE_1)
	s_add_u32 s2, s2, s4
	s_addc_u32 s3, s3, s5
	s_mov_b32 s5, exec_lo
	s_load_b64 s[2:3], s[2:3], 0x0
	s_waitcnt lgkmcnt(0)
	v_add_nc_u32_e32 v3, s2, v3
	s_sub_i32 s4, s3, s19
	s_delay_alu instid0(VALU_DEP_1) | instid1(SALU_CYCLE_1)
	v_cmpx_gt_i32_e64 s4, v3
	s_cbranch_execz .LBB33_48
; %bb.30:
	s_load_b128 s[0:3], s[0:1], 0x60
	s_mov_b32 s6, 0
	s_branch .LBB33_32
.LBB33_31:                              ;   in Loop: Header=BB33_32 Depth=1
	s_or_b32 exec_lo, exec_lo, s7
	v_add_nc_u32_e32 v3, 0x400, v3
	s_delay_alu instid0(VALU_DEP_1) | instskip(SKIP_1) | instid1(SALU_CYCLE_1)
	v_cmp_le_i32_e32 vcc_lo, s4, v3
	s_or_b32 s6, vcc_lo, s6
	s_and_not1_b32 exec_lo, exec_lo, s6
	s_cbranch_execz .LBB33_48
.LBB33_32:                              ; =>This Loop Header: Depth=1
                                        ;     Child Loop BB33_34 Depth 2
                                        ;       Child Loop BB33_40 Depth 3
                                        ;       Child Loop BB33_46 Depth 3
	v_ashrrev_i32_e32 v4, 31, v3
	s_mov_b32 s7, 0
	s_delay_alu instid0(VALU_DEP_1) | instskip(SKIP_2) | instid1(VALU_DEP_2)
	v_lshlrev_b64 v[5:6], 3, v[3:4]
	v_lshlrev_b64 v[7:8], 2, v[3:4]
	s_waitcnt lgkmcnt(0)
	v_add_co_u32 v5, vcc_lo, s2, v5
	s_delay_alu instid0(VALU_DEP_3) | instskip(NEXT) | instid1(VALU_DEP_3)
	v_add_co_ci_u32_e32 v6, vcc_lo, s3, v6, vcc_lo
	v_add_co_u32 v7, vcc_lo, s0, v7
	s_delay_alu instid0(VALU_DEP_4)
	v_add_co_ci_u32_e32 v8, vcc_lo, s1, v8, vcc_lo
	global_load_b64 v[5:6], v[5:6], off
	global_load_b32 v7, v[7:8], off
	s_waitcnt vmcnt(1)
	v_mul_f64 v[4:5], v[1:2], v[5:6]
	s_waitcnt vmcnt(0)
	v_subrev_nc_u32_e32 v8, s19, v7
	s_delay_alu instid0(VALU_DEP_1) | instskip(NEXT) | instid1(VALU_DEP_1)
	v_mul_lo_u32 v6, 0x89, v8
	v_and_b32_e32 v9, 0x1fff, v6
	s_branch .LBB33_34
.LBB33_33:                              ;   in Loop: Header=BB33_34 Depth=2
	s_or_b32 exec_lo, exec_lo, s8
	s_xor_b32 s8, s9, -1
	s_delay_alu instid0(SALU_CYCLE_1) | instskip(NEXT) | instid1(SALU_CYCLE_1)
	s_and_b32 s8, exec_lo, s8
	s_or_b32 s7, s8, s7
	s_delay_alu instid0(SALU_CYCLE_1)
	s_and_not1_b32 exec_lo, exec_lo, s7
	s_cbranch_execz .LBB33_31
.LBB33_34:                              ;   Parent Loop BB33_32 Depth=1
                                        ; =>  This Loop Header: Depth=2
                                        ;       Child Loop BB33_40 Depth 3
                                        ;       Child Loop BB33_46 Depth 3
	s_delay_alu instid0(VALU_DEP_1)
	v_lshl_add_u32 v6, v9, 2, 0
	s_mov_b32 s8, exec_lo
                                        ; implicit-def: $sgpr9
	ds_load_b32 v7, v6
	s_waitcnt lgkmcnt(0)
	v_cmpx_ne_u32_e64 v7, v8
	s_xor_b32 s8, exec_lo, s8
	s_cbranch_execz .LBB33_44
; %bb.35:                               ;   in Loop: Header=BB33_34 Depth=2
	s_mov_b32 s10, exec_lo
                                        ; implicit-def: $sgpr9
	v_cmpx_ne_u32_e64 s24, v7
	s_xor_b32 s10, exec_lo, s10
; %bb.36:                               ;   in Loop: Header=BB33_34 Depth=2
	v_add_nc_u32_e32 v6, 1, v9
	s_mov_b32 s9, -1
	s_delay_alu instid0(VALU_DEP_1)
	v_and_b32_e32 v9, 0x1fff, v6
                                        ; implicit-def: $vgpr6
; %bb.37:                               ;   in Loop: Header=BB33_34 Depth=2
	s_and_not1_saveexec_b32 s10, s10
	s_cbranch_execz .LBB33_43
; %bb.38:                               ;   in Loop: Header=BB33_34 Depth=2
	v_mov_b32_e32 v7, s24
	s_mov_b32 s12, -1
	s_mov_b32 s11, exec_lo
	ds_cmpstore_rtn_b32 v7, v6, v8, v7
	s_waitcnt lgkmcnt(0)
	v_cmpx_eq_u32_e64 s24, v7
	s_cbranch_execz .LBB33_42
; %bb.39:                               ;   in Loop: Header=BB33_34 Depth=2
	v_lshlrev_b32_e32 v7, 2, v9
	s_mov_b32 s12, 0
	s_delay_alu instid0(VALU_DEP_1)
	v_add_nc_u32_e32 v10, v6, v7
	ds_load_b64 v[6:7], v10 offset:32768
.LBB33_40:                              ;   Parent Loop BB33_32 Depth=1
                                        ;     Parent Loop BB33_34 Depth=2
                                        ; =>    This Inner Loop Header: Depth=3
	s_waitcnt lgkmcnt(0)
	v_add_f64 v[11:12], v[6:7], v[4:5]
	ds_cmpstore_rtn_b64 v[11:12], v10, v[11:12], v[6:7] offset:32768
	s_waitcnt lgkmcnt(0)
	v_cmp_eq_u64_e32 vcc_lo, v[11:12], v[6:7]
	v_dual_mov_b32 v6, v11 :: v_dual_mov_b32 v7, v12
	s_or_b32 s12, vcc_lo, s12
	s_delay_alu instid0(SALU_CYCLE_1)
	s_and_not1_b32 exec_lo, exec_lo, s12
	s_cbranch_execnz .LBB33_40
; %bb.41:                               ;   in Loop: Header=BB33_34 Depth=2
	s_or_b32 exec_lo, exec_lo, s12
	s_delay_alu instid0(SALU_CYCLE_1)
	s_xor_b32 s12, exec_lo, -1
.LBB33_42:                              ;   in Loop: Header=BB33_34 Depth=2
	s_or_b32 exec_lo, exec_lo, s11
	s_delay_alu instid0(SALU_CYCLE_1) | instskip(SKIP_1) | instid1(SALU_CYCLE_1)
	s_and_not1_b32 s9, s9, exec_lo
	s_and_b32 s11, s12, exec_lo
	s_or_b32 s9, s9, s11
.LBB33_43:                              ;   in Loop: Header=BB33_34 Depth=2
	s_or_b32 exec_lo, exec_lo, s10
	s_delay_alu instid0(SALU_CYCLE_1)
	s_and_b32 s9, s9, exec_lo
                                        ; implicit-def: $vgpr6
.LBB33_44:                              ;   in Loop: Header=BB33_34 Depth=2
	s_and_not1_saveexec_b32 s8, s8
	s_cbranch_execz .LBB33_33
; %bb.45:                               ;   in Loop: Header=BB33_34 Depth=2
	v_lshlrev_b32_e32 v7, 2, v9
	s_mov_b32 s10, 0
	s_delay_alu instid0(VALU_DEP_1)
	v_add_nc_u32_e32 v10, v6, v7
	ds_load_b64 v[6:7], v10 offset:32768
.LBB33_46:                              ;   Parent Loop BB33_32 Depth=1
                                        ;     Parent Loop BB33_34 Depth=2
                                        ; =>    This Inner Loop Header: Depth=3
	s_waitcnt lgkmcnt(0)
	v_add_f64 v[11:12], v[6:7], v[4:5]
	ds_cmpstore_rtn_b64 v[11:12], v10, v[11:12], v[6:7] offset:32768
	s_waitcnt lgkmcnt(0)
	v_cmp_eq_u64_e32 vcc_lo, v[11:12], v[6:7]
	v_dual_mov_b32 v6, v11 :: v_dual_mov_b32 v7, v12
	s_or_b32 s10, vcc_lo, s10
	s_delay_alu instid0(SALU_CYCLE_1)
	s_and_not1_b32 exec_lo, exec_lo, s10
	s_cbranch_execnz .LBB33_46
; %bb.47:                               ;   in Loop: Header=BB33_34 Depth=2
	s_or_b32 exec_lo, exec_lo, s10
	s_delay_alu instid0(SALU_CYCLE_1)
	s_and_not1_b32 s9, s9, exec_lo
	s_branch .LBB33_33
.LBB33_48:
	s_or_b32 exec_lo, exec_lo, s5
.LBB33_49:
	v_mbcnt_lo_u32_b32 v1, -1, 0
	v_dual_mov_b32 v7, 0 :: v_dual_lshlrev_b32 v2, 2, v17
	s_add_i32 s36, 0, 0x1803c
	v_cmp_eq_u32_e32 vcc_lo, 0x3ff, v0
	s_delay_alu instid0(VALU_DEP_3) | instskip(NEXT) | instid1(VALU_DEP_3)
	v_xor_b32_e32 v1, 63, v1
	v_add3_u32 v4, 0, 0x18000, v2
	v_cmp_lt_u32_e64 s0, 63, v0
	v_cmp_lt_u32_e64 s1, 0x7f, v0
	;; [unrolled: 1-line block ×3, first 2 shown]
	v_lshrrev_b64 v[1:2], v1, -1
	v_cmp_lt_u32_e64 s3, 0xff, v0
	v_cmp_lt_u32_e64 s4, 0x13f, v0
	;; [unrolled: 1-line block ×12, first 2 shown]
	v_add3_u32 v5, v16, 0, 0x8000
	v_or_b32_e32 v6, 0xfffffc00, v0
	v_mov_b32_e32 v8, s36
	s_mov_b32 s19, 0
	s_add_i32 s21, 0, 0x18000
	s_add_i32 s25, 0, 0x18004
	;; [unrolled: 1-line block ×15, first 2 shown]
	s_waitcnt lgkmcnt(0)
	s_barrier
	buffer_gl0_inv
	s_branch .LBB33_51
.LBB33_50:                              ;   in Loop: Header=BB33_51 Depth=1
	s_or_b32 exec_lo, exec_lo, s15
	s_waitcnt lgkmcnt(0)
	s_barrier
	buffer_gl0_inv
	ds_load_b32 v2, v8
	v_add_nc_u32_e32 v6, 0x400, v6
	v_add_nc_u32_e32 v5, 0x2000, v5
	;; [unrolled: 1-line block ×3, first 2 shown]
	s_delay_alu instid0(VALU_DEP_3) | instskip(NEXT) | instid1(VALU_DEP_1)
	v_cmp_lt_u32_e64 s15, 0x1bff, v6
	s_or_b32 s19, s15, s19
	s_waitcnt lgkmcnt(0)
	v_add_nc_u32_e32 v7, v2, v7
	s_and_not1_b32 exec_lo, exec_lo, s19
	s_cbranch_execz .LBB33_85
.LBB33_51:                              ; =>This Inner Loop Header: Depth=1
	ds_load_b32 v9, v15
	ds_load_b64 v[2:3], v5
	s_waitcnt lgkmcnt(0)
	s_barrier
	buffer_gl0_inv
	v_cmp_gt_i32_e64 s15, s24, v9
	s_delay_alu instid0(VALU_DEP_1) | instskip(NEXT) | instid1(SALU_CYCLE_1)
	s_bcnt1_i32_b32 s41, s15
	v_dual_mov_b32 v11, s41 :: v_dual_and_b32 v10, s15, v1
	s_delay_alu instid0(VALU_DEP_1)
	v_bcnt_u32_b32 v10, v10, 0
	ds_store_b32 v4, v11
	s_waitcnt lgkmcnt(0)
	s_barrier
	buffer_gl0_inv
	s_and_saveexec_b32 s41, s0
	s_cbranch_execnz .LBB33_68
; %bb.52:                               ;   in Loop: Header=BB33_51 Depth=1
	s_or_b32 exec_lo, exec_lo, s41
	s_and_saveexec_b32 s41, s1
	s_cbranch_execnz .LBB33_69
.LBB33_53:                              ;   in Loop: Header=BB33_51 Depth=1
	s_or_b32 exec_lo, exec_lo, s41
	s_and_saveexec_b32 s41, s2
	s_cbranch_execnz .LBB33_70
.LBB33_54:                              ;   in Loop: Header=BB33_51 Depth=1
	s_or_b32 exec_lo, exec_lo, s41
	s_and_saveexec_b32 s41, s3
	s_cbranch_execnz .LBB33_71
.LBB33_55:                              ;   in Loop: Header=BB33_51 Depth=1
	s_or_b32 exec_lo, exec_lo, s41
	s_and_saveexec_b32 s41, s4
	s_cbranch_execnz .LBB33_72
.LBB33_56:                              ;   in Loop: Header=BB33_51 Depth=1
	s_or_b32 exec_lo, exec_lo, s41
	s_and_saveexec_b32 s41, s5
	s_cbranch_execnz .LBB33_73
.LBB33_57:                              ;   in Loop: Header=BB33_51 Depth=1
	s_or_b32 exec_lo, exec_lo, s41
	s_and_saveexec_b32 s41, s6
	s_cbranch_execnz .LBB33_74
.LBB33_58:                              ;   in Loop: Header=BB33_51 Depth=1
	s_or_b32 exec_lo, exec_lo, s41
	s_and_saveexec_b32 s41, s7
	s_cbranch_execnz .LBB33_75
.LBB33_59:                              ;   in Loop: Header=BB33_51 Depth=1
	s_or_b32 exec_lo, exec_lo, s41
	s_and_saveexec_b32 s41, s8
	s_cbranch_execnz .LBB33_76
.LBB33_60:                              ;   in Loop: Header=BB33_51 Depth=1
	s_or_b32 exec_lo, exec_lo, s41
	s_and_saveexec_b32 s41, s9
	s_cbranch_execnz .LBB33_77
.LBB33_61:                              ;   in Loop: Header=BB33_51 Depth=1
	s_or_b32 exec_lo, exec_lo, s41
	s_and_saveexec_b32 s41, s10
	s_cbranch_execnz .LBB33_78
.LBB33_62:                              ;   in Loop: Header=BB33_51 Depth=1
	s_or_b32 exec_lo, exec_lo, s41
	s_and_saveexec_b32 s41, s11
	s_cbranch_execnz .LBB33_79
.LBB33_63:                              ;   in Loop: Header=BB33_51 Depth=1
	s_or_b32 exec_lo, exec_lo, s41
	s_and_saveexec_b32 s41, s12
	s_cbranch_execnz .LBB33_80
.LBB33_64:                              ;   in Loop: Header=BB33_51 Depth=1
	s_or_b32 exec_lo, exec_lo, s41
	s_and_saveexec_b32 s41, s13
	s_cbranch_execnz .LBB33_81
.LBB33_65:                              ;   in Loop: Header=BB33_51 Depth=1
	s_or_b32 exec_lo, exec_lo, s41
	s_and_saveexec_b32 s41, s14
	s_cbranch_execnz .LBB33_82
.LBB33_66:                              ;   in Loop: Header=BB33_51 Depth=1
	s_or_b32 exec_lo, exec_lo, s41
	s_and_saveexec_b32 s41, s15
	s_cbranch_execnz .LBB33_83
.LBB33_67:                              ;   in Loop: Header=BB33_51 Depth=1
	s_or_b32 exec_lo, exec_lo, s41
	s_and_saveexec_b32 s15, vcc_lo
	s_cbranch_execz .LBB33_50
	s_branch .LBB33_84
.LBB33_68:                              ;   in Loop: Header=BB33_51 Depth=1
	v_mov_b32_e32 v11, s21
	ds_load_b32 v11, v11
	s_waitcnt lgkmcnt(0)
	v_add_nc_u32_e32 v10, v11, v10
	s_or_b32 exec_lo, exec_lo, s41
	s_and_saveexec_b32 s41, s1
	s_cbranch_execz .LBB33_53
.LBB33_69:                              ;   in Loop: Header=BB33_51 Depth=1
	v_mov_b32_e32 v11, s25
	ds_load_b32 v11, v11
	s_waitcnt lgkmcnt(0)
	v_add_nc_u32_e32 v10, v11, v10
	s_or_b32 exec_lo, exec_lo, s41
	s_and_saveexec_b32 s41, s2
	s_cbranch_execz .LBB33_54
.LBB33_70:                              ;   in Loop: Header=BB33_51 Depth=1
	v_mov_b32_e32 v11, s26
	ds_load_b32 v11, v11
	s_waitcnt lgkmcnt(0)
	v_add_nc_u32_e32 v10, v11, v10
	s_or_b32 exec_lo, exec_lo, s41
	s_and_saveexec_b32 s41, s3
	s_cbranch_execz .LBB33_55
.LBB33_71:                              ;   in Loop: Header=BB33_51 Depth=1
	v_mov_b32_e32 v11, s27
	ds_load_b32 v11, v11
	s_waitcnt lgkmcnt(0)
	v_add_nc_u32_e32 v10, v11, v10
	s_or_b32 exec_lo, exec_lo, s41
	s_and_saveexec_b32 s41, s4
	s_cbranch_execz .LBB33_56
.LBB33_72:                              ;   in Loop: Header=BB33_51 Depth=1
	v_mov_b32_e32 v11, s28
	ds_load_b32 v11, v11
	s_waitcnt lgkmcnt(0)
	v_add_nc_u32_e32 v10, v11, v10
	s_or_b32 exec_lo, exec_lo, s41
	s_and_saveexec_b32 s41, s5
	s_cbranch_execz .LBB33_57
.LBB33_73:                              ;   in Loop: Header=BB33_51 Depth=1
	v_mov_b32_e32 v11, s29
	ds_load_b32 v11, v11
	s_waitcnt lgkmcnt(0)
	v_add_nc_u32_e32 v10, v11, v10
	s_or_b32 exec_lo, exec_lo, s41
	s_and_saveexec_b32 s41, s6
	s_cbranch_execz .LBB33_58
.LBB33_74:                              ;   in Loop: Header=BB33_51 Depth=1
	v_mov_b32_e32 v11, s30
	ds_load_b32 v11, v11
	s_waitcnt lgkmcnt(0)
	v_add_nc_u32_e32 v10, v11, v10
	s_or_b32 exec_lo, exec_lo, s41
	s_and_saveexec_b32 s41, s7
	s_cbranch_execz .LBB33_59
.LBB33_75:                              ;   in Loop: Header=BB33_51 Depth=1
	v_mov_b32_e32 v11, s31
	ds_load_b32 v11, v11
	s_waitcnt lgkmcnt(0)
	v_add_nc_u32_e32 v10, v11, v10
	s_or_b32 exec_lo, exec_lo, s41
	s_and_saveexec_b32 s41, s8
	s_cbranch_execz .LBB33_60
.LBB33_76:                              ;   in Loop: Header=BB33_51 Depth=1
	v_mov_b32_e32 v11, s33
	ds_load_b32 v11, v11
	s_waitcnt lgkmcnt(0)
	v_add_nc_u32_e32 v10, v11, v10
	s_or_b32 exec_lo, exec_lo, s41
	s_and_saveexec_b32 s41, s9
	s_cbranch_execz .LBB33_61
.LBB33_77:                              ;   in Loop: Header=BB33_51 Depth=1
	v_mov_b32_e32 v11, s34
	ds_load_b32 v11, v11
	s_waitcnt lgkmcnt(0)
	v_add_nc_u32_e32 v10, v11, v10
	s_or_b32 exec_lo, exec_lo, s41
	s_and_saveexec_b32 s41, s10
	s_cbranch_execz .LBB33_62
.LBB33_78:                              ;   in Loop: Header=BB33_51 Depth=1
	v_mov_b32_e32 v11, s35
	ds_load_b32 v11, v11
	s_waitcnt lgkmcnt(0)
	v_add_nc_u32_e32 v10, v11, v10
	s_or_b32 exec_lo, exec_lo, s41
	s_and_saveexec_b32 s41, s11
	s_cbranch_execz .LBB33_63
.LBB33_79:                              ;   in Loop: Header=BB33_51 Depth=1
	v_mov_b32_e32 v11, s37
	ds_load_b32 v11, v11
	s_waitcnt lgkmcnt(0)
	v_add_nc_u32_e32 v10, v11, v10
	s_or_b32 exec_lo, exec_lo, s41
	s_and_saveexec_b32 s41, s12
	s_cbranch_execz .LBB33_64
.LBB33_80:                              ;   in Loop: Header=BB33_51 Depth=1
	v_mov_b32_e32 v11, s38
	ds_load_b32 v11, v11
	s_waitcnt lgkmcnt(0)
	v_add_nc_u32_e32 v10, v11, v10
	s_or_b32 exec_lo, exec_lo, s41
	s_and_saveexec_b32 s41, s13
	s_cbranch_execz .LBB33_65
.LBB33_81:                              ;   in Loop: Header=BB33_51 Depth=1
	v_mov_b32_e32 v11, s39
	ds_load_b32 v11, v11
	s_waitcnt lgkmcnt(0)
	v_add_nc_u32_e32 v10, v11, v10
	s_or_b32 exec_lo, exec_lo, s41
	s_and_saveexec_b32 s41, s14
	s_cbranch_execz .LBB33_66
.LBB33_82:                              ;   in Loop: Header=BB33_51 Depth=1
	v_mov_b32_e32 v11, s40
	ds_load_b32 v11, v11
	s_waitcnt lgkmcnt(0)
	v_add_nc_u32_e32 v10, v11, v10
	s_or_b32 exec_lo, exec_lo, s41
	s_and_saveexec_b32 s41, s15
	s_cbranch_execz .LBB33_67
.LBB33_83:                              ;   in Loop: Header=BB33_51 Depth=1
	s_delay_alu instid0(VALU_DEP_1) | instskip(NEXT) | instid1(VALU_DEP_1)
	v_add3_u32 v11, v7, -1, v10
	v_lshl_add_u32 v12, v11, 2, 0
	v_lshl_add_u32 v11, v11, 3, 0
	ds_store_b32 v12, v9
	ds_store_b64 v11, v[2:3] offset:32768
	s_or_b32 exec_lo, exec_lo, s41
	s_and_saveexec_b32 s15, vcc_lo
	s_cbranch_execz .LBB33_50
.LBB33_84:                              ;   in Loop: Header=BB33_51 Depth=1
	v_mov_b32_e32 v2, s36
	ds_store_b32 v2, v10
	s_branch .LBB33_50
.LBB33_85:
	s_or_b32 exec_lo, exec_lo, s19
	s_ashr_i32 s21, s20, 31
	s_mov_b32 s3, exec_lo
	s_lshl_b64 s[0:1], s[20:21], 2
	s_delay_alu instid0(SALU_CYCLE_1) | instskip(SKIP_4) | instid1(SALU_CYCLE_1)
	s_add_u32 s0, s22, s0
	s_addc_u32 s1, s23, s1
	s_load_b64 s[0:1], s[0:1], 0x0
	s_waitcnt lgkmcnt(0)
	s_sub_i32 s2, s1, s0
	v_cmpx_gt_i32_e64 s2, v0
	s_cbranch_execz .LBB33_95
; %bb.86:
	s_sub_i32 s3, s0, s18
	s_sub_i32 s0, s0, s1
	s_and_b32 s1, s2, 7
	s_cmp_lt_u32 s0, -7
	s_mov_b32 s7, 0
	s_cselect_b32 s4, -1, 0
	s_and_b32 s5, s2, -8
	s_cmp_lg_u32 s1, 0
	s_cselect_b32 s6, -1, 0
	s_branch .LBB33_88
.LBB33_87:                              ;   in Loop: Header=BB33_88 Depth=1
	s_waitcnt lgkmcnt(1)
	s_delay_alu instid0(VALU_DEP_1) | instskip(SKIP_1) | instid1(VALU_DEP_2)
	v_ashrrev_i32_e32 v4, 31, v3
	v_add_nc_u32_e32 v0, 0x400, v0
	v_lshlrev_b64 v[3:4], 3, v[3:4]
	s_delay_alu instid0(VALU_DEP_2) | instskip(SKIP_1) | instid1(VALU_DEP_2)
	v_cmp_le_i32_e32 vcc_lo, s2, v0
	s_or_b32 s7, vcc_lo, s7
	v_add_co_u32 v3, s0, s16, v3
	s_delay_alu instid0(VALU_DEP_1)
	v_add_co_ci_u32_e64 v4, s0, s17, v4, s0
	s_waitcnt lgkmcnt(0)
	global_store_b64 v[3:4], v[1:2], off
	s_and_not1_b32 exec_lo, exec_lo, s7
	s_cbranch_execz .LBB33_95
.LBB33_88:                              ; =>This Loop Header: Depth=1
                                        ;     Child Loop BB33_90 Depth 2
                                        ;     Child Loop BB33_94 Depth 2
	v_lshlrev_b32_e32 v1, 2, v0
	s_and_not1_b32 vcc_lo, exec_lo, s4
	s_mov_b32 s0, 0
	s_delay_alu instid0(VALU_DEP_1) | instskip(NEXT) | instid1(VALU_DEP_1)
	v_dual_mov_b32 v3, s3 :: v_dual_add_nc_u32 v2, 0, v1
	v_add_nc_u32_e32 v1, v2, v1
	ds_load_b32 v4, v2
	ds_load_b64 v[1:2], v1 offset:32768
	s_cbranch_vccnz .LBB33_92
; %bb.89:                               ;   in Loop: Header=BB33_88 Depth=1
	v_mov_b32_e32 v3, s3
	s_mov_b32 s8, 0
	s_set_inst_prefetch_distance 0x1
	.p2align	6
.LBB33_90:                              ;   Parent Loop BB33_88 Depth=1
                                        ; =>  This Inner Loop Header: Depth=2
	v_mov_b32_e32 v11, s8
	s_add_i32 s0, s0, 8
	s_add_i32 s8, s8, 32
	s_cmp_eq_u32 s5, s0
	ds_load_2addr_b32 v[5:6], v11 offset1:1
	ds_load_2addr_b32 v[7:8], v11 offset0:2 offset1:3
	ds_load_2addr_b32 v[9:10], v11 offset0:4 offset1:5
	;; [unrolled: 1-line block ×3, first 2 shown]
	s_waitcnt lgkmcnt(3)
	v_cmp_gt_i32_e32 vcc_lo, v4, v5
	v_cndmask_b32_e64 v5, 0, 1, vcc_lo
	s_waitcnt lgkmcnt(2)
	v_cmp_gt_i32_e32 vcc_lo, v4, v7
	v_cndmask_b32_e64 v7, 0, 1, vcc_lo
	v_cmp_gt_i32_e32 vcc_lo, v4, v6
	v_add_co_ci_u32_e32 v3, vcc_lo, v3, v5, vcc_lo
	s_waitcnt lgkmcnt(1)
	v_cmp_gt_i32_e32 vcc_lo, v4, v9
	v_cndmask_b32_e64 v5, 0, 1, vcc_lo
	v_cmp_gt_i32_e32 vcc_lo, v4, v8
	v_add_co_ci_u32_e32 v3, vcc_lo, v3, v7, vcc_lo
	;; [unrolled: 5-line block ×3, first 2 shown]
	v_cmp_gt_i32_e32 vcc_lo, v4, v12
	s_delay_alu instid0(VALU_DEP_2)
	v_add_co_ci_u32_e32 v3, vcc_lo, v3, v6, vcc_lo
	s_cbranch_scc0 .LBB33_90
; %bb.91:                               ;   in Loop: Header=BB33_88 Depth=1
	s_set_inst_prefetch_distance 0x2
	s_mov_b32 s0, s5
.LBB33_92:                              ;   in Loop: Header=BB33_88 Depth=1
	s_and_not1_b32 vcc_lo, exec_lo, s6
	s_cbranch_vccnz .LBB33_87
; %bb.93:                               ;   in Loop: Header=BB33_88 Depth=1
	s_lshl_b32 s0, s0, 2
	s_mov_b32 s8, s1
	s_add_i32 s0, s0, 0
.LBB33_94:                              ;   Parent Loop BB33_88 Depth=1
                                        ; =>  This Inner Loop Header: Depth=2
	s_delay_alu instid0(SALU_CYCLE_1)
	v_mov_b32_e32 v5, s0
	s_add_i32 s8, s8, -1
	s_add_i32 s0, s0, 4
	s_cmp_lg_u32 s8, 0
	ds_load_b32 v5, v5
	s_waitcnt lgkmcnt(0)
	v_cmp_gt_i32_e32 vcc_lo, v4, v5
	v_add_co_ci_u32_e32 v3, vcc_lo, 0, v3, vcc_lo
	s_cbranch_scc1 .LBB33_94
	s_branch .LBB33_87
.LBB33_95:
	s_nop 0
	s_sendmsg sendmsg(MSG_DEALLOC_VGPRS)
	s_endpgm
	.section	.rodata,"a",@progbits
	.p2align	6, 0x0
	.amdhsa_kernel _ZN9rocsparseL41csrgemm_numeric_fill_block_per_row_kernelILj1024ELj64ELj8192ELj137ELj64EiidEEvT5_PKS1_S3_NS_24const_host_device_scalarIT6_EEPKT4_S3_PKS5_S9_S3_SB_S6_S9_S3_SB_S9_S3_PS5_21rocsparse_index_base_SD_SD_SD_bbb
		.amdhsa_group_segment_fixed_size 0
		.amdhsa_private_segment_fixed_size 0
		.amdhsa_kernarg_size 156
		.amdhsa_user_sgpr_count 15
		.amdhsa_user_sgpr_dispatch_ptr 0
		.amdhsa_user_sgpr_queue_ptr 0
		.amdhsa_user_sgpr_kernarg_segment_ptr 1
		.amdhsa_user_sgpr_dispatch_id 0
		.amdhsa_user_sgpr_private_segment_size 0
		.amdhsa_wavefront_size32 1
		.amdhsa_uses_dynamic_stack 0
		.amdhsa_enable_private_segment 0
		.amdhsa_system_sgpr_workgroup_id_x 1
		.amdhsa_system_sgpr_workgroup_id_y 0
		.amdhsa_system_sgpr_workgroup_id_z 0
		.amdhsa_system_sgpr_workgroup_info 0
		.amdhsa_system_vgpr_workitem_id 0
		.amdhsa_next_free_vgpr 23
		.amdhsa_next_free_sgpr 42
		.amdhsa_reserve_vcc 1
		.amdhsa_float_round_mode_32 0
		.amdhsa_float_round_mode_16_64 0
		.amdhsa_float_denorm_mode_32 3
		.amdhsa_float_denorm_mode_16_64 3
		.amdhsa_dx10_clamp 1
		.amdhsa_ieee_mode 1
		.amdhsa_fp16_overflow 0
		.amdhsa_workgroup_processor_mode 1
		.amdhsa_memory_ordered 1
		.amdhsa_forward_progress 0
		.amdhsa_shared_vgpr_count 0
		.amdhsa_exception_fp_ieee_invalid_op 0
		.amdhsa_exception_fp_denorm_src 0
		.amdhsa_exception_fp_ieee_div_zero 0
		.amdhsa_exception_fp_ieee_overflow 0
		.amdhsa_exception_fp_ieee_underflow 0
		.amdhsa_exception_fp_ieee_inexact 0
		.amdhsa_exception_int_div_zero 0
	.end_amdhsa_kernel
	.section	.text._ZN9rocsparseL41csrgemm_numeric_fill_block_per_row_kernelILj1024ELj64ELj8192ELj137ELj64EiidEEvT5_PKS1_S3_NS_24const_host_device_scalarIT6_EEPKT4_S3_PKS5_S9_S3_SB_S6_S9_S3_SB_S9_S3_PS5_21rocsparse_index_base_SD_SD_SD_bbb,"axG",@progbits,_ZN9rocsparseL41csrgemm_numeric_fill_block_per_row_kernelILj1024ELj64ELj8192ELj137ELj64EiidEEvT5_PKS1_S3_NS_24const_host_device_scalarIT6_EEPKT4_S3_PKS5_S9_S3_SB_S6_S9_S3_SB_S9_S3_PS5_21rocsparse_index_base_SD_SD_SD_bbb,comdat
.Lfunc_end33:
	.size	_ZN9rocsparseL41csrgemm_numeric_fill_block_per_row_kernelILj1024ELj64ELj8192ELj137ELj64EiidEEvT5_PKS1_S3_NS_24const_host_device_scalarIT6_EEPKT4_S3_PKS5_S9_S3_SB_S6_S9_S3_SB_S9_S3_PS5_21rocsparse_index_base_SD_SD_SD_bbb, .Lfunc_end33-_ZN9rocsparseL41csrgemm_numeric_fill_block_per_row_kernelILj1024ELj64ELj8192ELj137ELj64EiidEEvT5_PKS1_S3_NS_24const_host_device_scalarIT6_EEPKT4_S3_PKS5_S9_S3_SB_S6_S9_S3_SB_S9_S3_PS5_21rocsparse_index_base_SD_SD_SD_bbb
                                        ; -- End function
	.section	.AMDGPU.csdata,"",@progbits
; Kernel info:
; codeLenInByte = 3756
; NumSgprs: 44
; NumVgprs: 23
; ScratchSize: 0
; MemoryBound: 0
; FloatMode: 240
; IeeeMode: 1
; LDSByteSize: 0 bytes/workgroup (compile time only)
; SGPRBlocks: 5
; VGPRBlocks: 2
; NumSGPRsForWavesPerEU: 44
; NumVGPRsForWavesPerEU: 23
; Occupancy: 16
; WaveLimiterHint : 1
; COMPUTE_PGM_RSRC2:SCRATCH_EN: 0
; COMPUTE_PGM_RSRC2:USER_SGPR: 15
; COMPUTE_PGM_RSRC2:TRAP_HANDLER: 0
; COMPUTE_PGM_RSRC2:TGID_X_EN: 1
; COMPUTE_PGM_RSRC2:TGID_Y_EN: 0
; COMPUTE_PGM_RSRC2:TGID_Z_EN: 0
; COMPUTE_PGM_RSRC2:TIDIG_COMP_CNT: 0
	.section	.text._ZN9rocsparseL41csrgemm_numeric_fill_block_per_row_kernelILj1024ELj64ELj16384ELj137ELj32EiidEEvT5_PKS1_S3_NS_24const_host_device_scalarIT6_EEPKT4_S3_PKS5_S9_S3_SB_S6_S9_S3_SB_S9_S3_PS5_21rocsparse_index_base_SD_SD_SD_bbb,"axG",@progbits,_ZN9rocsparseL41csrgemm_numeric_fill_block_per_row_kernelILj1024ELj64ELj16384ELj137ELj32EiidEEvT5_PKS1_S3_NS_24const_host_device_scalarIT6_EEPKT4_S3_PKS5_S9_S3_SB_S6_S9_S3_SB_S9_S3_PS5_21rocsparse_index_base_SD_SD_SD_bbb,comdat
	.globl	_ZN9rocsparseL41csrgemm_numeric_fill_block_per_row_kernelILj1024ELj64ELj16384ELj137ELj32EiidEEvT5_PKS1_S3_NS_24const_host_device_scalarIT6_EEPKT4_S3_PKS5_S9_S3_SB_S6_S9_S3_SB_S9_S3_PS5_21rocsparse_index_base_SD_SD_SD_bbb ; -- Begin function _ZN9rocsparseL41csrgemm_numeric_fill_block_per_row_kernelILj1024ELj64ELj16384ELj137ELj32EiidEEvT5_PKS1_S3_NS_24const_host_device_scalarIT6_EEPKT4_S3_PKS5_S9_S3_SB_S6_S9_S3_SB_S9_S3_PS5_21rocsparse_index_base_SD_SD_SD_bbb
	.p2align	8
	.type	_ZN9rocsparseL41csrgemm_numeric_fill_block_per_row_kernelILj1024ELj64ELj16384ELj137ELj32EiidEEvT5_PKS1_S3_NS_24const_host_device_scalarIT6_EEPKT4_S3_PKS5_S9_S3_SB_S6_S9_S3_SB_S9_S3_PS5_21rocsparse_index_base_SD_SD_SD_bbb,@function
_ZN9rocsparseL41csrgemm_numeric_fill_block_per_row_kernelILj1024ELj64ELj16384ELj137ELj32EiidEEvT5_PKS1_S3_NS_24const_host_device_scalarIT6_EEPKT4_S3_PKS5_S9_S3_SB_S6_S9_S3_SB_S9_S3_PS5_21rocsparse_index_base_SD_SD_SD_bbb: ; @_ZN9rocsparseL41csrgemm_numeric_fill_block_per_row_kernelILj1024ELj64ELj16384ELj137ELj32EiidEEvT5_PKS1_S3_NS_24const_host_device_scalarIT6_EEPKT4_S3_PKS5_S9_S3_SB_S6_S9_S3_SB_S9_S3_PS5_21rocsparse_index_base_SD_SD_SD_bbb
; %bb.0:
	s_clause 0x3
	s_load_b32 s12, s[0:1], 0x98
	s_load_b64 s[4:5], s[0:1], 0x18
	s_load_b128 s[44:47], s[0:1], 0x88
	s_load_b64 s[2:3], s[0:1], 0x50
	s_waitcnt lgkmcnt(0)
	s_and_b32 s6, 1, s12
	s_bitcmp1_b32 s12, 16
	s_cselect_b32 s14, -1, 0
	s_cmp_eq_u32 s6, 1
	s_cselect_b32 s13, -1, 0
	s_delay_alu instid0(SALU_CYCLE_1)
	s_and_b32 s6, s13, exec_lo
	s_cselect_b32 s7, s5, 0
	s_cselect_b32 s6, s4, 0
	s_xor_b32 s8, s13, -1
	v_dual_mov_b32 v3, s6 :: v_dual_mov_b32 v4, s7
	s_or_b32 s8, s8, s14
	s_delay_alu instid0(SALU_CYCLE_1)
	s_and_b32 vcc_lo, exec_lo, s8
	s_cbranch_vccnz .LBB34_2
; %bb.1:
	v_dual_mov_b32 v1, s4 :: v_dual_mov_b32 v2, s5
	flat_load_b64 v[3:4], v[1:2]
.LBB34_2:
	s_clause 0x4
	s_load_b64 s[34:35], s[0:1], 0x80
	s_load_b256 s[36:43], s[0:1], 0x58
	s_load_b128 s[16:19], s[0:1], 0x40
	s_load_b128 s[20:23], s[0:1], 0x8
	s_load_b256 s[4:11], s[0:1], 0x20
	s_bitcmp1_b32 s12, 8
	s_cselect_b32 s12, -1, 0
	s_delay_alu instid0(SALU_CYCLE_1)
	s_and_b32 s24, s12, exec_lo
	s_cselect_b32 s25, s3, 0
	s_cselect_b32 s24, s2, 0
	s_xor_b32 s26, s12, -1
	v_dual_mov_b32 v1, s24 :: v_dual_mov_b32 v2, s25
	s_or_b32 s14, s26, s14
	s_delay_alu instid0(SALU_CYCLE_1)
	s_and_b32 vcc_lo, exec_lo, s14
	s_cbranch_vccnz .LBB34_4
; %bb.3:
	v_dual_mov_b32 v1, s2 :: v_dual_mov_b32 v2, s3
	flat_load_b64 v[1:2], v[1:2]
.LBB34_4:
	s_load_b32 s33, s[0:1], 0x0
	v_dual_mov_b32 v5, 0 :: v_dual_lshlrev_b32 v6, 3, v0
	v_lshl_add_u32 v15, v0, 2, 0
	v_or_b32_e32 v17, 0xfffffc00, v0
	s_mov_b32 s0, 0
	s_delay_alu instid0(VALU_DEP_3) | instskip(NEXT) | instid1(VALU_DEP_3)
	v_add3_u32 v16, v6, 0, 0x10000
	v_dual_mov_b32 v6, v5 :: v_dual_mov_b32 v7, v15
	s_delay_alu instid0(VALU_DEP_3) | instskip(SKIP_1) | instid1(VALU_DEP_3)
	v_mov_b32_e32 v10, v17
	s_waitcnt lgkmcnt(0)
	v_dual_mov_b32 v8, v16 :: v_dual_mov_b32 v9, s33
.LBB34_5:                               ; =>This Inner Loop Header: Depth=1
	s_delay_alu instid0(VALU_DEP_2)
	v_add_nc_u32_e32 v10, 0x400, v10
	ds_store_b32 v7, v9
	ds_store_b64 v8, v[5:6]
	v_add_nc_u32_e32 v8, 0x2000, v8
	v_add_nc_u32_e32 v7, 0x1000, v7
	v_cmp_lt_u32_e32 vcc_lo, 0x3bff, v10
	s_or_b32 s0, vcc_lo, s0
	s_delay_alu instid0(SALU_CYCLE_1)
	s_and_not1_b32 exec_lo, exec_lo, s0
	s_cbranch_execnz .LBB34_5
; %bb.6:
	s_or_b32 exec_lo, exec_lo, s0
	s_waitcnt vmcnt(0) lgkmcnt(0)
	s_barrier
	buffer_gl0_inv
	s_load_b32 s0, s[20:21], 0x0
	s_mov_b32 s1, 0
	s_waitcnt lgkmcnt(0)
	s_add_i32 s0, s0, s15
	s_delay_alu instid0(SALU_CYCLE_1) | instskip(NEXT) | instid1(SALU_CYCLE_1)
	s_lshl_b64 s[0:1], s[0:1], 2
	s_add_u32 s0, s22, s0
	s_addc_u32 s1, s23, s1
	s_and_b32 vcc_lo, exec_lo, s13
	s_load_b32 s48, s[0:1], 0x0
	s_cbranch_vccz .LBB34_30
; %bb.7:
	s_waitcnt lgkmcnt(0)
	s_ashr_i32 s49, s48, 31
	v_lshrrev_b32_e32 v5, 6, v0
	s_lshl_b64 s[0:1], s[48:49], 2
	s_delay_alu instid0(SALU_CYCLE_1) | instskip(SKIP_1) | instid1(VALU_DEP_1)
	s_add_u32 s0, s4, s0
	s_addc_u32 s1, s5, s1
	v_subrev_nc_u32_e32 v5, s44, v5
	s_load_b64 s[0:1], s[0:1], 0x0
	s_waitcnt lgkmcnt(0)
	s_delay_alu instid0(VALU_DEP_1) | instskip(SKIP_2) | instid1(VALU_DEP_1)
	v_add_nc_u32_e32 v5, s0, v5
	s_sub_i32 s0, s1, s44
	s_mov_b32 s1, exec_lo
	v_cmpx_gt_i32_e64 s0, v5
	s_cbranch_execz .LBB34_29
; %bb.8:
	v_and_b32_e32 v6, 63, v0
	s_mov_b32 s2, 0
	s_delay_alu instid0(VALU_DEP_1)
	v_subrev_nc_u32_e32 v18, s45, v6
	s_branch .LBB34_10
.LBB34_9:                               ;   in Loop: Header=BB34_10 Depth=1
	s_or_b32 exec_lo, exec_lo, s3
	v_add_nc_u32_e32 v5, 16, v5
	s_delay_alu instid0(VALU_DEP_1) | instskip(SKIP_1) | instid1(SALU_CYCLE_1)
	v_cmp_le_i32_e32 vcc_lo, s0, v5
	s_or_b32 s2, vcc_lo, s2
	s_and_not1_b32 exec_lo, exec_lo, s2
	s_cbranch_execz .LBB34_29
.LBB34_10:                              ; =>This Loop Header: Depth=1
                                        ;     Child Loop BB34_13 Depth 2
                                        ;       Child Loop BB34_15 Depth 3
                                        ;         Child Loop BB34_21 Depth 4
                                        ;         Child Loop BB34_27 Depth 4
	v_ashrrev_i32_e32 v6, 31, v5
	s_mov_b32 s3, exec_lo
	s_delay_alu instid0(VALU_DEP_1) | instskip(NEXT) | instid1(VALU_DEP_1)
	v_lshlrev_b64 v[7:8], 2, v[5:6]
	v_add_co_u32 v7, vcc_lo, s6, v7
	s_delay_alu instid0(VALU_DEP_2) | instskip(SKIP_3) | instid1(VALU_DEP_1)
	v_add_co_ci_u32_e32 v8, vcc_lo, s7, v8, vcc_lo
	global_load_b32 v7, v[7:8], off
	s_waitcnt vmcnt(0)
	v_subrev_nc_u32_e32 v7, s44, v7
	v_ashrrev_i32_e32 v8, 31, v7
	s_delay_alu instid0(VALU_DEP_1) | instskip(NEXT) | instid1(VALU_DEP_1)
	v_lshlrev_b64 v[7:8], 2, v[7:8]
	v_add_co_u32 v7, vcc_lo, s10, v7
	s_delay_alu instid0(VALU_DEP_2) | instskip(SKIP_4) | instid1(VALU_DEP_1)
	v_add_co_ci_u32_e32 v8, vcc_lo, s11, v8, vcc_lo
	global_load_b64 v[7:8], v[7:8], off
	s_waitcnt vmcnt(0)
	v_subrev_nc_u32_e32 v19, s45, v8
	v_add_nc_u32_e32 v7, v7, v18
	v_cmpx_lt_i32_e64 v7, v19
	s_cbranch_execz .LBB34_9
; %bb.11:                               ;   in Loop: Header=BB34_10 Depth=1
	v_lshlrev_b64 v[8:9], 3, v[5:6]
	s_mov_b32 s4, 0
	s_delay_alu instid0(VALU_DEP_1) | instskip(NEXT) | instid1(VALU_DEP_2)
	v_add_co_u32 v8, vcc_lo, s8, v8
	v_add_co_ci_u32_e32 v9, vcc_lo, s9, v9, vcc_lo
	global_load_b64 v[8:9], v[8:9], off
	s_waitcnt vmcnt(0)
	v_mul_f64 v[9:10], v[3:4], v[8:9]
	s_branch .LBB34_13
.LBB34_12:                              ;   in Loop: Header=BB34_13 Depth=2
	s_or_b32 exec_lo, exec_lo, s5
	v_add_nc_u32_e32 v7, 64, v7
	s_delay_alu instid0(VALU_DEP_1) | instskip(SKIP_1) | instid1(SALU_CYCLE_1)
	v_cmp_ge_i32_e32 vcc_lo, v7, v19
	s_or_b32 s4, vcc_lo, s4
	s_and_not1_b32 exec_lo, exec_lo, s4
	s_cbranch_execz .LBB34_9
.LBB34_13:                              ;   Parent Loop BB34_10 Depth=1
                                        ; =>  This Loop Header: Depth=2
                                        ;       Child Loop BB34_15 Depth 3
                                        ;         Child Loop BB34_21 Depth 4
                                        ;         Child Loop BB34_27 Depth 4
	v_ashrrev_i32_e32 v8, 31, v7
	s_mov_b32 s5, 0
	s_delay_alu instid0(VALU_DEP_1) | instskip(SKIP_1) | instid1(VALU_DEP_2)
	v_lshlrev_b64 v[11:12], 3, v[7:8]
	v_lshlrev_b64 v[13:14], 2, v[7:8]
	v_add_co_u32 v11, vcc_lo, s18, v11
	s_delay_alu instid0(VALU_DEP_3) | instskip(NEXT) | instid1(VALU_DEP_3)
	v_add_co_ci_u32_e32 v12, vcc_lo, s19, v12, vcc_lo
	v_add_co_u32 v13, vcc_lo, s16, v13
	s_delay_alu instid0(VALU_DEP_4)
	v_add_co_ci_u32_e32 v14, vcc_lo, s17, v14, vcc_lo
	global_load_b64 v[11:12], v[11:12], off
	global_load_b32 v6, v[13:14], off
	s_waitcnt vmcnt(1)
	v_mul_f64 v[11:12], v[9:10], v[11:12]
	s_waitcnt vmcnt(0)
	v_subrev_nc_u32_e32 v6, s45, v6
	s_delay_alu instid0(VALU_DEP_1) | instskip(NEXT) | instid1(VALU_DEP_1)
	v_mul_lo_u32 v8, 0x89, v6
	v_and_b32_e32 v8, 0x3fff, v8
	s_branch .LBB34_15
.LBB34_14:                              ;   in Loop: Header=BB34_15 Depth=3
	s_or_b32 exec_lo, exec_lo, s13
	s_xor_b32 s13, s14, -1
	s_delay_alu instid0(SALU_CYCLE_1) | instskip(NEXT) | instid1(SALU_CYCLE_1)
	s_and_b32 s13, exec_lo, s13
	s_or_b32 s5, s13, s5
	s_delay_alu instid0(SALU_CYCLE_1)
	s_and_not1_b32 exec_lo, exec_lo, s5
	s_cbranch_execz .LBB34_12
.LBB34_15:                              ;   Parent Loop BB34_10 Depth=1
                                        ;     Parent Loop BB34_13 Depth=2
                                        ; =>    This Loop Header: Depth=3
                                        ;         Child Loop BB34_21 Depth 4
                                        ;         Child Loop BB34_27 Depth 4
	s_delay_alu instid0(VALU_DEP_1)
	v_lshl_add_u32 v13, v8, 2, 0
	s_mov_b32 s13, exec_lo
                                        ; implicit-def: $sgpr14
	ds_load_b32 v14, v13
	s_waitcnt lgkmcnt(0)
	v_cmpx_ne_u32_e64 v14, v6
	s_xor_b32 s13, exec_lo, s13
	s_cbranch_execz .LBB34_25
; %bb.16:                               ;   in Loop: Header=BB34_15 Depth=3
	s_mov_b32 s15, exec_lo
                                        ; implicit-def: $sgpr14
	v_cmpx_ne_u32_e64 s33, v14
	s_xor_b32 s15, exec_lo, s15
; %bb.17:                               ;   in Loop: Header=BB34_15 Depth=3
	v_add_nc_u32_e32 v8, 1, v8
	s_mov_b32 s14, -1
                                        ; implicit-def: $vgpr13
	s_delay_alu instid0(VALU_DEP_1)
	v_and_b32_e32 v8, 0x3fff, v8
; %bb.18:                               ;   in Loop: Header=BB34_15 Depth=3
	s_and_not1_saveexec_b32 s15, s15
	s_cbranch_execz .LBB34_24
; %bb.19:                               ;   in Loop: Header=BB34_15 Depth=3
	v_mov_b32_e32 v14, s33
	s_mov_b32 s21, -1
	s_mov_b32 s20, exec_lo
	ds_cmpstore_rtn_b32 v13, v13, v6, v14
	s_waitcnt lgkmcnt(0)
	v_cmpx_eq_u32_e64 s33, v13
	s_cbranch_execz .LBB34_23
; %bb.20:                               ;   in Loop: Header=BB34_15 Depth=3
	v_lshlrev_b32_e32 v13, 3, v8
	s_mov_b32 s21, 0
	s_delay_alu instid0(VALU_DEP_1)
	v_add3_u32 v20, 0, v13, 0x10000
	ds_load_b64 v[13:14], v20
.LBB34_21:                              ;   Parent Loop BB34_10 Depth=1
                                        ;     Parent Loop BB34_13 Depth=2
                                        ;       Parent Loop BB34_15 Depth=3
                                        ; =>      This Inner Loop Header: Depth=4
	s_waitcnt lgkmcnt(0)
	v_add_f64 v[21:22], v[13:14], v[11:12]
	ds_cmpstore_rtn_b64 v[21:22], v20, v[21:22], v[13:14]
	s_waitcnt lgkmcnt(0)
	v_cmp_eq_u64_e32 vcc_lo, v[21:22], v[13:14]
	v_dual_mov_b32 v13, v21 :: v_dual_mov_b32 v14, v22
	s_or_b32 s21, vcc_lo, s21
	s_delay_alu instid0(SALU_CYCLE_1)
	s_and_not1_b32 exec_lo, exec_lo, s21
	s_cbranch_execnz .LBB34_21
; %bb.22:                               ;   in Loop: Header=BB34_15 Depth=3
	s_or_b32 exec_lo, exec_lo, s21
	s_delay_alu instid0(SALU_CYCLE_1)
	s_xor_b32 s21, exec_lo, -1
.LBB34_23:                              ;   in Loop: Header=BB34_15 Depth=3
	s_or_b32 exec_lo, exec_lo, s20
	s_delay_alu instid0(SALU_CYCLE_1) | instskip(SKIP_1) | instid1(SALU_CYCLE_1)
	s_and_not1_b32 s14, s14, exec_lo
	s_and_b32 s20, s21, exec_lo
	s_or_b32 s14, s14, s20
.LBB34_24:                              ;   in Loop: Header=BB34_15 Depth=3
	s_or_b32 exec_lo, exec_lo, s15
	s_delay_alu instid0(SALU_CYCLE_1)
	s_and_b32 s14, s14, exec_lo
.LBB34_25:                              ;   in Loop: Header=BB34_15 Depth=3
	s_and_not1_saveexec_b32 s13, s13
	s_cbranch_execz .LBB34_14
; %bb.26:                               ;   in Loop: Header=BB34_15 Depth=3
	v_lshlrev_b32_e32 v13, 3, v8
	s_mov_b32 s15, 0
	s_delay_alu instid0(VALU_DEP_1)
	v_add3_u32 v20, 0, v13, 0x10000
	ds_load_b64 v[13:14], v20
.LBB34_27:                              ;   Parent Loop BB34_10 Depth=1
                                        ;     Parent Loop BB34_13 Depth=2
                                        ;       Parent Loop BB34_15 Depth=3
                                        ; =>      This Inner Loop Header: Depth=4
	s_waitcnt lgkmcnt(0)
	v_add_f64 v[21:22], v[13:14], v[11:12]
	ds_cmpstore_rtn_b64 v[21:22], v20, v[21:22], v[13:14]
	s_waitcnt lgkmcnt(0)
	v_cmp_eq_u64_e32 vcc_lo, v[21:22], v[13:14]
	v_dual_mov_b32 v13, v21 :: v_dual_mov_b32 v14, v22
	s_or_b32 s15, vcc_lo, s15
	s_delay_alu instid0(SALU_CYCLE_1)
	s_and_not1_b32 exec_lo, exec_lo, s15
	s_cbranch_execnz .LBB34_27
; %bb.28:                               ;   in Loop: Header=BB34_15 Depth=3
	s_or_b32 exec_lo, exec_lo, s15
	s_delay_alu instid0(SALU_CYCLE_1)
	s_and_not1_b32 s14, s14, exec_lo
	s_branch .LBB34_14
.LBB34_29:
	s_or_b32 exec_lo, exec_lo, s1
.LBB34_30:
	s_delay_alu instid0(SALU_CYCLE_1)
	s_and_not1_b32 vcc_lo, exec_lo, s12
	s_cbranch_vccnz .LBB34_51
; %bb.31:
	s_waitcnt lgkmcnt(0)
	s_ashr_i32 s49, s48, 31
	v_subrev_nc_u32_e32 v3, s47, v0
	s_lshl_b64 s[0:1], s[48:49], 2
	s_delay_alu instid0(SALU_CYCLE_1)
	s_add_u32 s0, s36, s0
	s_addc_u32 s1, s37, s1
	s_load_b64 s[0:1], s[0:1], 0x0
	s_waitcnt lgkmcnt(0)
	v_add_nc_u32_e32 v3, s0, v3
	s_sub_i32 s0, s1, s47
	s_mov_b32 s1, exec_lo
	s_delay_alu instid0(VALU_DEP_1)
	v_cmpx_gt_i32_e64 s0, v3
	s_cbranch_execz .LBB34_50
; %bb.32:
	s_mov_b32 s2, 0
	s_branch .LBB34_34
.LBB34_33:                              ;   in Loop: Header=BB34_34 Depth=1
	s_or_b32 exec_lo, exec_lo, s3
	v_add_nc_u32_e32 v3, 0x400, v3
	s_delay_alu instid0(VALU_DEP_1) | instskip(SKIP_1) | instid1(SALU_CYCLE_1)
	v_cmp_le_i32_e32 vcc_lo, s0, v3
	s_or_b32 s2, vcc_lo, s2
	s_and_not1_b32 exec_lo, exec_lo, s2
	s_cbranch_execz .LBB34_50
.LBB34_34:                              ; =>This Loop Header: Depth=1
                                        ;     Child Loop BB34_36 Depth 2
                                        ;       Child Loop BB34_42 Depth 3
                                        ;       Child Loop BB34_48 Depth 3
	v_ashrrev_i32_e32 v4, 31, v3
	s_mov_b32 s3, 0
	s_delay_alu instid0(VALU_DEP_1) | instskip(SKIP_1) | instid1(VALU_DEP_2)
	v_lshlrev_b64 v[5:6], 3, v[3:4]
	v_lshlrev_b64 v[7:8], 2, v[3:4]
	v_add_co_u32 v5, vcc_lo, s40, v5
	s_delay_alu instid0(VALU_DEP_3) | instskip(NEXT) | instid1(VALU_DEP_3)
	v_add_co_ci_u32_e32 v6, vcc_lo, s41, v6, vcc_lo
	v_add_co_u32 v7, vcc_lo, s38, v7
	s_delay_alu instid0(VALU_DEP_4)
	v_add_co_ci_u32_e32 v8, vcc_lo, s39, v8, vcc_lo
	global_load_b64 v[5:6], v[5:6], off
	global_load_b32 v7, v[7:8], off
	s_waitcnt vmcnt(1)
	v_mul_f64 v[4:5], v[1:2], v[5:6]
	s_waitcnt vmcnt(0)
	v_subrev_nc_u32_e32 v8, s47, v7
	s_delay_alu instid0(VALU_DEP_1) | instskip(NEXT) | instid1(VALU_DEP_1)
	v_mul_lo_u32 v6, 0x89, v8
	v_and_b32_e32 v9, 0x3fff, v6
	s_branch .LBB34_36
.LBB34_35:                              ;   in Loop: Header=BB34_36 Depth=2
	s_or_b32 exec_lo, exec_lo, s4
	s_xor_b32 s4, s5, -1
	s_delay_alu instid0(SALU_CYCLE_1) | instskip(NEXT) | instid1(SALU_CYCLE_1)
	s_and_b32 s4, exec_lo, s4
	s_or_b32 s3, s4, s3
	s_delay_alu instid0(SALU_CYCLE_1)
	s_and_not1_b32 exec_lo, exec_lo, s3
	s_cbranch_execz .LBB34_33
.LBB34_36:                              ;   Parent Loop BB34_34 Depth=1
                                        ; =>  This Loop Header: Depth=2
                                        ;       Child Loop BB34_42 Depth 3
                                        ;       Child Loop BB34_48 Depth 3
	s_delay_alu instid0(VALU_DEP_1)
	v_lshl_add_u32 v6, v9, 2, 0
	s_mov_b32 s4, exec_lo
                                        ; implicit-def: $sgpr5
	ds_load_b32 v7, v6
	s_waitcnt lgkmcnt(0)
	v_cmpx_ne_u32_e64 v7, v8
	s_xor_b32 s4, exec_lo, s4
	s_cbranch_execz .LBB34_46
; %bb.37:                               ;   in Loop: Header=BB34_36 Depth=2
	s_mov_b32 s6, exec_lo
                                        ; implicit-def: $sgpr5
	v_cmpx_ne_u32_e64 s33, v7
	s_xor_b32 s6, exec_lo, s6
; %bb.38:                               ;   in Loop: Header=BB34_36 Depth=2
	v_add_nc_u32_e32 v6, 1, v9
	s_mov_b32 s5, -1
	s_delay_alu instid0(VALU_DEP_1)
	v_and_b32_e32 v9, 0x3fff, v6
                                        ; implicit-def: $vgpr6
; %bb.39:                               ;   in Loop: Header=BB34_36 Depth=2
	s_and_not1_saveexec_b32 s6, s6
	s_cbranch_execz .LBB34_45
; %bb.40:                               ;   in Loop: Header=BB34_36 Depth=2
	v_mov_b32_e32 v7, s33
	s_mov_b32 s8, -1
	s_mov_b32 s7, exec_lo
	ds_cmpstore_rtn_b32 v6, v6, v8, v7
	s_waitcnt lgkmcnt(0)
	v_cmpx_eq_u32_e64 s33, v6
	s_cbranch_execz .LBB34_44
; %bb.41:                               ;   in Loop: Header=BB34_36 Depth=2
	v_lshlrev_b32_e32 v6, 3, v9
	s_mov_b32 s8, 0
	s_delay_alu instid0(VALU_DEP_1)
	v_add3_u32 v10, 0, v6, 0x10000
	ds_load_b64 v[6:7], v10
.LBB34_42:                              ;   Parent Loop BB34_34 Depth=1
                                        ;     Parent Loop BB34_36 Depth=2
                                        ; =>    This Inner Loop Header: Depth=3
	s_waitcnt lgkmcnt(0)
	v_add_f64 v[11:12], v[6:7], v[4:5]
	ds_cmpstore_rtn_b64 v[11:12], v10, v[11:12], v[6:7]
	s_waitcnt lgkmcnt(0)
	v_cmp_eq_u64_e32 vcc_lo, v[11:12], v[6:7]
	v_dual_mov_b32 v6, v11 :: v_dual_mov_b32 v7, v12
	s_or_b32 s8, vcc_lo, s8
	s_delay_alu instid0(SALU_CYCLE_1)
	s_and_not1_b32 exec_lo, exec_lo, s8
	s_cbranch_execnz .LBB34_42
; %bb.43:                               ;   in Loop: Header=BB34_36 Depth=2
	s_or_b32 exec_lo, exec_lo, s8
	s_delay_alu instid0(SALU_CYCLE_1)
	s_xor_b32 s8, exec_lo, -1
.LBB34_44:                              ;   in Loop: Header=BB34_36 Depth=2
	s_or_b32 exec_lo, exec_lo, s7
	s_delay_alu instid0(SALU_CYCLE_1) | instskip(SKIP_1) | instid1(SALU_CYCLE_1)
	s_and_not1_b32 s5, s5, exec_lo
	s_and_b32 s7, s8, exec_lo
	s_or_b32 s5, s5, s7
.LBB34_45:                              ;   in Loop: Header=BB34_36 Depth=2
	s_or_b32 exec_lo, exec_lo, s6
	s_delay_alu instid0(SALU_CYCLE_1)
	s_and_b32 s5, s5, exec_lo
.LBB34_46:                              ;   in Loop: Header=BB34_36 Depth=2
	s_and_not1_saveexec_b32 s4, s4
	s_cbranch_execz .LBB34_35
; %bb.47:                               ;   in Loop: Header=BB34_36 Depth=2
	v_lshlrev_b32_e32 v6, 3, v9
	s_mov_b32 s6, 0
	s_delay_alu instid0(VALU_DEP_1)
	v_add3_u32 v10, 0, v6, 0x10000
	ds_load_b64 v[6:7], v10
.LBB34_48:                              ;   Parent Loop BB34_34 Depth=1
                                        ;     Parent Loop BB34_36 Depth=2
                                        ; =>    This Inner Loop Header: Depth=3
	s_waitcnt lgkmcnt(0)
	v_add_f64 v[11:12], v[6:7], v[4:5]
	ds_cmpstore_rtn_b64 v[11:12], v10, v[11:12], v[6:7]
	s_waitcnt lgkmcnt(0)
	v_cmp_eq_u64_e32 vcc_lo, v[11:12], v[6:7]
	v_dual_mov_b32 v6, v11 :: v_dual_mov_b32 v7, v12
	s_or_b32 s6, vcc_lo, s6
	s_delay_alu instid0(SALU_CYCLE_1)
	s_and_not1_b32 exec_lo, exec_lo, s6
	s_cbranch_execnz .LBB34_48
; %bb.49:                               ;   in Loop: Header=BB34_36 Depth=2
	s_or_b32 exec_lo, exec_lo, s6
	s_delay_alu instid0(SALU_CYCLE_1)
	s_and_not1_b32 s5, s5, exec_lo
	s_branch .LBB34_35
.LBB34_50:
	s_or_b32 exec_lo, exec_lo, s1
.LBB34_51:
	v_mbcnt_lo_u32_b32 v1, -1, 0
	v_lshrrev_b32_e32 v2, 3, v0
	s_add_i32 s68, 0, 0x3007c
	v_cmp_eq_u32_e32 vcc_lo, 0x3ff, v0
	v_cmp_lt_u32_e64 s0, 31, v0
	v_xor_b32_e32 v1, 63, v1
	v_dual_mov_b32 v6, s68 :: v_dual_and_b32 v3, 0x7c, v2
	v_cmp_lt_u32_e64 s1, 63, v0
	v_cmp_lt_u32_e64 s2, 0x5f, v0
	s_delay_alu instid0(VALU_DEP_4) | instskip(NEXT) | instid1(VALU_DEP_4)
	v_lshrrev_b64 v[1:2], v1, -1
	v_add3_u32 v4, 0, 0x30000, v3
	v_cmp_lt_u32_e64 s3, 0x7f, v0
	v_cmp_lt_u32_e64 s4, 0x9f, v0
	;; [unrolled: 1-line block ×28, first 2 shown]
	v_mov_b32_e32 v5, 0
	s_mov_b32 s36, 0
	s_add_i32 s37, 0, 0x30000
	s_add_i32 s38, 0, 0x30004
	s_add_i32 s39, 0, 0x30008
	s_add_i32 s40, 0, 0x3000c
	s_add_i32 s41, 0, 0x30010
	s_add_i32 s44, 0, 0x30014
	s_add_i32 s45, 0, 0x30018
	s_add_i32 s47, 0, 0x3001c
	s_add_i32 s49, 0, 0x30020
	s_add_i32 s50, 0, 0x30024
	s_add_i32 s51, 0, 0x30028
	s_add_i32 s52, 0, 0x3002c
	s_add_i32 s53, 0, 0x30030
	s_add_i32 s54, 0, 0x30034
	s_add_i32 s55, 0, 0x30038
	s_add_i32 s56, 0, 0x3003c
	s_add_i32 s57, 0, 0x30040
	s_add_i32 s58, 0, 0x30044
	s_add_i32 s59, 0, 0x30048
	s_add_i32 s60, 0, 0x3004c
	s_add_i32 s61, 0, 0x30050
	s_add_i32 s62, 0, 0x30054
	s_add_i32 s63, 0, 0x30058
	s_add_i32 s64, 0, 0x3005c
	s_add_i32 s65, 0, 0x30060
	s_add_i32 s66, 0, 0x30064
	s_add_i32 s67, 0, 0x30068
	s_add_i32 s69, 0, 0x3006c
	s_add_i32 s70, 0, 0x30070
	s_add_i32 s71, 0, 0x30074
	s_add_i32 s72, 0, 0x30078
	s_waitcnt lgkmcnt(0)
	s_barrier
	buffer_gl0_inv
	s_branch .LBB34_53
.LBB34_52:                              ;   in Loop: Header=BB34_53 Depth=1
	s_or_b32 exec_lo, exec_lo, s31
	s_waitcnt lgkmcnt(0)
	s_barrier
	buffer_gl0_inv
	ds_load_b32 v2, v6
	v_add_nc_u32_e32 v17, 0x400, v17
	v_add_nc_u32_e32 v16, 0x2000, v16
	;; [unrolled: 1-line block ×3, first 2 shown]
	s_delay_alu instid0(VALU_DEP_3) | instskip(NEXT) | instid1(VALU_DEP_1)
	v_cmp_lt_u32_e64 s31, 0x3bff, v17
	s_or_b32 s36, s31, s36
	s_waitcnt lgkmcnt(0)
	v_add_nc_u32_e32 v5, v2, v5
	s_and_not1_b32 exec_lo, exec_lo, s36
	s_cbranch_execz .LBB34_119
.LBB34_53:                              ; =>This Inner Loop Header: Depth=1
	ds_load_b32 v7, v15
	ds_load_b64 v[2:3], v16
	s_waitcnt lgkmcnt(0)
	s_barrier
	buffer_gl0_inv
	v_cmp_gt_i32_e64 s31, s33, v7
	s_delay_alu instid0(VALU_DEP_1) | instskip(NEXT) | instid1(SALU_CYCLE_1)
	s_bcnt1_i32_b32 s73, s31
	v_dual_mov_b32 v9, s73 :: v_dual_and_b32 v8, s31, v1
	s_delay_alu instid0(VALU_DEP_1)
	v_bcnt_u32_b32 v8, v8, 0
	ds_store_b32 v4, v9
	s_waitcnt lgkmcnt(0)
	s_barrier
	buffer_gl0_inv
	s_and_saveexec_b32 s73, s0
	s_cbranch_execnz .LBB34_86
; %bb.54:                               ;   in Loop: Header=BB34_53 Depth=1
	s_or_b32 exec_lo, exec_lo, s73
	s_and_saveexec_b32 s73, s1
	s_cbranch_execnz .LBB34_87
.LBB34_55:                              ;   in Loop: Header=BB34_53 Depth=1
	s_or_b32 exec_lo, exec_lo, s73
	s_and_saveexec_b32 s73, s2
	s_cbranch_execnz .LBB34_88
.LBB34_56:                              ;   in Loop: Header=BB34_53 Depth=1
	s_or_b32 exec_lo, exec_lo, s73
	s_and_saveexec_b32 s73, s3
	s_cbranch_execnz .LBB34_89
.LBB34_57:                              ;   in Loop: Header=BB34_53 Depth=1
	s_or_b32 exec_lo, exec_lo, s73
	s_and_saveexec_b32 s73, s4
	s_cbranch_execnz .LBB34_90
.LBB34_58:                              ;   in Loop: Header=BB34_53 Depth=1
	s_or_b32 exec_lo, exec_lo, s73
	s_and_saveexec_b32 s73, s5
	s_cbranch_execnz .LBB34_91
.LBB34_59:                              ;   in Loop: Header=BB34_53 Depth=1
	s_or_b32 exec_lo, exec_lo, s73
	s_and_saveexec_b32 s73, s6
	s_cbranch_execnz .LBB34_92
.LBB34_60:                              ;   in Loop: Header=BB34_53 Depth=1
	s_or_b32 exec_lo, exec_lo, s73
	s_and_saveexec_b32 s73, s7
	s_cbranch_execnz .LBB34_93
.LBB34_61:                              ;   in Loop: Header=BB34_53 Depth=1
	s_or_b32 exec_lo, exec_lo, s73
	s_and_saveexec_b32 s73, s8
	s_cbranch_execnz .LBB34_94
.LBB34_62:                              ;   in Loop: Header=BB34_53 Depth=1
	s_or_b32 exec_lo, exec_lo, s73
	s_and_saveexec_b32 s73, s9
	s_cbranch_execnz .LBB34_95
.LBB34_63:                              ;   in Loop: Header=BB34_53 Depth=1
	s_or_b32 exec_lo, exec_lo, s73
	s_and_saveexec_b32 s73, s10
	s_cbranch_execnz .LBB34_96
.LBB34_64:                              ;   in Loop: Header=BB34_53 Depth=1
	s_or_b32 exec_lo, exec_lo, s73
	s_and_saveexec_b32 s73, s11
	s_cbranch_execnz .LBB34_97
.LBB34_65:                              ;   in Loop: Header=BB34_53 Depth=1
	s_or_b32 exec_lo, exec_lo, s73
	s_and_saveexec_b32 s73, s12
	s_cbranch_execnz .LBB34_98
.LBB34_66:                              ;   in Loop: Header=BB34_53 Depth=1
	s_or_b32 exec_lo, exec_lo, s73
	s_and_saveexec_b32 s73, s13
	s_cbranch_execnz .LBB34_99
.LBB34_67:                              ;   in Loop: Header=BB34_53 Depth=1
	s_or_b32 exec_lo, exec_lo, s73
	s_and_saveexec_b32 s73, s14
	s_cbranch_execnz .LBB34_100
.LBB34_68:                              ;   in Loop: Header=BB34_53 Depth=1
	s_or_b32 exec_lo, exec_lo, s73
	s_and_saveexec_b32 s73, s15
	s_cbranch_execnz .LBB34_101
.LBB34_69:                              ;   in Loop: Header=BB34_53 Depth=1
	s_or_b32 exec_lo, exec_lo, s73
	s_and_saveexec_b32 s73, s16
	s_cbranch_execnz .LBB34_102
.LBB34_70:                              ;   in Loop: Header=BB34_53 Depth=1
	s_or_b32 exec_lo, exec_lo, s73
	s_and_saveexec_b32 s73, s17
	s_cbranch_execnz .LBB34_103
.LBB34_71:                              ;   in Loop: Header=BB34_53 Depth=1
	s_or_b32 exec_lo, exec_lo, s73
	s_and_saveexec_b32 s73, s18
	s_cbranch_execnz .LBB34_104
.LBB34_72:                              ;   in Loop: Header=BB34_53 Depth=1
	s_or_b32 exec_lo, exec_lo, s73
	s_and_saveexec_b32 s73, s19
	s_cbranch_execnz .LBB34_105
.LBB34_73:                              ;   in Loop: Header=BB34_53 Depth=1
	s_or_b32 exec_lo, exec_lo, s73
	s_and_saveexec_b32 s73, s20
	s_cbranch_execnz .LBB34_106
.LBB34_74:                              ;   in Loop: Header=BB34_53 Depth=1
	s_or_b32 exec_lo, exec_lo, s73
	s_and_saveexec_b32 s73, s21
	s_cbranch_execnz .LBB34_107
.LBB34_75:                              ;   in Loop: Header=BB34_53 Depth=1
	s_or_b32 exec_lo, exec_lo, s73
	s_and_saveexec_b32 s73, s22
	s_cbranch_execnz .LBB34_108
.LBB34_76:                              ;   in Loop: Header=BB34_53 Depth=1
	s_or_b32 exec_lo, exec_lo, s73
	s_and_saveexec_b32 s73, s23
	s_cbranch_execnz .LBB34_109
.LBB34_77:                              ;   in Loop: Header=BB34_53 Depth=1
	s_or_b32 exec_lo, exec_lo, s73
	s_and_saveexec_b32 s73, s24
	s_cbranch_execnz .LBB34_110
.LBB34_78:                              ;   in Loop: Header=BB34_53 Depth=1
	s_or_b32 exec_lo, exec_lo, s73
	s_and_saveexec_b32 s73, s25
	s_cbranch_execnz .LBB34_111
.LBB34_79:                              ;   in Loop: Header=BB34_53 Depth=1
	s_or_b32 exec_lo, exec_lo, s73
	s_and_saveexec_b32 s73, s26
	s_cbranch_execnz .LBB34_112
.LBB34_80:                              ;   in Loop: Header=BB34_53 Depth=1
	s_or_b32 exec_lo, exec_lo, s73
	s_and_saveexec_b32 s73, s27
	s_cbranch_execnz .LBB34_113
.LBB34_81:                              ;   in Loop: Header=BB34_53 Depth=1
	s_or_b32 exec_lo, exec_lo, s73
	s_and_saveexec_b32 s73, s28
	s_cbranch_execnz .LBB34_114
.LBB34_82:                              ;   in Loop: Header=BB34_53 Depth=1
	s_or_b32 exec_lo, exec_lo, s73
	s_and_saveexec_b32 s73, s29
	s_cbranch_execnz .LBB34_115
.LBB34_83:                              ;   in Loop: Header=BB34_53 Depth=1
	s_or_b32 exec_lo, exec_lo, s73
	s_and_saveexec_b32 s73, s30
	s_cbranch_execnz .LBB34_116
.LBB34_84:                              ;   in Loop: Header=BB34_53 Depth=1
	s_or_b32 exec_lo, exec_lo, s73
	s_and_saveexec_b32 s73, s31
	s_cbranch_execnz .LBB34_117
.LBB34_85:                              ;   in Loop: Header=BB34_53 Depth=1
	s_or_b32 exec_lo, exec_lo, s73
	s_and_saveexec_b32 s31, vcc_lo
	s_cbranch_execz .LBB34_52
	s_branch .LBB34_118
.LBB34_86:                              ;   in Loop: Header=BB34_53 Depth=1
	v_mov_b32_e32 v9, s37
	ds_load_b32 v9, v9
	s_waitcnt lgkmcnt(0)
	v_add_nc_u32_e32 v8, v9, v8
	s_or_b32 exec_lo, exec_lo, s73
	s_and_saveexec_b32 s73, s1
	s_cbranch_execz .LBB34_55
.LBB34_87:                              ;   in Loop: Header=BB34_53 Depth=1
	v_mov_b32_e32 v9, s38
	ds_load_b32 v9, v9
	s_waitcnt lgkmcnt(0)
	v_add_nc_u32_e32 v8, v9, v8
	s_or_b32 exec_lo, exec_lo, s73
	s_and_saveexec_b32 s73, s2
	s_cbranch_execz .LBB34_56
.LBB34_88:                              ;   in Loop: Header=BB34_53 Depth=1
	v_mov_b32_e32 v9, s39
	ds_load_b32 v9, v9
	s_waitcnt lgkmcnt(0)
	v_add_nc_u32_e32 v8, v9, v8
	s_or_b32 exec_lo, exec_lo, s73
	s_and_saveexec_b32 s73, s3
	s_cbranch_execz .LBB34_57
.LBB34_89:                              ;   in Loop: Header=BB34_53 Depth=1
	v_mov_b32_e32 v9, s40
	ds_load_b32 v9, v9
	s_waitcnt lgkmcnt(0)
	v_add_nc_u32_e32 v8, v9, v8
	s_or_b32 exec_lo, exec_lo, s73
	s_and_saveexec_b32 s73, s4
	s_cbranch_execz .LBB34_58
.LBB34_90:                              ;   in Loop: Header=BB34_53 Depth=1
	v_mov_b32_e32 v9, s41
	ds_load_b32 v9, v9
	s_waitcnt lgkmcnt(0)
	v_add_nc_u32_e32 v8, v9, v8
	s_or_b32 exec_lo, exec_lo, s73
	s_and_saveexec_b32 s73, s5
	s_cbranch_execz .LBB34_59
.LBB34_91:                              ;   in Loop: Header=BB34_53 Depth=1
	v_mov_b32_e32 v9, s44
	ds_load_b32 v9, v9
	s_waitcnt lgkmcnt(0)
	v_add_nc_u32_e32 v8, v9, v8
	s_or_b32 exec_lo, exec_lo, s73
	s_and_saveexec_b32 s73, s6
	s_cbranch_execz .LBB34_60
.LBB34_92:                              ;   in Loop: Header=BB34_53 Depth=1
	v_mov_b32_e32 v9, s45
	ds_load_b32 v9, v9
	s_waitcnt lgkmcnt(0)
	v_add_nc_u32_e32 v8, v9, v8
	s_or_b32 exec_lo, exec_lo, s73
	s_and_saveexec_b32 s73, s7
	s_cbranch_execz .LBB34_61
.LBB34_93:                              ;   in Loop: Header=BB34_53 Depth=1
	v_mov_b32_e32 v9, s47
	ds_load_b32 v9, v9
	s_waitcnt lgkmcnt(0)
	v_add_nc_u32_e32 v8, v9, v8
	s_or_b32 exec_lo, exec_lo, s73
	s_and_saveexec_b32 s73, s8
	s_cbranch_execz .LBB34_62
.LBB34_94:                              ;   in Loop: Header=BB34_53 Depth=1
	v_mov_b32_e32 v9, s49
	ds_load_b32 v9, v9
	s_waitcnt lgkmcnt(0)
	v_add_nc_u32_e32 v8, v9, v8
	s_or_b32 exec_lo, exec_lo, s73
	s_and_saveexec_b32 s73, s9
	s_cbranch_execz .LBB34_63
.LBB34_95:                              ;   in Loop: Header=BB34_53 Depth=1
	v_mov_b32_e32 v9, s50
	ds_load_b32 v9, v9
	s_waitcnt lgkmcnt(0)
	v_add_nc_u32_e32 v8, v9, v8
	s_or_b32 exec_lo, exec_lo, s73
	s_and_saveexec_b32 s73, s10
	s_cbranch_execz .LBB34_64
.LBB34_96:                              ;   in Loop: Header=BB34_53 Depth=1
	v_mov_b32_e32 v9, s51
	ds_load_b32 v9, v9
	s_waitcnt lgkmcnt(0)
	v_add_nc_u32_e32 v8, v9, v8
	s_or_b32 exec_lo, exec_lo, s73
	s_and_saveexec_b32 s73, s11
	s_cbranch_execz .LBB34_65
.LBB34_97:                              ;   in Loop: Header=BB34_53 Depth=1
	v_mov_b32_e32 v9, s52
	ds_load_b32 v9, v9
	s_waitcnt lgkmcnt(0)
	v_add_nc_u32_e32 v8, v9, v8
	s_or_b32 exec_lo, exec_lo, s73
	s_and_saveexec_b32 s73, s12
	s_cbranch_execz .LBB34_66
.LBB34_98:                              ;   in Loop: Header=BB34_53 Depth=1
	v_mov_b32_e32 v9, s53
	ds_load_b32 v9, v9
	s_waitcnt lgkmcnt(0)
	v_add_nc_u32_e32 v8, v9, v8
	s_or_b32 exec_lo, exec_lo, s73
	s_and_saveexec_b32 s73, s13
	s_cbranch_execz .LBB34_67
.LBB34_99:                              ;   in Loop: Header=BB34_53 Depth=1
	v_mov_b32_e32 v9, s54
	ds_load_b32 v9, v9
	s_waitcnt lgkmcnt(0)
	v_add_nc_u32_e32 v8, v9, v8
	s_or_b32 exec_lo, exec_lo, s73
	s_and_saveexec_b32 s73, s14
	s_cbranch_execz .LBB34_68
.LBB34_100:                             ;   in Loop: Header=BB34_53 Depth=1
	v_mov_b32_e32 v9, s55
	ds_load_b32 v9, v9
	s_waitcnt lgkmcnt(0)
	v_add_nc_u32_e32 v8, v9, v8
	s_or_b32 exec_lo, exec_lo, s73
	s_and_saveexec_b32 s73, s15
	s_cbranch_execz .LBB34_69
.LBB34_101:                             ;   in Loop: Header=BB34_53 Depth=1
	v_mov_b32_e32 v9, s56
	ds_load_b32 v9, v9
	s_waitcnt lgkmcnt(0)
	v_add_nc_u32_e32 v8, v9, v8
	s_or_b32 exec_lo, exec_lo, s73
	s_and_saveexec_b32 s73, s16
	s_cbranch_execz .LBB34_70
.LBB34_102:                             ;   in Loop: Header=BB34_53 Depth=1
	v_mov_b32_e32 v9, s57
	ds_load_b32 v9, v9
	s_waitcnt lgkmcnt(0)
	v_add_nc_u32_e32 v8, v9, v8
	s_or_b32 exec_lo, exec_lo, s73
	s_and_saveexec_b32 s73, s17
	s_cbranch_execz .LBB34_71
.LBB34_103:                             ;   in Loop: Header=BB34_53 Depth=1
	v_mov_b32_e32 v9, s58
	ds_load_b32 v9, v9
	s_waitcnt lgkmcnt(0)
	v_add_nc_u32_e32 v8, v9, v8
	s_or_b32 exec_lo, exec_lo, s73
	s_and_saveexec_b32 s73, s18
	s_cbranch_execz .LBB34_72
.LBB34_104:                             ;   in Loop: Header=BB34_53 Depth=1
	v_mov_b32_e32 v9, s59
	ds_load_b32 v9, v9
	s_waitcnt lgkmcnt(0)
	v_add_nc_u32_e32 v8, v9, v8
	s_or_b32 exec_lo, exec_lo, s73
	s_and_saveexec_b32 s73, s19
	s_cbranch_execz .LBB34_73
.LBB34_105:                             ;   in Loop: Header=BB34_53 Depth=1
	v_mov_b32_e32 v9, s60
	ds_load_b32 v9, v9
	s_waitcnt lgkmcnt(0)
	v_add_nc_u32_e32 v8, v9, v8
	s_or_b32 exec_lo, exec_lo, s73
	s_and_saveexec_b32 s73, s20
	s_cbranch_execz .LBB34_74
.LBB34_106:                             ;   in Loop: Header=BB34_53 Depth=1
	v_mov_b32_e32 v9, s61
	ds_load_b32 v9, v9
	s_waitcnt lgkmcnt(0)
	v_add_nc_u32_e32 v8, v9, v8
	s_or_b32 exec_lo, exec_lo, s73
	s_and_saveexec_b32 s73, s21
	s_cbranch_execz .LBB34_75
.LBB34_107:                             ;   in Loop: Header=BB34_53 Depth=1
	v_mov_b32_e32 v9, s62
	ds_load_b32 v9, v9
	s_waitcnt lgkmcnt(0)
	v_add_nc_u32_e32 v8, v9, v8
	s_or_b32 exec_lo, exec_lo, s73
	s_and_saveexec_b32 s73, s22
	s_cbranch_execz .LBB34_76
.LBB34_108:                             ;   in Loop: Header=BB34_53 Depth=1
	v_mov_b32_e32 v9, s63
	ds_load_b32 v9, v9
	s_waitcnt lgkmcnt(0)
	v_add_nc_u32_e32 v8, v9, v8
	s_or_b32 exec_lo, exec_lo, s73
	s_and_saveexec_b32 s73, s23
	s_cbranch_execz .LBB34_77
.LBB34_109:                             ;   in Loop: Header=BB34_53 Depth=1
	v_mov_b32_e32 v9, s64
	ds_load_b32 v9, v9
	s_waitcnt lgkmcnt(0)
	v_add_nc_u32_e32 v8, v9, v8
	s_or_b32 exec_lo, exec_lo, s73
	s_and_saveexec_b32 s73, s24
	s_cbranch_execz .LBB34_78
.LBB34_110:                             ;   in Loop: Header=BB34_53 Depth=1
	v_mov_b32_e32 v9, s65
	ds_load_b32 v9, v9
	s_waitcnt lgkmcnt(0)
	v_add_nc_u32_e32 v8, v9, v8
	s_or_b32 exec_lo, exec_lo, s73
	s_and_saveexec_b32 s73, s25
	s_cbranch_execz .LBB34_79
.LBB34_111:                             ;   in Loop: Header=BB34_53 Depth=1
	v_mov_b32_e32 v9, s66
	ds_load_b32 v9, v9
	s_waitcnt lgkmcnt(0)
	v_add_nc_u32_e32 v8, v9, v8
	s_or_b32 exec_lo, exec_lo, s73
	s_and_saveexec_b32 s73, s26
	s_cbranch_execz .LBB34_80
.LBB34_112:                             ;   in Loop: Header=BB34_53 Depth=1
	v_mov_b32_e32 v9, s67
	ds_load_b32 v9, v9
	s_waitcnt lgkmcnt(0)
	v_add_nc_u32_e32 v8, v9, v8
	s_or_b32 exec_lo, exec_lo, s73
	s_and_saveexec_b32 s73, s27
	s_cbranch_execz .LBB34_81
.LBB34_113:                             ;   in Loop: Header=BB34_53 Depth=1
	v_mov_b32_e32 v9, s69
	ds_load_b32 v9, v9
	s_waitcnt lgkmcnt(0)
	v_add_nc_u32_e32 v8, v9, v8
	s_or_b32 exec_lo, exec_lo, s73
	s_and_saveexec_b32 s73, s28
	s_cbranch_execz .LBB34_82
.LBB34_114:                             ;   in Loop: Header=BB34_53 Depth=1
	v_mov_b32_e32 v9, s70
	ds_load_b32 v9, v9
	s_waitcnt lgkmcnt(0)
	v_add_nc_u32_e32 v8, v9, v8
	s_or_b32 exec_lo, exec_lo, s73
	s_and_saveexec_b32 s73, s29
	s_cbranch_execz .LBB34_83
.LBB34_115:                             ;   in Loop: Header=BB34_53 Depth=1
	v_mov_b32_e32 v9, s71
	ds_load_b32 v9, v9
	s_waitcnt lgkmcnt(0)
	v_add_nc_u32_e32 v8, v9, v8
	s_or_b32 exec_lo, exec_lo, s73
	s_and_saveexec_b32 s73, s30
	s_cbranch_execz .LBB34_84
.LBB34_116:                             ;   in Loop: Header=BB34_53 Depth=1
	v_mov_b32_e32 v9, s72
	ds_load_b32 v9, v9
	s_waitcnt lgkmcnt(0)
	v_add_nc_u32_e32 v8, v9, v8
	s_or_b32 exec_lo, exec_lo, s73
	s_and_saveexec_b32 s73, s31
	s_cbranch_execz .LBB34_85
.LBB34_117:                             ;   in Loop: Header=BB34_53 Depth=1
	s_delay_alu instid0(VALU_DEP_1) | instskip(NEXT) | instid1(VALU_DEP_1)
	v_add3_u32 v9, v5, -1, v8
	v_lshlrev_b32_e32 v10, 3, v9
	v_lshl_add_u32 v9, v9, 2, 0
	s_delay_alu instid0(VALU_DEP_2)
	v_add3_u32 v10, 0, v10, 0x10000
	ds_store_b32 v9, v7
	ds_store_b64 v10, v[2:3]
	s_or_b32 exec_lo, exec_lo, s73
	s_and_saveexec_b32 s31, vcc_lo
	s_cbranch_execz .LBB34_52
.LBB34_118:                             ;   in Loop: Header=BB34_53 Depth=1
	v_mov_b32_e32 v2, s68
	ds_store_b32 v2, v8
	s_branch .LBB34_52
.LBB34_119:
	s_or_b32 exec_lo, exec_lo, s36
	s_ashr_i32 s49, s48, 31
	s_mov_b32 s3, exec_lo
	s_lshl_b64 s[0:1], s[48:49], 2
	s_delay_alu instid0(SALU_CYCLE_1) | instskip(SKIP_4) | instid1(SALU_CYCLE_1)
	s_add_u32 s0, s42, s0
	s_addc_u32 s1, s43, s1
	s_load_b64 s[0:1], s[0:1], 0x0
	s_waitcnt lgkmcnt(0)
	s_sub_i32 s2, s1, s0
	v_cmpx_gt_i32_e64 s2, v0
	s_cbranch_execz .LBB34_129
; %bb.120:
	s_sub_i32 s3, s0, s46
	s_sub_i32 s0, s0, s1
	s_and_b32 s1, s2, 7
	s_cmp_lt_u32 s0, -7
	s_mov_b32 s7, 0
	s_cselect_b32 s4, -1, 0
	s_and_b32 s5, s2, -8
	s_cmp_lg_u32 s1, 0
	s_cselect_b32 s6, -1, 0
	s_branch .LBB34_122
.LBB34_121:                             ;   in Loop: Header=BB34_122 Depth=1
	s_waitcnt lgkmcnt(1)
	s_delay_alu instid0(VALU_DEP_1) | instskip(SKIP_1) | instid1(VALU_DEP_2)
	v_ashrrev_i32_e32 v4, 31, v3
	v_add_nc_u32_e32 v0, 0x400, v0
	v_lshlrev_b64 v[3:4], 3, v[3:4]
	s_delay_alu instid0(VALU_DEP_2) | instskip(SKIP_1) | instid1(VALU_DEP_2)
	v_cmp_le_i32_e32 vcc_lo, s2, v0
	s_or_b32 s7, vcc_lo, s7
	v_add_co_u32 v3, s0, s34, v3
	s_delay_alu instid0(VALU_DEP_1)
	v_add_co_ci_u32_e64 v4, s0, s35, v4, s0
	s_waitcnt lgkmcnt(0)
	global_store_b64 v[3:4], v[1:2], off
	s_and_not1_b32 exec_lo, exec_lo, s7
	s_cbranch_execz .LBB34_129
.LBB34_122:                             ; =>This Loop Header: Depth=1
                                        ;     Child Loop BB34_124 Depth 2
                                        ;     Child Loop BB34_128 Depth 2
	v_lshlrev_b32_e32 v1, 3, v0
	v_lshl_add_u32 v2, v0, 2, 0
	v_mov_b32_e32 v3, s3
	s_and_not1_b32 vcc_lo, exec_lo, s4
	s_mov_b32 s0, 0
	v_add3_u32 v1, 0, v1, 0x10000
	ds_load_b32 v4, v2
	ds_load_b64 v[1:2], v1
	s_cbranch_vccnz .LBB34_126
; %bb.123:                              ;   in Loop: Header=BB34_122 Depth=1
	v_mov_b32_e32 v3, s3
	s_mov_b32 s8, 0
	s_set_inst_prefetch_distance 0x1
	.p2align	6
.LBB34_124:                             ;   Parent Loop BB34_122 Depth=1
                                        ; =>  This Inner Loop Header: Depth=2
	v_mov_b32_e32 v11, s8
	s_add_i32 s0, s0, 8
	s_add_i32 s8, s8, 32
	s_cmp_eq_u32 s5, s0
	ds_load_2addr_b32 v[5:6], v11 offset1:1
	ds_load_2addr_b32 v[7:8], v11 offset0:2 offset1:3
	ds_load_2addr_b32 v[9:10], v11 offset0:4 offset1:5
	;; [unrolled: 1-line block ×3, first 2 shown]
	s_waitcnt lgkmcnt(3)
	v_cmp_gt_i32_e32 vcc_lo, v4, v5
	v_cndmask_b32_e64 v5, 0, 1, vcc_lo
	s_waitcnt lgkmcnt(2)
	v_cmp_gt_i32_e32 vcc_lo, v4, v7
	v_cndmask_b32_e64 v7, 0, 1, vcc_lo
	v_cmp_gt_i32_e32 vcc_lo, v4, v6
	v_add_co_ci_u32_e32 v3, vcc_lo, v3, v5, vcc_lo
	s_waitcnt lgkmcnt(1)
	v_cmp_gt_i32_e32 vcc_lo, v4, v9
	v_cndmask_b32_e64 v5, 0, 1, vcc_lo
	v_cmp_gt_i32_e32 vcc_lo, v4, v8
	v_add_co_ci_u32_e32 v3, vcc_lo, v3, v7, vcc_lo
	;; [unrolled: 5-line block ×3, first 2 shown]
	v_cmp_gt_i32_e32 vcc_lo, v4, v12
	s_delay_alu instid0(VALU_DEP_2)
	v_add_co_ci_u32_e32 v3, vcc_lo, v3, v6, vcc_lo
	s_cbranch_scc0 .LBB34_124
; %bb.125:                              ;   in Loop: Header=BB34_122 Depth=1
	s_set_inst_prefetch_distance 0x2
	s_mov_b32 s0, s5
.LBB34_126:                             ;   in Loop: Header=BB34_122 Depth=1
	s_and_not1_b32 vcc_lo, exec_lo, s6
	s_cbranch_vccnz .LBB34_121
; %bb.127:                              ;   in Loop: Header=BB34_122 Depth=1
	s_lshl_b32 s0, s0, 2
	s_mov_b32 s8, s1
	s_add_i32 s0, s0, 0
.LBB34_128:                             ;   Parent Loop BB34_122 Depth=1
                                        ; =>  This Inner Loop Header: Depth=2
	s_delay_alu instid0(SALU_CYCLE_1)
	v_mov_b32_e32 v5, s0
	s_add_i32 s8, s8, -1
	s_add_i32 s0, s0, 4
	s_cmp_lg_u32 s8, 0
	ds_load_b32 v5, v5
	s_waitcnt lgkmcnt(0)
	v_cmp_gt_i32_e32 vcc_lo, v4, v5
	v_add_co_ci_u32_e32 v3, vcc_lo, 0, v3, vcc_lo
	s_cbranch_scc1 .LBB34_128
	s_branch .LBB34_121
.LBB34_129:
	s_nop 0
	s_sendmsg sendmsg(MSG_DEALLOC_VGPRS)
	s_endpgm
	.section	.rodata,"a",@progbits
	.p2align	6, 0x0
	.amdhsa_kernel _ZN9rocsparseL41csrgemm_numeric_fill_block_per_row_kernelILj1024ELj64ELj16384ELj137ELj32EiidEEvT5_PKS1_S3_NS_24const_host_device_scalarIT6_EEPKT4_S3_PKS5_S9_S3_SB_S6_S9_S3_SB_S9_S3_PS5_21rocsparse_index_base_SD_SD_SD_bbb
		.amdhsa_group_segment_fixed_size 0
		.amdhsa_private_segment_fixed_size 0
		.amdhsa_kernarg_size 156
		.amdhsa_user_sgpr_count 15
		.amdhsa_user_sgpr_dispatch_ptr 0
		.amdhsa_user_sgpr_queue_ptr 0
		.amdhsa_user_sgpr_kernarg_segment_ptr 1
		.amdhsa_user_sgpr_dispatch_id 0
		.amdhsa_user_sgpr_private_segment_size 0
		.amdhsa_wavefront_size32 1
		.amdhsa_uses_dynamic_stack 0
		.amdhsa_enable_private_segment 0
		.amdhsa_system_sgpr_workgroup_id_x 1
		.amdhsa_system_sgpr_workgroup_id_y 0
		.amdhsa_system_sgpr_workgroup_id_z 0
		.amdhsa_system_sgpr_workgroup_info 0
		.amdhsa_system_vgpr_workitem_id 0
		.amdhsa_next_free_vgpr 23
		.amdhsa_next_free_sgpr 74
		.amdhsa_reserve_vcc 1
		.amdhsa_float_round_mode_32 0
		.amdhsa_float_round_mode_16_64 0
		.amdhsa_float_denorm_mode_32 3
		.amdhsa_float_denorm_mode_16_64 3
		.amdhsa_dx10_clamp 1
		.amdhsa_ieee_mode 1
		.amdhsa_fp16_overflow 0
		.amdhsa_workgroup_processor_mode 1
		.amdhsa_memory_ordered 1
		.amdhsa_forward_progress 0
		.amdhsa_shared_vgpr_count 0
		.amdhsa_exception_fp_ieee_invalid_op 0
		.amdhsa_exception_fp_denorm_src 0
		.amdhsa_exception_fp_ieee_div_zero 0
		.amdhsa_exception_fp_ieee_overflow 0
		.amdhsa_exception_fp_ieee_underflow 0
		.amdhsa_exception_fp_ieee_inexact 0
		.amdhsa_exception_int_div_zero 0
	.end_amdhsa_kernel
	.section	.text._ZN9rocsparseL41csrgemm_numeric_fill_block_per_row_kernelILj1024ELj64ELj16384ELj137ELj32EiidEEvT5_PKS1_S3_NS_24const_host_device_scalarIT6_EEPKT4_S3_PKS5_S9_S3_SB_S6_S9_S3_SB_S9_S3_PS5_21rocsparse_index_base_SD_SD_SD_bbb,"axG",@progbits,_ZN9rocsparseL41csrgemm_numeric_fill_block_per_row_kernelILj1024ELj64ELj16384ELj137ELj32EiidEEvT5_PKS1_S3_NS_24const_host_device_scalarIT6_EEPKT4_S3_PKS5_S9_S3_SB_S6_S9_S3_SB_S9_S3_PS5_21rocsparse_index_base_SD_SD_SD_bbb,comdat
.Lfunc_end34:
	.size	_ZN9rocsparseL41csrgemm_numeric_fill_block_per_row_kernelILj1024ELj64ELj16384ELj137ELj32EiidEEvT5_PKS1_S3_NS_24const_host_device_scalarIT6_EEPKT4_S3_PKS5_S9_S3_SB_S6_S9_S3_SB_S9_S3_PS5_21rocsparse_index_base_SD_SD_SD_bbb, .Lfunc_end34-_ZN9rocsparseL41csrgemm_numeric_fill_block_per_row_kernelILj1024ELj64ELj16384ELj137ELj32EiidEEvT5_PKS1_S3_NS_24const_host_device_scalarIT6_EEPKT4_S3_PKS5_S9_S3_SB_S6_S9_S3_SB_S9_S3_PS5_21rocsparse_index_base_SD_SD_SD_bbb
                                        ; -- End function
	.section	.AMDGPU.csdata,"",@progbits
; Kernel info:
; codeLenInByte = 4772
; NumSgprs: 76
; NumVgprs: 23
; ScratchSize: 0
; MemoryBound: 0
; FloatMode: 240
; IeeeMode: 1
; LDSByteSize: 0 bytes/workgroup (compile time only)
; SGPRBlocks: 9
; VGPRBlocks: 2
; NumSGPRsForWavesPerEU: 76
; NumVGPRsForWavesPerEU: 23
; Occupancy: 16
; WaveLimiterHint : 1
; COMPUTE_PGM_RSRC2:SCRATCH_EN: 0
; COMPUTE_PGM_RSRC2:USER_SGPR: 15
; COMPUTE_PGM_RSRC2:TRAP_HANDLER: 0
; COMPUTE_PGM_RSRC2:TGID_X_EN: 1
; COMPUTE_PGM_RSRC2:TGID_Y_EN: 0
; COMPUTE_PGM_RSRC2:TGID_Z_EN: 0
; COMPUTE_PGM_RSRC2:TIDIG_COMP_CNT: 0
	.section	.text._ZN9rocsparseL41csrgemm_numeric_fill_block_per_row_kernelILj1024ELj64ELj16384ELj137ELj64EiidEEvT5_PKS1_S3_NS_24const_host_device_scalarIT6_EEPKT4_S3_PKS5_S9_S3_SB_S6_S9_S3_SB_S9_S3_PS5_21rocsparse_index_base_SD_SD_SD_bbb,"axG",@progbits,_ZN9rocsparseL41csrgemm_numeric_fill_block_per_row_kernelILj1024ELj64ELj16384ELj137ELj64EiidEEvT5_PKS1_S3_NS_24const_host_device_scalarIT6_EEPKT4_S3_PKS5_S9_S3_SB_S6_S9_S3_SB_S9_S3_PS5_21rocsparse_index_base_SD_SD_SD_bbb,comdat
	.globl	_ZN9rocsparseL41csrgemm_numeric_fill_block_per_row_kernelILj1024ELj64ELj16384ELj137ELj64EiidEEvT5_PKS1_S3_NS_24const_host_device_scalarIT6_EEPKT4_S3_PKS5_S9_S3_SB_S6_S9_S3_SB_S9_S3_PS5_21rocsparse_index_base_SD_SD_SD_bbb ; -- Begin function _ZN9rocsparseL41csrgemm_numeric_fill_block_per_row_kernelILj1024ELj64ELj16384ELj137ELj64EiidEEvT5_PKS1_S3_NS_24const_host_device_scalarIT6_EEPKT4_S3_PKS5_S9_S3_SB_S6_S9_S3_SB_S9_S3_PS5_21rocsparse_index_base_SD_SD_SD_bbb
	.p2align	8
	.type	_ZN9rocsparseL41csrgemm_numeric_fill_block_per_row_kernelILj1024ELj64ELj16384ELj137ELj64EiidEEvT5_PKS1_S3_NS_24const_host_device_scalarIT6_EEPKT4_S3_PKS5_S9_S3_SB_S6_S9_S3_SB_S9_S3_PS5_21rocsparse_index_base_SD_SD_SD_bbb,@function
_ZN9rocsparseL41csrgemm_numeric_fill_block_per_row_kernelILj1024ELj64ELj16384ELj137ELj64EiidEEvT5_PKS1_S3_NS_24const_host_device_scalarIT6_EEPKT4_S3_PKS5_S9_S3_SB_S6_S9_S3_SB_S9_S3_PS5_21rocsparse_index_base_SD_SD_SD_bbb: ; @_ZN9rocsparseL41csrgemm_numeric_fill_block_per_row_kernelILj1024ELj64ELj16384ELj137ELj64EiidEEvT5_PKS1_S3_NS_24const_host_device_scalarIT6_EEPKT4_S3_PKS5_S9_S3_SB_S6_S9_S3_SB_S9_S3_PS5_21rocsparse_index_base_SD_SD_SD_bbb
; %bb.0:
	s_clause 0x3
	s_load_b32 s12, s[0:1], 0x98
	s_load_b64 s[4:5], s[0:1], 0x18
	s_load_b128 s[24:27], s[0:1], 0x88
	s_load_b64 s[2:3], s[0:1], 0x50
	s_waitcnt lgkmcnt(0)
	s_and_b32 s6, 1, s12
	s_bitcmp1_b32 s12, 16
	s_cselect_b32 s14, -1, 0
	s_cmp_eq_u32 s6, 1
	s_cselect_b32 s13, -1, 0
	s_delay_alu instid0(SALU_CYCLE_1)
	s_and_b32 s6, s13, exec_lo
	s_cselect_b32 s7, s5, 0
	s_cselect_b32 s6, s4, 0
	s_xor_b32 s8, s13, -1
	v_dual_mov_b32 v3, s6 :: v_dual_mov_b32 v4, s7
	s_or_b32 s8, s8, s14
	s_delay_alu instid0(SALU_CYCLE_1)
	s_and_b32 vcc_lo, exec_lo, s8
	s_cbranch_vccnz .LBB35_2
; %bb.1:
	v_dual_mov_b32 v1, s4 :: v_dual_mov_b32 v2, s5
	flat_load_b64 v[3:4], v[1:2]
.LBB35_2:
	s_clause 0x4
	s_load_b64 s[34:35], s[0:1], 0x80
	s_load_b256 s[16:23], s[0:1], 0x58
	s_load_b128 s[28:31], s[0:1], 0x40
	s_load_b128 s[36:39], s[0:1], 0x8
	s_load_b256 s[4:11], s[0:1], 0x20
	s_bitcmp1_b32 s12, 8
	s_cselect_b32 s12, -1, 0
	s_delay_alu instid0(SALU_CYCLE_1)
	s_and_b32 s33, s12, exec_lo
	s_cselect_b32 s41, s3, 0
	s_cselect_b32 s40, s2, 0
	s_xor_b32 s33, s12, -1
	v_dual_mov_b32 v1, s40 :: v_dual_mov_b32 v2, s41
	s_or_b32 s14, s33, s14
	s_delay_alu instid0(SALU_CYCLE_1)
	s_and_b32 vcc_lo, exec_lo, s14
	s_cbranch_vccnz .LBB35_4
; %bb.3:
	v_dual_mov_b32 v1, s2 :: v_dual_mov_b32 v2, s3
	flat_load_b64 v[1:2], v[1:2]
.LBB35_4:
	s_load_b32 s33, s[0:1], 0x0
	v_dual_mov_b32 v5, 0 :: v_dual_lshlrev_b32 v6, 3, v0
	v_lshl_add_u32 v15, v0, 2, 0
	v_or_b32_e32 v17, 0xfffffc00, v0
	s_mov_b32 s0, 0
	s_delay_alu instid0(VALU_DEP_3) | instskip(NEXT) | instid1(VALU_DEP_3)
	v_add3_u32 v16, v6, 0, 0x10000
	v_dual_mov_b32 v6, v5 :: v_dual_mov_b32 v7, v15
	s_delay_alu instid0(VALU_DEP_3) | instskip(SKIP_1) | instid1(VALU_DEP_3)
	v_mov_b32_e32 v10, v17
	s_waitcnt lgkmcnt(0)
	v_dual_mov_b32 v8, v16 :: v_dual_mov_b32 v9, s33
.LBB35_5:                               ; =>This Inner Loop Header: Depth=1
	s_delay_alu instid0(VALU_DEP_2)
	v_add_nc_u32_e32 v10, 0x400, v10
	ds_store_b32 v7, v9
	ds_store_b64 v8, v[5:6]
	v_add_nc_u32_e32 v8, 0x2000, v8
	v_add_nc_u32_e32 v7, 0x1000, v7
	v_cmp_lt_u32_e32 vcc_lo, 0x3bff, v10
	s_or_b32 s0, vcc_lo, s0
	s_delay_alu instid0(SALU_CYCLE_1)
	s_and_not1_b32 exec_lo, exec_lo, s0
	s_cbranch_execnz .LBB35_5
; %bb.6:
	s_or_b32 exec_lo, exec_lo, s0
	s_waitcnt vmcnt(0) lgkmcnt(0)
	s_barrier
	buffer_gl0_inv
	s_load_b32 s0, s[36:37], 0x0
	s_mov_b32 s1, 0
	v_lshrrev_b32_e32 v18, 6, v0
	s_waitcnt lgkmcnt(0)
	s_add_i32 s0, s0, s15
	s_delay_alu instid0(SALU_CYCLE_1) | instskip(NEXT) | instid1(SALU_CYCLE_1)
	s_lshl_b64 s[0:1], s[0:1], 2
	s_add_u32 s0, s38, s0
	s_addc_u32 s1, s39, s1
	s_and_b32 vcc_lo, exec_lo, s13
	s_load_b32 s36, s[0:1], 0x0
	s_cbranch_vccz .LBB35_30
; %bb.7:
	s_waitcnt lgkmcnt(0)
	s_ashr_i32 s37, s36, 31
	v_subrev_nc_u32_e32 v5, s24, v18
	s_lshl_b64 s[0:1], s[36:37], 2
	s_delay_alu instid0(SALU_CYCLE_1)
	s_add_u32 s0, s4, s0
	s_addc_u32 s1, s5, s1
	s_load_b64 s[0:1], s[0:1], 0x0
	s_waitcnt lgkmcnt(0)
	v_add_nc_u32_e32 v5, s0, v5
	s_sub_i32 s0, s1, s24
	s_mov_b32 s1, exec_lo
	s_delay_alu instid0(VALU_DEP_1)
	v_cmpx_gt_i32_e64 s0, v5
	s_cbranch_execz .LBB35_29
; %bb.8:
	v_and_b32_e32 v6, 63, v0
	s_mov_b32 s2, 0
	s_delay_alu instid0(VALU_DEP_1)
	v_subrev_nc_u32_e32 v19, s25, v6
	s_branch .LBB35_10
.LBB35_9:                               ;   in Loop: Header=BB35_10 Depth=1
	s_or_b32 exec_lo, exec_lo, s3
	v_add_nc_u32_e32 v5, 16, v5
	s_delay_alu instid0(VALU_DEP_1) | instskip(SKIP_1) | instid1(SALU_CYCLE_1)
	v_cmp_le_i32_e32 vcc_lo, s0, v5
	s_or_b32 s2, vcc_lo, s2
	s_and_not1_b32 exec_lo, exec_lo, s2
	s_cbranch_execz .LBB35_29
.LBB35_10:                              ; =>This Loop Header: Depth=1
                                        ;     Child Loop BB35_13 Depth 2
                                        ;       Child Loop BB35_15 Depth 3
                                        ;         Child Loop BB35_21 Depth 4
                                        ;         Child Loop BB35_27 Depth 4
	v_ashrrev_i32_e32 v6, 31, v5
	s_mov_b32 s3, exec_lo
	s_delay_alu instid0(VALU_DEP_1) | instskip(NEXT) | instid1(VALU_DEP_1)
	v_lshlrev_b64 v[7:8], 2, v[5:6]
	v_add_co_u32 v7, vcc_lo, s6, v7
	s_delay_alu instid0(VALU_DEP_2) | instskip(SKIP_3) | instid1(VALU_DEP_1)
	v_add_co_ci_u32_e32 v8, vcc_lo, s7, v8, vcc_lo
	global_load_b32 v7, v[7:8], off
	s_waitcnt vmcnt(0)
	v_subrev_nc_u32_e32 v7, s24, v7
	v_ashrrev_i32_e32 v8, 31, v7
	s_delay_alu instid0(VALU_DEP_1) | instskip(NEXT) | instid1(VALU_DEP_1)
	v_lshlrev_b64 v[7:8], 2, v[7:8]
	v_add_co_u32 v7, vcc_lo, s10, v7
	s_delay_alu instid0(VALU_DEP_2) | instskip(SKIP_4) | instid1(VALU_DEP_1)
	v_add_co_ci_u32_e32 v8, vcc_lo, s11, v8, vcc_lo
	global_load_b64 v[7:8], v[7:8], off
	s_waitcnt vmcnt(0)
	v_subrev_nc_u32_e32 v20, s25, v8
	v_add_nc_u32_e32 v7, v7, v19
	v_cmpx_lt_i32_e64 v7, v20
	s_cbranch_execz .LBB35_9
; %bb.11:                               ;   in Loop: Header=BB35_10 Depth=1
	v_lshlrev_b64 v[8:9], 3, v[5:6]
	s_mov_b32 s4, 0
	s_delay_alu instid0(VALU_DEP_1) | instskip(NEXT) | instid1(VALU_DEP_2)
	v_add_co_u32 v8, vcc_lo, s8, v8
	v_add_co_ci_u32_e32 v9, vcc_lo, s9, v9, vcc_lo
	global_load_b64 v[8:9], v[8:9], off
	s_waitcnt vmcnt(0)
	v_mul_f64 v[9:10], v[3:4], v[8:9]
	s_branch .LBB35_13
.LBB35_12:                              ;   in Loop: Header=BB35_13 Depth=2
	s_or_b32 exec_lo, exec_lo, s5
	v_add_nc_u32_e32 v7, 64, v7
	s_delay_alu instid0(VALU_DEP_1) | instskip(SKIP_1) | instid1(SALU_CYCLE_1)
	v_cmp_ge_i32_e32 vcc_lo, v7, v20
	s_or_b32 s4, vcc_lo, s4
	s_and_not1_b32 exec_lo, exec_lo, s4
	s_cbranch_execz .LBB35_9
.LBB35_13:                              ;   Parent Loop BB35_10 Depth=1
                                        ; =>  This Loop Header: Depth=2
                                        ;       Child Loop BB35_15 Depth 3
                                        ;         Child Loop BB35_21 Depth 4
                                        ;         Child Loop BB35_27 Depth 4
	v_ashrrev_i32_e32 v8, 31, v7
	s_mov_b32 s5, 0
	s_delay_alu instid0(VALU_DEP_1) | instskip(SKIP_1) | instid1(VALU_DEP_2)
	v_lshlrev_b64 v[11:12], 3, v[7:8]
	v_lshlrev_b64 v[13:14], 2, v[7:8]
	v_add_co_u32 v11, vcc_lo, s30, v11
	s_delay_alu instid0(VALU_DEP_3) | instskip(NEXT) | instid1(VALU_DEP_3)
	v_add_co_ci_u32_e32 v12, vcc_lo, s31, v12, vcc_lo
	v_add_co_u32 v13, vcc_lo, s28, v13
	s_delay_alu instid0(VALU_DEP_4)
	v_add_co_ci_u32_e32 v14, vcc_lo, s29, v14, vcc_lo
	global_load_b64 v[11:12], v[11:12], off
	global_load_b32 v6, v[13:14], off
	s_waitcnt vmcnt(1)
	v_mul_f64 v[11:12], v[9:10], v[11:12]
	s_waitcnt vmcnt(0)
	v_subrev_nc_u32_e32 v6, s25, v6
	s_delay_alu instid0(VALU_DEP_1) | instskip(NEXT) | instid1(VALU_DEP_1)
	v_mul_lo_u32 v8, 0x89, v6
	v_and_b32_e32 v8, 0x3fff, v8
	s_branch .LBB35_15
.LBB35_14:                              ;   in Loop: Header=BB35_15 Depth=3
	s_or_b32 exec_lo, exec_lo, s13
	s_xor_b32 s13, s14, -1
	s_delay_alu instid0(SALU_CYCLE_1) | instskip(NEXT) | instid1(SALU_CYCLE_1)
	s_and_b32 s13, exec_lo, s13
	s_or_b32 s5, s13, s5
	s_delay_alu instid0(SALU_CYCLE_1)
	s_and_not1_b32 exec_lo, exec_lo, s5
	s_cbranch_execz .LBB35_12
.LBB35_15:                              ;   Parent Loop BB35_10 Depth=1
                                        ;     Parent Loop BB35_13 Depth=2
                                        ; =>    This Loop Header: Depth=3
                                        ;         Child Loop BB35_21 Depth 4
                                        ;         Child Loop BB35_27 Depth 4
	s_delay_alu instid0(VALU_DEP_1)
	v_lshl_add_u32 v13, v8, 2, 0
	s_mov_b32 s13, exec_lo
                                        ; implicit-def: $sgpr14
	ds_load_b32 v14, v13
	s_waitcnt lgkmcnt(0)
	v_cmpx_ne_u32_e64 v14, v6
	s_xor_b32 s13, exec_lo, s13
	s_cbranch_execz .LBB35_25
; %bb.16:                               ;   in Loop: Header=BB35_15 Depth=3
	s_mov_b32 s15, exec_lo
                                        ; implicit-def: $sgpr14
	v_cmpx_ne_u32_e64 s33, v14
	s_xor_b32 s15, exec_lo, s15
; %bb.17:                               ;   in Loop: Header=BB35_15 Depth=3
	v_add_nc_u32_e32 v8, 1, v8
	s_mov_b32 s14, -1
                                        ; implicit-def: $vgpr13
	s_delay_alu instid0(VALU_DEP_1)
	v_and_b32_e32 v8, 0x3fff, v8
; %bb.18:                               ;   in Loop: Header=BB35_15 Depth=3
	s_and_not1_saveexec_b32 s15, s15
	s_cbranch_execz .LBB35_24
; %bb.19:                               ;   in Loop: Header=BB35_15 Depth=3
	v_mov_b32_e32 v14, s33
	s_mov_b32 s38, -1
	s_mov_b32 s37, exec_lo
	ds_cmpstore_rtn_b32 v13, v13, v6, v14
	s_waitcnt lgkmcnt(0)
	v_cmpx_eq_u32_e64 s33, v13
	s_cbranch_execz .LBB35_23
; %bb.20:                               ;   in Loop: Header=BB35_15 Depth=3
	v_lshlrev_b32_e32 v13, 3, v8
	s_mov_b32 s38, 0
	s_delay_alu instid0(VALU_DEP_1)
	v_add3_u32 v21, 0, v13, 0x10000
	ds_load_b64 v[13:14], v21
.LBB35_21:                              ;   Parent Loop BB35_10 Depth=1
                                        ;     Parent Loop BB35_13 Depth=2
                                        ;       Parent Loop BB35_15 Depth=3
                                        ; =>      This Inner Loop Header: Depth=4
	s_waitcnt lgkmcnt(0)
	v_add_f64 v[22:23], v[13:14], v[11:12]
	ds_cmpstore_rtn_b64 v[22:23], v21, v[22:23], v[13:14]
	s_waitcnt lgkmcnt(0)
	v_cmp_eq_u64_e32 vcc_lo, v[22:23], v[13:14]
	v_dual_mov_b32 v13, v22 :: v_dual_mov_b32 v14, v23
	s_or_b32 s38, vcc_lo, s38
	s_delay_alu instid0(SALU_CYCLE_1)
	s_and_not1_b32 exec_lo, exec_lo, s38
	s_cbranch_execnz .LBB35_21
; %bb.22:                               ;   in Loop: Header=BB35_15 Depth=3
	s_or_b32 exec_lo, exec_lo, s38
	s_delay_alu instid0(SALU_CYCLE_1)
	s_xor_b32 s38, exec_lo, -1
.LBB35_23:                              ;   in Loop: Header=BB35_15 Depth=3
	s_or_b32 exec_lo, exec_lo, s37
	s_delay_alu instid0(SALU_CYCLE_1) | instskip(SKIP_1) | instid1(SALU_CYCLE_1)
	s_and_not1_b32 s14, s14, exec_lo
	s_and_b32 s37, s38, exec_lo
	s_or_b32 s14, s14, s37
.LBB35_24:                              ;   in Loop: Header=BB35_15 Depth=3
	s_or_b32 exec_lo, exec_lo, s15
	s_delay_alu instid0(SALU_CYCLE_1)
	s_and_b32 s14, s14, exec_lo
.LBB35_25:                              ;   in Loop: Header=BB35_15 Depth=3
	s_and_not1_saveexec_b32 s13, s13
	s_cbranch_execz .LBB35_14
; %bb.26:                               ;   in Loop: Header=BB35_15 Depth=3
	v_lshlrev_b32_e32 v13, 3, v8
	s_mov_b32 s15, 0
	s_delay_alu instid0(VALU_DEP_1)
	v_add3_u32 v21, 0, v13, 0x10000
	ds_load_b64 v[13:14], v21
.LBB35_27:                              ;   Parent Loop BB35_10 Depth=1
                                        ;     Parent Loop BB35_13 Depth=2
                                        ;       Parent Loop BB35_15 Depth=3
                                        ; =>      This Inner Loop Header: Depth=4
	s_waitcnt lgkmcnt(0)
	v_add_f64 v[22:23], v[13:14], v[11:12]
	ds_cmpstore_rtn_b64 v[22:23], v21, v[22:23], v[13:14]
	s_waitcnt lgkmcnt(0)
	v_cmp_eq_u64_e32 vcc_lo, v[22:23], v[13:14]
	v_dual_mov_b32 v13, v22 :: v_dual_mov_b32 v14, v23
	s_or_b32 s15, vcc_lo, s15
	s_delay_alu instid0(SALU_CYCLE_1)
	s_and_not1_b32 exec_lo, exec_lo, s15
	s_cbranch_execnz .LBB35_27
; %bb.28:                               ;   in Loop: Header=BB35_15 Depth=3
	s_or_b32 exec_lo, exec_lo, s15
	s_delay_alu instid0(SALU_CYCLE_1)
	s_and_not1_b32 s14, s14, exec_lo
	s_branch .LBB35_14
.LBB35_29:
	s_or_b32 exec_lo, exec_lo, s1
.LBB35_30:
	s_delay_alu instid0(SALU_CYCLE_1)
	s_and_not1_b32 vcc_lo, exec_lo, s12
	s_cbranch_vccnz .LBB35_51
; %bb.31:
	s_waitcnt lgkmcnt(0)
	s_ashr_i32 s37, s36, 31
	v_subrev_nc_u32_e32 v3, s27, v0
	s_lshl_b64 s[0:1], s[36:37], 2
	s_delay_alu instid0(SALU_CYCLE_1)
	s_add_u32 s0, s16, s0
	s_addc_u32 s1, s17, s1
	s_load_b64 s[0:1], s[0:1], 0x0
	s_waitcnt lgkmcnt(0)
	v_add_nc_u32_e32 v3, s0, v3
	s_sub_i32 s0, s1, s27
	s_mov_b32 s1, exec_lo
	s_delay_alu instid0(VALU_DEP_1)
	v_cmpx_gt_i32_e64 s0, v3
	s_cbranch_execz .LBB35_50
; %bb.32:
	s_mov_b32 s2, 0
	s_branch .LBB35_34
.LBB35_33:                              ;   in Loop: Header=BB35_34 Depth=1
	s_or_b32 exec_lo, exec_lo, s3
	v_add_nc_u32_e32 v3, 0x400, v3
	s_delay_alu instid0(VALU_DEP_1) | instskip(SKIP_1) | instid1(SALU_CYCLE_1)
	v_cmp_le_i32_e32 vcc_lo, s0, v3
	s_or_b32 s2, vcc_lo, s2
	s_and_not1_b32 exec_lo, exec_lo, s2
	s_cbranch_execz .LBB35_50
.LBB35_34:                              ; =>This Loop Header: Depth=1
                                        ;     Child Loop BB35_36 Depth 2
                                        ;       Child Loop BB35_42 Depth 3
                                        ;       Child Loop BB35_48 Depth 3
	v_ashrrev_i32_e32 v4, 31, v3
	s_mov_b32 s3, 0
	s_delay_alu instid0(VALU_DEP_1) | instskip(SKIP_1) | instid1(VALU_DEP_2)
	v_lshlrev_b64 v[5:6], 3, v[3:4]
	v_lshlrev_b64 v[7:8], 2, v[3:4]
	v_add_co_u32 v5, vcc_lo, s20, v5
	s_delay_alu instid0(VALU_DEP_3) | instskip(NEXT) | instid1(VALU_DEP_3)
	v_add_co_ci_u32_e32 v6, vcc_lo, s21, v6, vcc_lo
	v_add_co_u32 v7, vcc_lo, s18, v7
	s_delay_alu instid0(VALU_DEP_4)
	v_add_co_ci_u32_e32 v8, vcc_lo, s19, v8, vcc_lo
	global_load_b64 v[5:6], v[5:6], off
	global_load_b32 v7, v[7:8], off
	s_waitcnt vmcnt(1)
	v_mul_f64 v[4:5], v[1:2], v[5:6]
	s_waitcnt vmcnt(0)
	v_subrev_nc_u32_e32 v8, s27, v7
	s_delay_alu instid0(VALU_DEP_1) | instskip(NEXT) | instid1(VALU_DEP_1)
	v_mul_lo_u32 v6, 0x89, v8
	v_and_b32_e32 v9, 0x3fff, v6
	s_branch .LBB35_36
.LBB35_35:                              ;   in Loop: Header=BB35_36 Depth=2
	s_or_b32 exec_lo, exec_lo, s4
	s_xor_b32 s4, s5, -1
	s_delay_alu instid0(SALU_CYCLE_1) | instskip(NEXT) | instid1(SALU_CYCLE_1)
	s_and_b32 s4, exec_lo, s4
	s_or_b32 s3, s4, s3
	s_delay_alu instid0(SALU_CYCLE_1)
	s_and_not1_b32 exec_lo, exec_lo, s3
	s_cbranch_execz .LBB35_33
.LBB35_36:                              ;   Parent Loop BB35_34 Depth=1
                                        ; =>  This Loop Header: Depth=2
                                        ;       Child Loop BB35_42 Depth 3
                                        ;       Child Loop BB35_48 Depth 3
	s_delay_alu instid0(VALU_DEP_1)
	v_lshl_add_u32 v6, v9, 2, 0
	s_mov_b32 s4, exec_lo
                                        ; implicit-def: $sgpr5
	ds_load_b32 v7, v6
	s_waitcnt lgkmcnt(0)
	v_cmpx_ne_u32_e64 v7, v8
	s_xor_b32 s4, exec_lo, s4
	s_cbranch_execz .LBB35_46
; %bb.37:                               ;   in Loop: Header=BB35_36 Depth=2
	s_mov_b32 s6, exec_lo
                                        ; implicit-def: $sgpr5
	v_cmpx_ne_u32_e64 s33, v7
	s_xor_b32 s6, exec_lo, s6
; %bb.38:                               ;   in Loop: Header=BB35_36 Depth=2
	v_add_nc_u32_e32 v6, 1, v9
	s_mov_b32 s5, -1
	s_delay_alu instid0(VALU_DEP_1)
	v_and_b32_e32 v9, 0x3fff, v6
                                        ; implicit-def: $vgpr6
; %bb.39:                               ;   in Loop: Header=BB35_36 Depth=2
	s_and_not1_saveexec_b32 s6, s6
	s_cbranch_execz .LBB35_45
; %bb.40:                               ;   in Loop: Header=BB35_36 Depth=2
	v_mov_b32_e32 v7, s33
	s_mov_b32 s8, -1
	s_mov_b32 s7, exec_lo
	ds_cmpstore_rtn_b32 v6, v6, v8, v7
	s_waitcnt lgkmcnt(0)
	v_cmpx_eq_u32_e64 s33, v6
	s_cbranch_execz .LBB35_44
; %bb.41:                               ;   in Loop: Header=BB35_36 Depth=2
	v_lshlrev_b32_e32 v6, 3, v9
	s_mov_b32 s8, 0
	s_delay_alu instid0(VALU_DEP_1)
	v_add3_u32 v10, 0, v6, 0x10000
	ds_load_b64 v[6:7], v10
.LBB35_42:                              ;   Parent Loop BB35_34 Depth=1
                                        ;     Parent Loop BB35_36 Depth=2
                                        ; =>    This Inner Loop Header: Depth=3
	s_waitcnt lgkmcnt(0)
	v_add_f64 v[11:12], v[6:7], v[4:5]
	ds_cmpstore_rtn_b64 v[11:12], v10, v[11:12], v[6:7]
	s_waitcnt lgkmcnt(0)
	v_cmp_eq_u64_e32 vcc_lo, v[11:12], v[6:7]
	v_dual_mov_b32 v6, v11 :: v_dual_mov_b32 v7, v12
	s_or_b32 s8, vcc_lo, s8
	s_delay_alu instid0(SALU_CYCLE_1)
	s_and_not1_b32 exec_lo, exec_lo, s8
	s_cbranch_execnz .LBB35_42
; %bb.43:                               ;   in Loop: Header=BB35_36 Depth=2
	s_or_b32 exec_lo, exec_lo, s8
	s_delay_alu instid0(SALU_CYCLE_1)
	s_xor_b32 s8, exec_lo, -1
.LBB35_44:                              ;   in Loop: Header=BB35_36 Depth=2
	s_or_b32 exec_lo, exec_lo, s7
	s_delay_alu instid0(SALU_CYCLE_1) | instskip(SKIP_1) | instid1(SALU_CYCLE_1)
	s_and_not1_b32 s5, s5, exec_lo
	s_and_b32 s7, s8, exec_lo
	s_or_b32 s5, s5, s7
.LBB35_45:                              ;   in Loop: Header=BB35_36 Depth=2
	s_or_b32 exec_lo, exec_lo, s6
	s_delay_alu instid0(SALU_CYCLE_1)
	s_and_b32 s5, s5, exec_lo
.LBB35_46:                              ;   in Loop: Header=BB35_36 Depth=2
	s_and_not1_saveexec_b32 s4, s4
	s_cbranch_execz .LBB35_35
; %bb.47:                               ;   in Loop: Header=BB35_36 Depth=2
	v_lshlrev_b32_e32 v6, 3, v9
	s_mov_b32 s6, 0
	s_delay_alu instid0(VALU_DEP_1)
	v_add3_u32 v10, 0, v6, 0x10000
	ds_load_b64 v[6:7], v10
.LBB35_48:                              ;   Parent Loop BB35_34 Depth=1
                                        ;     Parent Loop BB35_36 Depth=2
                                        ; =>    This Inner Loop Header: Depth=3
	s_waitcnt lgkmcnt(0)
	v_add_f64 v[11:12], v[6:7], v[4:5]
	ds_cmpstore_rtn_b64 v[11:12], v10, v[11:12], v[6:7]
	s_waitcnt lgkmcnt(0)
	v_cmp_eq_u64_e32 vcc_lo, v[11:12], v[6:7]
	v_dual_mov_b32 v6, v11 :: v_dual_mov_b32 v7, v12
	s_or_b32 s6, vcc_lo, s6
	s_delay_alu instid0(SALU_CYCLE_1)
	s_and_not1_b32 exec_lo, exec_lo, s6
	s_cbranch_execnz .LBB35_48
; %bb.49:                               ;   in Loop: Header=BB35_36 Depth=2
	s_or_b32 exec_lo, exec_lo, s6
	s_delay_alu instid0(SALU_CYCLE_1)
	s_and_not1_b32 s5, s5, exec_lo
	s_branch .LBB35_35
.LBB35_50:
	s_or_b32 exec_lo, exec_lo, s1
.LBB35_51:
	v_mbcnt_lo_u32_b32 v1, -1, 0
	v_dual_mov_b32 v5, 0 :: v_dual_lshlrev_b32 v2, 2, v18
	s_add_i32 s31, 0, 0x3003c
	v_cmp_eq_u32_e32 vcc_lo, 0x3ff, v0
	s_delay_alu instid0(VALU_DEP_3) | instskip(NEXT) | instid1(VALU_DEP_3)
	v_xor_b32_e32 v1, 63, v1
	v_add3_u32 v4, 0, 0x30000, v2
	v_cmp_lt_u32_e64 s0, 63, v0
	v_cmp_lt_u32_e64 s1, 0x7f, v0
	;; [unrolled: 1-line block ×3, first 2 shown]
	v_lshrrev_b64 v[1:2], v1, -1
	v_cmp_lt_u32_e64 s3, 0xff, v0
	v_cmp_lt_u32_e64 s4, 0x13f, v0
	;; [unrolled: 1-line block ×12, first 2 shown]
	v_mov_b32_e32 v6, s31
	s_mov_b32 s16, 0
	s_add_i32 s17, 0, 0x30000
	s_add_i32 s18, 0, 0x30004
	;; [unrolled: 1-line block ×15, first 2 shown]
	s_waitcnt lgkmcnt(0)
	s_barrier
	buffer_gl0_inv
	s_branch .LBB35_53
.LBB35_52:                              ;   in Loop: Header=BB35_53 Depth=1
	s_or_b32 exec_lo, exec_lo, s15
	s_waitcnt lgkmcnt(0)
	s_barrier
	buffer_gl0_inv
	ds_load_b32 v2, v6
	v_add_nc_u32_e32 v17, 0x400, v17
	v_add_nc_u32_e32 v16, 0x2000, v16
	v_add_nc_u32_e32 v15, 0x1000, v15
	s_delay_alu instid0(VALU_DEP_3) | instskip(NEXT) | instid1(VALU_DEP_1)
	v_cmp_lt_u32_e64 s15, 0x3bff, v17
	s_or_b32 s16, s15, s16
	s_waitcnt lgkmcnt(0)
	v_add_nc_u32_e32 v5, v2, v5
	s_and_not1_b32 exec_lo, exec_lo, s16
	s_cbranch_execz .LBB35_87
.LBB35_53:                              ; =>This Inner Loop Header: Depth=1
	ds_load_b32 v7, v15
	ds_load_b64 v[2:3], v16
	s_waitcnt lgkmcnt(0)
	s_barrier
	buffer_gl0_inv
	v_cmp_gt_i32_e64 s15, s33, v7
	s_delay_alu instid0(VALU_DEP_1) | instskip(NEXT) | instid1(SALU_CYCLE_1)
	s_bcnt1_i32_b32 s41, s15
	v_dual_mov_b32 v9, s41 :: v_dual_and_b32 v8, s15, v1
	s_delay_alu instid0(VALU_DEP_1)
	v_bcnt_u32_b32 v8, v8, 0
	ds_store_b32 v4, v9
	s_waitcnt lgkmcnt(0)
	s_barrier
	buffer_gl0_inv
	s_and_saveexec_b32 s41, s0
	s_cbranch_execnz .LBB35_70
; %bb.54:                               ;   in Loop: Header=BB35_53 Depth=1
	s_or_b32 exec_lo, exec_lo, s41
	s_and_saveexec_b32 s41, s1
	s_cbranch_execnz .LBB35_71
.LBB35_55:                              ;   in Loop: Header=BB35_53 Depth=1
	s_or_b32 exec_lo, exec_lo, s41
	s_and_saveexec_b32 s41, s2
	s_cbranch_execnz .LBB35_72
.LBB35_56:                              ;   in Loop: Header=BB35_53 Depth=1
	s_or_b32 exec_lo, exec_lo, s41
	s_and_saveexec_b32 s41, s3
	s_cbranch_execnz .LBB35_73
.LBB35_57:                              ;   in Loop: Header=BB35_53 Depth=1
	s_or_b32 exec_lo, exec_lo, s41
	s_and_saveexec_b32 s41, s4
	s_cbranch_execnz .LBB35_74
.LBB35_58:                              ;   in Loop: Header=BB35_53 Depth=1
	s_or_b32 exec_lo, exec_lo, s41
	s_and_saveexec_b32 s41, s5
	s_cbranch_execnz .LBB35_75
.LBB35_59:                              ;   in Loop: Header=BB35_53 Depth=1
	s_or_b32 exec_lo, exec_lo, s41
	s_and_saveexec_b32 s41, s6
	s_cbranch_execnz .LBB35_76
.LBB35_60:                              ;   in Loop: Header=BB35_53 Depth=1
	s_or_b32 exec_lo, exec_lo, s41
	s_and_saveexec_b32 s41, s7
	s_cbranch_execnz .LBB35_77
.LBB35_61:                              ;   in Loop: Header=BB35_53 Depth=1
	s_or_b32 exec_lo, exec_lo, s41
	s_and_saveexec_b32 s41, s8
	s_cbranch_execnz .LBB35_78
.LBB35_62:                              ;   in Loop: Header=BB35_53 Depth=1
	s_or_b32 exec_lo, exec_lo, s41
	s_and_saveexec_b32 s41, s9
	s_cbranch_execnz .LBB35_79
.LBB35_63:                              ;   in Loop: Header=BB35_53 Depth=1
	s_or_b32 exec_lo, exec_lo, s41
	s_and_saveexec_b32 s41, s10
	s_cbranch_execnz .LBB35_80
.LBB35_64:                              ;   in Loop: Header=BB35_53 Depth=1
	s_or_b32 exec_lo, exec_lo, s41
	s_and_saveexec_b32 s41, s11
	s_cbranch_execnz .LBB35_81
.LBB35_65:                              ;   in Loop: Header=BB35_53 Depth=1
	s_or_b32 exec_lo, exec_lo, s41
	s_and_saveexec_b32 s41, s12
	s_cbranch_execnz .LBB35_82
.LBB35_66:                              ;   in Loop: Header=BB35_53 Depth=1
	s_or_b32 exec_lo, exec_lo, s41
	s_and_saveexec_b32 s41, s13
	s_cbranch_execnz .LBB35_83
.LBB35_67:                              ;   in Loop: Header=BB35_53 Depth=1
	s_or_b32 exec_lo, exec_lo, s41
	s_and_saveexec_b32 s41, s14
	s_cbranch_execnz .LBB35_84
.LBB35_68:                              ;   in Loop: Header=BB35_53 Depth=1
	s_or_b32 exec_lo, exec_lo, s41
	s_and_saveexec_b32 s41, s15
	s_cbranch_execnz .LBB35_85
.LBB35_69:                              ;   in Loop: Header=BB35_53 Depth=1
	s_or_b32 exec_lo, exec_lo, s41
	s_and_saveexec_b32 s15, vcc_lo
	s_cbranch_execz .LBB35_52
	s_branch .LBB35_86
.LBB35_70:                              ;   in Loop: Header=BB35_53 Depth=1
	v_mov_b32_e32 v9, s17
	ds_load_b32 v9, v9
	s_waitcnt lgkmcnt(0)
	v_add_nc_u32_e32 v8, v9, v8
	s_or_b32 exec_lo, exec_lo, s41
	s_and_saveexec_b32 s41, s1
	s_cbranch_execz .LBB35_55
.LBB35_71:                              ;   in Loop: Header=BB35_53 Depth=1
	v_mov_b32_e32 v9, s18
	ds_load_b32 v9, v9
	s_waitcnt lgkmcnt(0)
	v_add_nc_u32_e32 v8, v9, v8
	s_or_b32 exec_lo, exec_lo, s41
	s_and_saveexec_b32 s41, s2
	s_cbranch_execz .LBB35_56
.LBB35_72:                              ;   in Loop: Header=BB35_53 Depth=1
	v_mov_b32_e32 v9, s19
	ds_load_b32 v9, v9
	s_waitcnt lgkmcnt(0)
	v_add_nc_u32_e32 v8, v9, v8
	s_or_b32 exec_lo, exec_lo, s41
	s_and_saveexec_b32 s41, s3
	s_cbranch_execz .LBB35_57
.LBB35_73:                              ;   in Loop: Header=BB35_53 Depth=1
	v_mov_b32_e32 v9, s20
	ds_load_b32 v9, v9
	s_waitcnt lgkmcnt(0)
	v_add_nc_u32_e32 v8, v9, v8
	s_or_b32 exec_lo, exec_lo, s41
	s_and_saveexec_b32 s41, s4
	s_cbranch_execz .LBB35_58
.LBB35_74:                              ;   in Loop: Header=BB35_53 Depth=1
	v_mov_b32_e32 v9, s21
	ds_load_b32 v9, v9
	s_waitcnt lgkmcnt(0)
	v_add_nc_u32_e32 v8, v9, v8
	s_or_b32 exec_lo, exec_lo, s41
	s_and_saveexec_b32 s41, s5
	s_cbranch_execz .LBB35_59
.LBB35_75:                              ;   in Loop: Header=BB35_53 Depth=1
	v_mov_b32_e32 v9, s24
	ds_load_b32 v9, v9
	s_waitcnt lgkmcnt(0)
	v_add_nc_u32_e32 v8, v9, v8
	s_or_b32 exec_lo, exec_lo, s41
	s_and_saveexec_b32 s41, s6
	s_cbranch_execz .LBB35_60
.LBB35_76:                              ;   in Loop: Header=BB35_53 Depth=1
	v_mov_b32_e32 v9, s25
	ds_load_b32 v9, v9
	s_waitcnt lgkmcnt(0)
	v_add_nc_u32_e32 v8, v9, v8
	s_or_b32 exec_lo, exec_lo, s41
	s_and_saveexec_b32 s41, s7
	s_cbranch_execz .LBB35_61
.LBB35_77:                              ;   in Loop: Header=BB35_53 Depth=1
	v_mov_b32_e32 v9, s27
	ds_load_b32 v9, v9
	s_waitcnt lgkmcnt(0)
	v_add_nc_u32_e32 v8, v9, v8
	s_or_b32 exec_lo, exec_lo, s41
	s_and_saveexec_b32 s41, s8
	s_cbranch_execz .LBB35_62
.LBB35_78:                              ;   in Loop: Header=BB35_53 Depth=1
	v_mov_b32_e32 v9, s28
	ds_load_b32 v9, v9
	s_waitcnt lgkmcnt(0)
	v_add_nc_u32_e32 v8, v9, v8
	s_or_b32 exec_lo, exec_lo, s41
	s_and_saveexec_b32 s41, s9
	s_cbranch_execz .LBB35_63
.LBB35_79:                              ;   in Loop: Header=BB35_53 Depth=1
	v_mov_b32_e32 v9, s29
	ds_load_b32 v9, v9
	s_waitcnt lgkmcnt(0)
	v_add_nc_u32_e32 v8, v9, v8
	s_or_b32 exec_lo, exec_lo, s41
	s_and_saveexec_b32 s41, s10
	s_cbranch_execz .LBB35_64
.LBB35_80:                              ;   in Loop: Header=BB35_53 Depth=1
	v_mov_b32_e32 v9, s30
	ds_load_b32 v9, v9
	s_waitcnt lgkmcnt(0)
	v_add_nc_u32_e32 v8, v9, v8
	s_or_b32 exec_lo, exec_lo, s41
	s_and_saveexec_b32 s41, s11
	s_cbranch_execz .LBB35_65
.LBB35_81:                              ;   in Loop: Header=BB35_53 Depth=1
	v_mov_b32_e32 v9, s37
	ds_load_b32 v9, v9
	s_waitcnt lgkmcnt(0)
	v_add_nc_u32_e32 v8, v9, v8
	s_or_b32 exec_lo, exec_lo, s41
	s_and_saveexec_b32 s41, s12
	s_cbranch_execz .LBB35_66
.LBB35_82:                              ;   in Loop: Header=BB35_53 Depth=1
	v_mov_b32_e32 v9, s38
	ds_load_b32 v9, v9
	s_waitcnt lgkmcnt(0)
	v_add_nc_u32_e32 v8, v9, v8
	s_or_b32 exec_lo, exec_lo, s41
	s_and_saveexec_b32 s41, s13
	s_cbranch_execz .LBB35_67
.LBB35_83:                              ;   in Loop: Header=BB35_53 Depth=1
	v_mov_b32_e32 v9, s39
	ds_load_b32 v9, v9
	s_waitcnt lgkmcnt(0)
	v_add_nc_u32_e32 v8, v9, v8
	s_or_b32 exec_lo, exec_lo, s41
	s_and_saveexec_b32 s41, s14
	s_cbranch_execz .LBB35_68
.LBB35_84:                              ;   in Loop: Header=BB35_53 Depth=1
	v_mov_b32_e32 v9, s40
	ds_load_b32 v9, v9
	s_waitcnt lgkmcnt(0)
	v_add_nc_u32_e32 v8, v9, v8
	s_or_b32 exec_lo, exec_lo, s41
	s_and_saveexec_b32 s41, s15
	s_cbranch_execz .LBB35_69
.LBB35_85:                              ;   in Loop: Header=BB35_53 Depth=1
	s_delay_alu instid0(VALU_DEP_1) | instskip(NEXT) | instid1(VALU_DEP_1)
	v_add3_u32 v9, v5, -1, v8
	v_lshlrev_b32_e32 v10, 3, v9
	v_lshl_add_u32 v9, v9, 2, 0
	s_delay_alu instid0(VALU_DEP_2)
	v_add3_u32 v10, 0, v10, 0x10000
	ds_store_b32 v9, v7
	ds_store_b64 v10, v[2:3]
	s_or_b32 exec_lo, exec_lo, s41
	s_and_saveexec_b32 s15, vcc_lo
	s_cbranch_execz .LBB35_52
.LBB35_86:                              ;   in Loop: Header=BB35_53 Depth=1
	v_mov_b32_e32 v2, s31
	ds_store_b32 v2, v8
	s_branch .LBB35_52
.LBB35_87:
	s_or_b32 exec_lo, exec_lo, s16
	s_ashr_i32 s37, s36, 31
	s_mov_b32 s3, exec_lo
	s_lshl_b64 s[0:1], s[36:37], 2
	s_delay_alu instid0(SALU_CYCLE_1) | instskip(SKIP_4) | instid1(SALU_CYCLE_1)
	s_add_u32 s0, s22, s0
	s_addc_u32 s1, s23, s1
	s_load_b64 s[0:1], s[0:1], 0x0
	s_waitcnt lgkmcnt(0)
	s_sub_i32 s2, s1, s0
	v_cmpx_gt_i32_e64 s2, v0
	s_cbranch_execz .LBB35_97
; %bb.88:
	s_sub_i32 s3, s0, s26
	s_sub_i32 s0, s0, s1
	s_and_b32 s1, s2, 7
	s_cmp_lt_u32 s0, -7
	s_mov_b32 s7, 0
	s_cselect_b32 s4, -1, 0
	s_and_b32 s5, s2, -8
	s_cmp_lg_u32 s1, 0
	s_cselect_b32 s6, -1, 0
	s_branch .LBB35_90
.LBB35_89:                              ;   in Loop: Header=BB35_90 Depth=1
	s_waitcnt lgkmcnt(1)
	s_delay_alu instid0(VALU_DEP_1) | instskip(SKIP_1) | instid1(VALU_DEP_2)
	v_ashrrev_i32_e32 v4, 31, v3
	v_add_nc_u32_e32 v0, 0x400, v0
	v_lshlrev_b64 v[3:4], 3, v[3:4]
	s_delay_alu instid0(VALU_DEP_2) | instskip(SKIP_1) | instid1(VALU_DEP_2)
	v_cmp_le_i32_e32 vcc_lo, s2, v0
	s_or_b32 s7, vcc_lo, s7
	v_add_co_u32 v3, s0, s34, v3
	s_delay_alu instid0(VALU_DEP_1)
	v_add_co_ci_u32_e64 v4, s0, s35, v4, s0
	s_waitcnt lgkmcnt(0)
	global_store_b64 v[3:4], v[1:2], off
	s_and_not1_b32 exec_lo, exec_lo, s7
	s_cbranch_execz .LBB35_97
.LBB35_90:                              ; =>This Loop Header: Depth=1
                                        ;     Child Loop BB35_92 Depth 2
                                        ;     Child Loop BB35_96 Depth 2
	v_lshlrev_b32_e32 v1, 3, v0
	v_lshl_add_u32 v2, v0, 2, 0
	v_mov_b32_e32 v3, s3
	s_and_not1_b32 vcc_lo, exec_lo, s4
	s_mov_b32 s0, 0
	v_add3_u32 v1, 0, v1, 0x10000
	ds_load_b32 v4, v2
	ds_load_b64 v[1:2], v1
	s_cbranch_vccnz .LBB35_94
; %bb.91:                               ;   in Loop: Header=BB35_90 Depth=1
	v_mov_b32_e32 v3, s3
	s_mov_b32 s8, 0
	s_set_inst_prefetch_distance 0x1
	.p2align	6
.LBB35_92:                              ;   Parent Loop BB35_90 Depth=1
                                        ; =>  This Inner Loop Header: Depth=2
	v_mov_b32_e32 v11, s8
	s_add_i32 s0, s0, 8
	s_add_i32 s8, s8, 32
	s_cmp_eq_u32 s5, s0
	ds_load_2addr_b32 v[5:6], v11 offset1:1
	ds_load_2addr_b32 v[7:8], v11 offset0:2 offset1:3
	ds_load_2addr_b32 v[9:10], v11 offset0:4 offset1:5
	;; [unrolled: 1-line block ×3, first 2 shown]
	s_waitcnt lgkmcnt(3)
	v_cmp_gt_i32_e32 vcc_lo, v4, v5
	v_cndmask_b32_e64 v5, 0, 1, vcc_lo
	s_waitcnt lgkmcnt(2)
	v_cmp_gt_i32_e32 vcc_lo, v4, v7
	v_cndmask_b32_e64 v7, 0, 1, vcc_lo
	v_cmp_gt_i32_e32 vcc_lo, v4, v6
	v_add_co_ci_u32_e32 v3, vcc_lo, v3, v5, vcc_lo
	s_waitcnt lgkmcnt(1)
	v_cmp_gt_i32_e32 vcc_lo, v4, v9
	v_cndmask_b32_e64 v5, 0, 1, vcc_lo
	v_cmp_gt_i32_e32 vcc_lo, v4, v8
	v_add_co_ci_u32_e32 v3, vcc_lo, v3, v7, vcc_lo
	s_waitcnt lgkmcnt(0)
	v_cmp_gt_i32_e32 vcc_lo, v4, v11
	v_cndmask_b32_e64 v6, 0, 1, vcc_lo
	v_cmp_gt_i32_e32 vcc_lo, v4, v10
	v_add_co_ci_u32_e32 v3, vcc_lo, v3, v5, vcc_lo
	v_cmp_gt_i32_e32 vcc_lo, v4, v12
	s_delay_alu instid0(VALU_DEP_2)
	v_add_co_ci_u32_e32 v3, vcc_lo, v3, v6, vcc_lo
	s_cbranch_scc0 .LBB35_92
; %bb.93:                               ;   in Loop: Header=BB35_90 Depth=1
	s_set_inst_prefetch_distance 0x2
	s_mov_b32 s0, s5
.LBB35_94:                              ;   in Loop: Header=BB35_90 Depth=1
	s_and_not1_b32 vcc_lo, exec_lo, s6
	s_cbranch_vccnz .LBB35_89
; %bb.95:                               ;   in Loop: Header=BB35_90 Depth=1
	s_lshl_b32 s0, s0, 2
	s_mov_b32 s8, s1
	s_add_i32 s0, s0, 0
.LBB35_96:                              ;   Parent Loop BB35_90 Depth=1
                                        ; =>  This Inner Loop Header: Depth=2
	s_delay_alu instid0(SALU_CYCLE_1)
	v_mov_b32_e32 v5, s0
	s_add_i32 s8, s8, -1
	s_add_i32 s0, s0, 4
	s_cmp_lg_u32 s8, 0
	ds_load_b32 v5, v5
	s_waitcnt lgkmcnt(0)
	v_cmp_gt_i32_e32 vcc_lo, v4, v5
	v_add_co_ci_u32_e32 v3, vcc_lo, 0, v3, vcc_lo
	s_cbranch_scc1 .LBB35_96
	s_branch .LBB35_89
.LBB35_97:
	s_nop 0
	s_sendmsg sendmsg(MSG_DEALLOC_VGPRS)
	s_endpgm
	.section	.rodata,"a",@progbits
	.p2align	6, 0x0
	.amdhsa_kernel _ZN9rocsparseL41csrgemm_numeric_fill_block_per_row_kernelILj1024ELj64ELj16384ELj137ELj64EiidEEvT5_PKS1_S3_NS_24const_host_device_scalarIT6_EEPKT4_S3_PKS5_S9_S3_SB_S6_S9_S3_SB_S9_S3_PS5_21rocsparse_index_base_SD_SD_SD_bbb
		.amdhsa_group_segment_fixed_size 0
		.amdhsa_private_segment_fixed_size 0
		.amdhsa_kernarg_size 156
		.amdhsa_user_sgpr_count 15
		.amdhsa_user_sgpr_dispatch_ptr 0
		.amdhsa_user_sgpr_queue_ptr 0
		.amdhsa_user_sgpr_kernarg_segment_ptr 1
		.amdhsa_user_sgpr_dispatch_id 0
		.amdhsa_user_sgpr_private_segment_size 0
		.amdhsa_wavefront_size32 1
		.amdhsa_uses_dynamic_stack 0
		.amdhsa_enable_private_segment 0
		.amdhsa_system_sgpr_workgroup_id_x 1
		.amdhsa_system_sgpr_workgroup_id_y 0
		.amdhsa_system_sgpr_workgroup_id_z 0
		.amdhsa_system_sgpr_workgroup_info 0
		.amdhsa_system_vgpr_workitem_id 0
		.amdhsa_next_free_vgpr 24
		.amdhsa_next_free_sgpr 42
		.amdhsa_reserve_vcc 1
		.amdhsa_float_round_mode_32 0
		.amdhsa_float_round_mode_16_64 0
		.amdhsa_float_denorm_mode_32 3
		.amdhsa_float_denorm_mode_16_64 3
		.amdhsa_dx10_clamp 1
		.amdhsa_ieee_mode 1
		.amdhsa_fp16_overflow 0
		.amdhsa_workgroup_processor_mode 1
		.amdhsa_memory_ordered 1
		.amdhsa_forward_progress 0
		.amdhsa_shared_vgpr_count 0
		.amdhsa_exception_fp_ieee_invalid_op 0
		.amdhsa_exception_fp_denorm_src 0
		.amdhsa_exception_fp_ieee_div_zero 0
		.amdhsa_exception_fp_ieee_overflow 0
		.amdhsa_exception_fp_ieee_underflow 0
		.amdhsa_exception_fp_ieee_inexact 0
		.amdhsa_exception_int_div_zero 0
	.end_amdhsa_kernel
	.section	.text._ZN9rocsparseL41csrgemm_numeric_fill_block_per_row_kernelILj1024ELj64ELj16384ELj137ELj64EiidEEvT5_PKS1_S3_NS_24const_host_device_scalarIT6_EEPKT4_S3_PKS5_S9_S3_SB_S6_S9_S3_SB_S9_S3_PS5_21rocsparse_index_base_SD_SD_SD_bbb,"axG",@progbits,_ZN9rocsparseL41csrgemm_numeric_fill_block_per_row_kernelILj1024ELj64ELj16384ELj137ELj64EiidEEvT5_PKS1_S3_NS_24const_host_device_scalarIT6_EEPKT4_S3_PKS5_S9_S3_SB_S6_S9_S3_SB_S9_S3_PS5_21rocsparse_index_base_SD_SD_SD_bbb,comdat
.Lfunc_end35:
	.size	_ZN9rocsparseL41csrgemm_numeric_fill_block_per_row_kernelILj1024ELj64ELj16384ELj137ELj64EiidEEvT5_PKS1_S3_NS_24const_host_device_scalarIT6_EEPKT4_S3_PKS5_S9_S3_SB_S6_S9_S3_SB_S9_S3_PS5_21rocsparse_index_base_SD_SD_SD_bbb, .Lfunc_end35-_ZN9rocsparseL41csrgemm_numeric_fill_block_per_row_kernelILj1024ELj64ELj16384ELj137ELj64EiidEEvT5_PKS1_S3_NS_24const_host_device_scalarIT6_EEPKT4_S3_PKS5_S9_S3_SB_S6_S9_S3_SB_S9_S3_PS5_21rocsparse_index_base_SD_SD_SD_bbb
                                        ; -- End function
	.section	.AMDGPU.csdata,"",@progbits
; Kernel info:
; codeLenInByte = 3744
; NumSgprs: 44
; NumVgprs: 24
; ScratchSize: 0
; MemoryBound: 0
; FloatMode: 240
; IeeeMode: 1
; LDSByteSize: 0 bytes/workgroup (compile time only)
; SGPRBlocks: 5
; VGPRBlocks: 2
; NumSGPRsForWavesPerEU: 44
; NumVGPRsForWavesPerEU: 24
; Occupancy: 16
; WaveLimiterHint : 1
; COMPUTE_PGM_RSRC2:SCRATCH_EN: 0
; COMPUTE_PGM_RSRC2:USER_SGPR: 15
; COMPUTE_PGM_RSRC2:TRAP_HANDLER: 0
; COMPUTE_PGM_RSRC2:TGID_X_EN: 1
; COMPUTE_PGM_RSRC2:TGID_Y_EN: 0
; COMPUTE_PGM_RSRC2:TGID_Z_EN: 0
; COMPUTE_PGM_RSRC2:TIDIG_COMP_CNT: 0
	.section	.text._ZN9rocsparseL41csrgemm_numeric_fill_block_per_row_kernelILj1024ELj64ELj32768ELj137ELj32EiidEEvT5_PKS1_S3_NS_24const_host_device_scalarIT6_EEPKT4_S3_PKS5_S9_S3_SB_S6_S9_S3_SB_S9_S3_PS5_21rocsparse_index_base_SD_SD_SD_bbb,"axG",@progbits,_ZN9rocsparseL41csrgemm_numeric_fill_block_per_row_kernelILj1024ELj64ELj32768ELj137ELj32EiidEEvT5_PKS1_S3_NS_24const_host_device_scalarIT6_EEPKT4_S3_PKS5_S9_S3_SB_S6_S9_S3_SB_S9_S3_PS5_21rocsparse_index_base_SD_SD_SD_bbb,comdat
	.globl	_ZN9rocsparseL41csrgemm_numeric_fill_block_per_row_kernelILj1024ELj64ELj32768ELj137ELj32EiidEEvT5_PKS1_S3_NS_24const_host_device_scalarIT6_EEPKT4_S3_PKS5_S9_S3_SB_S6_S9_S3_SB_S9_S3_PS5_21rocsparse_index_base_SD_SD_SD_bbb ; -- Begin function _ZN9rocsparseL41csrgemm_numeric_fill_block_per_row_kernelILj1024ELj64ELj32768ELj137ELj32EiidEEvT5_PKS1_S3_NS_24const_host_device_scalarIT6_EEPKT4_S3_PKS5_S9_S3_SB_S6_S9_S3_SB_S9_S3_PS5_21rocsparse_index_base_SD_SD_SD_bbb
	.p2align	8
	.type	_ZN9rocsparseL41csrgemm_numeric_fill_block_per_row_kernelILj1024ELj64ELj32768ELj137ELj32EiidEEvT5_PKS1_S3_NS_24const_host_device_scalarIT6_EEPKT4_S3_PKS5_S9_S3_SB_S6_S9_S3_SB_S9_S3_PS5_21rocsparse_index_base_SD_SD_SD_bbb,@function
_ZN9rocsparseL41csrgemm_numeric_fill_block_per_row_kernelILj1024ELj64ELj32768ELj137ELj32EiidEEvT5_PKS1_S3_NS_24const_host_device_scalarIT6_EEPKT4_S3_PKS5_S9_S3_SB_S6_S9_S3_SB_S9_S3_PS5_21rocsparse_index_base_SD_SD_SD_bbb: ; @_ZN9rocsparseL41csrgemm_numeric_fill_block_per_row_kernelILj1024ELj64ELj32768ELj137ELj32EiidEEvT5_PKS1_S3_NS_24const_host_device_scalarIT6_EEPKT4_S3_PKS5_S9_S3_SB_S6_S9_S3_SB_S9_S3_PS5_21rocsparse_index_base_SD_SD_SD_bbb
; %bb.0:
	s_clause 0x3
	s_load_b32 s12, s[0:1], 0x98
	s_load_b64 s[4:5], s[0:1], 0x18
	s_load_b128 s[44:47], s[0:1], 0x88
	s_load_b64 s[2:3], s[0:1], 0x50
	s_waitcnt lgkmcnt(0)
	s_and_b32 s6, 1, s12
	s_bitcmp1_b32 s12, 16
	s_cselect_b32 s14, -1, 0
	s_cmp_eq_u32 s6, 1
	s_cselect_b32 s13, -1, 0
	s_delay_alu instid0(SALU_CYCLE_1)
	s_and_b32 s6, s13, exec_lo
	s_cselect_b32 s7, s5, 0
	s_cselect_b32 s6, s4, 0
	s_xor_b32 s8, s13, -1
	v_dual_mov_b32 v3, s6 :: v_dual_mov_b32 v4, s7
	s_or_b32 s8, s8, s14
	s_delay_alu instid0(SALU_CYCLE_1)
	s_and_b32 vcc_lo, exec_lo, s8
	s_cbranch_vccnz .LBB36_2
; %bb.1:
	v_dual_mov_b32 v1, s4 :: v_dual_mov_b32 v2, s5
	flat_load_b64 v[3:4], v[1:2]
.LBB36_2:
	s_clause 0x4
	s_load_b64 s[34:35], s[0:1], 0x80
	s_load_b256 s[36:43], s[0:1], 0x58
	s_load_b128 s[16:19], s[0:1], 0x40
	s_load_b128 s[20:23], s[0:1], 0x8
	s_load_b256 s[4:11], s[0:1], 0x20
	s_bitcmp1_b32 s12, 8
	s_cselect_b32 s12, -1, 0
	s_delay_alu instid0(SALU_CYCLE_1)
	s_and_b32 s24, s12, exec_lo
	s_cselect_b32 s25, s3, 0
	s_cselect_b32 s24, s2, 0
	s_xor_b32 s26, s12, -1
	v_dual_mov_b32 v1, s24 :: v_dual_mov_b32 v2, s25
	s_or_b32 s14, s26, s14
	s_delay_alu instid0(SALU_CYCLE_1)
	s_and_b32 vcc_lo, exec_lo, s14
	s_cbranch_vccnz .LBB36_4
; %bb.3:
	v_dual_mov_b32 v1, s2 :: v_dual_mov_b32 v2, s3
	flat_load_b64 v[1:2], v[1:2]
.LBB36_4:
	s_load_b32 s33, s[0:1], 0x0
	v_dual_mov_b32 v5, 0 :: v_dual_lshlrev_b32 v6, 3, v0
	v_lshl_add_u32 v15, v0, 2, 0
	v_or_b32_e32 v17, 0xfffffc00, v0
	s_mov_b32 s0, 0
	s_delay_alu instid0(VALU_DEP_3) | instskip(NEXT) | instid1(VALU_DEP_3)
	v_add3_u32 v16, v6, 0, 0x20000
	v_dual_mov_b32 v6, v5 :: v_dual_mov_b32 v7, v15
	s_delay_alu instid0(VALU_DEP_3) | instskip(SKIP_1) | instid1(VALU_DEP_3)
	v_mov_b32_e32 v10, v17
	s_waitcnt lgkmcnt(0)
	v_dual_mov_b32 v8, v16 :: v_dual_mov_b32 v9, s33
.LBB36_5:                               ; =>This Inner Loop Header: Depth=1
	s_delay_alu instid0(VALU_DEP_2)
	v_add_nc_u32_e32 v10, 0x400, v10
	ds_store_b32 v7, v9
	ds_store_b64 v8, v[5:6]
	v_add_nc_u32_e32 v8, 0x2000, v8
	v_add_nc_u32_e32 v7, 0x1000, v7
	v_cmp_lt_u32_e32 vcc_lo, 0x7bff, v10
	s_or_b32 s0, vcc_lo, s0
	s_delay_alu instid0(SALU_CYCLE_1)
	s_and_not1_b32 exec_lo, exec_lo, s0
	s_cbranch_execnz .LBB36_5
; %bb.6:
	s_or_b32 exec_lo, exec_lo, s0
	s_waitcnt vmcnt(0) lgkmcnt(0)
	s_barrier
	buffer_gl0_inv
	s_load_b32 s0, s[20:21], 0x0
	s_mov_b32 s1, 0
	s_waitcnt lgkmcnt(0)
	s_add_i32 s0, s0, s15
	s_delay_alu instid0(SALU_CYCLE_1) | instskip(NEXT) | instid1(SALU_CYCLE_1)
	s_lshl_b64 s[0:1], s[0:1], 2
	s_add_u32 s0, s22, s0
	s_addc_u32 s1, s23, s1
	s_and_b32 vcc_lo, exec_lo, s13
	s_load_b32 s48, s[0:1], 0x0
	s_cbranch_vccz .LBB36_30
; %bb.7:
	s_waitcnt lgkmcnt(0)
	s_ashr_i32 s49, s48, 31
	v_lshrrev_b32_e32 v5, 6, v0
	s_lshl_b64 s[0:1], s[48:49], 2
	s_delay_alu instid0(SALU_CYCLE_1) | instskip(SKIP_1) | instid1(VALU_DEP_1)
	s_add_u32 s0, s4, s0
	s_addc_u32 s1, s5, s1
	v_subrev_nc_u32_e32 v5, s44, v5
	s_load_b64 s[0:1], s[0:1], 0x0
	s_waitcnt lgkmcnt(0)
	s_delay_alu instid0(VALU_DEP_1) | instskip(SKIP_2) | instid1(VALU_DEP_1)
	v_add_nc_u32_e32 v5, s0, v5
	s_sub_i32 s0, s1, s44
	s_mov_b32 s1, exec_lo
	v_cmpx_gt_i32_e64 s0, v5
	s_cbranch_execz .LBB36_29
; %bb.8:
	v_and_b32_e32 v6, 63, v0
	s_mov_b32 s2, 0
	s_delay_alu instid0(VALU_DEP_1)
	v_subrev_nc_u32_e32 v18, s45, v6
	s_branch .LBB36_10
.LBB36_9:                               ;   in Loop: Header=BB36_10 Depth=1
	s_or_b32 exec_lo, exec_lo, s3
	v_add_nc_u32_e32 v5, 16, v5
	s_delay_alu instid0(VALU_DEP_1) | instskip(SKIP_1) | instid1(SALU_CYCLE_1)
	v_cmp_le_i32_e32 vcc_lo, s0, v5
	s_or_b32 s2, vcc_lo, s2
	s_and_not1_b32 exec_lo, exec_lo, s2
	s_cbranch_execz .LBB36_29
.LBB36_10:                              ; =>This Loop Header: Depth=1
                                        ;     Child Loop BB36_13 Depth 2
                                        ;       Child Loop BB36_15 Depth 3
                                        ;         Child Loop BB36_21 Depth 4
                                        ;         Child Loop BB36_27 Depth 4
	v_ashrrev_i32_e32 v6, 31, v5
	s_mov_b32 s3, exec_lo
	s_delay_alu instid0(VALU_DEP_1) | instskip(NEXT) | instid1(VALU_DEP_1)
	v_lshlrev_b64 v[7:8], 2, v[5:6]
	v_add_co_u32 v7, vcc_lo, s6, v7
	s_delay_alu instid0(VALU_DEP_2) | instskip(SKIP_3) | instid1(VALU_DEP_1)
	v_add_co_ci_u32_e32 v8, vcc_lo, s7, v8, vcc_lo
	global_load_b32 v7, v[7:8], off
	s_waitcnt vmcnt(0)
	v_subrev_nc_u32_e32 v7, s44, v7
	v_ashrrev_i32_e32 v8, 31, v7
	s_delay_alu instid0(VALU_DEP_1) | instskip(NEXT) | instid1(VALU_DEP_1)
	v_lshlrev_b64 v[7:8], 2, v[7:8]
	v_add_co_u32 v7, vcc_lo, s10, v7
	s_delay_alu instid0(VALU_DEP_2) | instskip(SKIP_4) | instid1(VALU_DEP_1)
	v_add_co_ci_u32_e32 v8, vcc_lo, s11, v8, vcc_lo
	global_load_b64 v[7:8], v[7:8], off
	s_waitcnt vmcnt(0)
	v_subrev_nc_u32_e32 v19, s45, v8
	v_add_nc_u32_e32 v7, v7, v18
	v_cmpx_lt_i32_e64 v7, v19
	s_cbranch_execz .LBB36_9
; %bb.11:                               ;   in Loop: Header=BB36_10 Depth=1
	v_lshlrev_b64 v[8:9], 3, v[5:6]
	s_mov_b32 s4, 0
	s_delay_alu instid0(VALU_DEP_1) | instskip(NEXT) | instid1(VALU_DEP_2)
	v_add_co_u32 v8, vcc_lo, s8, v8
	v_add_co_ci_u32_e32 v9, vcc_lo, s9, v9, vcc_lo
	global_load_b64 v[8:9], v[8:9], off
	s_waitcnt vmcnt(0)
	v_mul_f64 v[9:10], v[3:4], v[8:9]
	s_branch .LBB36_13
.LBB36_12:                              ;   in Loop: Header=BB36_13 Depth=2
	s_or_b32 exec_lo, exec_lo, s5
	v_add_nc_u32_e32 v7, 64, v7
	s_delay_alu instid0(VALU_DEP_1) | instskip(SKIP_1) | instid1(SALU_CYCLE_1)
	v_cmp_ge_i32_e32 vcc_lo, v7, v19
	s_or_b32 s4, vcc_lo, s4
	s_and_not1_b32 exec_lo, exec_lo, s4
	s_cbranch_execz .LBB36_9
.LBB36_13:                              ;   Parent Loop BB36_10 Depth=1
                                        ; =>  This Loop Header: Depth=2
                                        ;       Child Loop BB36_15 Depth 3
                                        ;         Child Loop BB36_21 Depth 4
                                        ;         Child Loop BB36_27 Depth 4
	v_ashrrev_i32_e32 v8, 31, v7
	s_mov_b32 s5, 0
	s_delay_alu instid0(VALU_DEP_1) | instskip(SKIP_1) | instid1(VALU_DEP_2)
	v_lshlrev_b64 v[11:12], 3, v[7:8]
	v_lshlrev_b64 v[13:14], 2, v[7:8]
	v_add_co_u32 v11, vcc_lo, s18, v11
	s_delay_alu instid0(VALU_DEP_3) | instskip(NEXT) | instid1(VALU_DEP_3)
	v_add_co_ci_u32_e32 v12, vcc_lo, s19, v12, vcc_lo
	v_add_co_u32 v13, vcc_lo, s16, v13
	s_delay_alu instid0(VALU_DEP_4)
	v_add_co_ci_u32_e32 v14, vcc_lo, s17, v14, vcc_lo
	global_load_b64 v[11:12], v[11:12], off
	global_load_b32 v6, v[13:14], off
	s_waitcnt vmcnt(1)
	v_mul_f64 v[11:12], v[9:10], v[11:12]
	s_waitcnt vmcnt(0)
	v_subrev_nc_u32_e32 v6, s45, v6
	s_delay_alu instid0(VALU_DEP_1) | instskip(NEXT) | instid1(VALU_DEP_1)
	v_mul_lo_u32 v8, 0x89, v6
	v_and_b32_e32 v8, 0x7fff, v8
	s_branch .LBB36_15
.LBB36_14:                              ;   in Loop: Header=BB36_15 Depth=3
	s_or_b32 exec_lo, exec_lo, s13
	s_xor_b32 s13, s14, -1
	s_delay_alu instid0(SALU_CYCLE_1) | instskip(NEXT) | instid1(SALU_CYCLE_1)
	s_and_b32 s13, exec_lo, s13
	s_or_b32 s5, s13, s5
	s_delay_alu instid0(SALU_CYCLE_1)
	s_and_not1_b32 exec_lo, exec_lo, s5
	s_cbranch_execz .LBB36_12
.LBB36_15:                              ;   Parent Loop BB36_10 Depth=1
                                        ;     Parent Loop BB36_13 Depth=2
                                        ; =>    This Loop Header: Depth=3
                                        ;         Child Loop BB36_21 Depth 4
                                        ;         Child Loop BB36_27 Depth 4
	s_delay_alu instid0(VALU_DEP_1)
	v_lshl_add_u32 v13, v8, 2, 0
	s_mov_b32 s13, exec_lo
                                        ; implicit-def: $sgpr14
	ds_load_b32 v14, v13
	s_waitcnt lgkmcnt(0)
	v_cmpx_ne_u32_e64 v14, v6
	s_xor_b32 s13, exec_lo, s13
	s_cbranch_execz .LBB36_25
; %bb.16:                               ;   in Loop: Header=BB36_15 Depth=3
	s_mov_b32 s15, exec_lo
                                        ; implicit-def: $sgpr14
	v_cmpx_ne_u32_e64 s33, v14
	s_xor_b32 s15, exec_lo, s15
; %bb.17:                               ;   in Loop: Header=BB36_15 Depth=3
	v_add_nc_u32_e32 v8, 1, v8
	s_mov_b32 s14, -1
                                        ; implicit-def: $vgpr13
	s_delay_alu instid0(VALU_DEP_1)
	v_and_b32_e32 v8, 0x7fff, v8
; %bb.18:                               ;   in Loop: Header=BB36_15 Depth=3
	s_and_not1_saveexec_b32 s15, s15
	s_cbranch_execz .LBB36_24
; %bb.19:                               ;   in Loop: Header=BB36_15 Depth=3
	v_mov_b32_e32 v14, s33
	s_mov_b32 s21, -1
	s_mov_b32 s20, exec_lo
	ds_cmpstore_rtn_b32 v13, v13, v6, v14
	s_waitcnt lgkmcnt(0)
	v_cmpx_eq_u32_e64 s33, v13
	s_cbranch_execz .LBB36_23
; %bb.20:                               ;   in Loop: Header=BB36_15 Depth=3
	v_lshlrev_b32_e32 v13, 3, v8
	s_mov_b32 s21, 0
	s_delay_alu instid0(VALU_DEP_1)
	v_add3_u32 v20, 0, v13, 0x20000
	ds_load_b64 v[13:14], v20
.LBB36_21:                              ;   Parent Loop BB36_10 Depth=1
                                        ;     Parent Loop BB36_13 Depth=2
                                        ;       Parent Loop BB36_15 Depth=3
                                        ; =>      This Inner Loop Header: Depth=4
	s_waitcnt lgkmcnt(0)
	v_add_f64 v[21:22], v[13:14], v[11:12]
	ds_cmpstore_rtn_b64 v[21:22], v20, v[21:22], v[13:14]
	s_waitcnt lgkmcnt(0)
	v_cmp_eq_u64_e32 vcc_lo, v[21:22], v[13:14]
	v_dual_mov_b32 v13, v21 :: v_dual_mov_b32 v14, v22
	s_or_b32 s21, vcc_lo, s21
	s_delay_alu instid0(SALU_CYCLE_1)
	s_and_not1_b32 exec_lo, exec_lo, s21
	s_cbranch_execnz .LBB36_21
; %bb.22:                               ;   in Loop: Header=BB36_15 Depth=3
	s_or_b32 exec_lo, exec_lo, s21
	s_delay_alu instid0(SALU_CYCLE_1)
	s_xor_b32 s21, exec_lo, -1
.LBB36_23:                              ;   in Loop: Header=BB36_15 Depth=3
	s_or_b32 exec_lo, exec_lo, s20
	s_delay_alu instid0(SALU_CYCLE_1) | instskip(SKIP_1) | instid1(SALU_CYCLE_1)
	s_and_not1_b32 s14, s14, exec_lo
	s_and_b32 s20, s21, exec_lo
	s_or_b32 s14, s14, s20
.LBB36_24:                              ;   in Loop: Header=BB36_15 Depth=3
	s_or_b32 exec_lo, exec_lo, s15
	s_delay_alu instid0(SALU_CYCLE_1)
	s_and_b32 s14, s14, exec_lo
.LBB36_25:                              ;   in Loop: Header=BB36_15 Depth=3
	s_and_not1_saveexec_b32 s13, s13
	s_cbranch_execz .LBB36_14
; %bb.26:                               ;   in Loop: Header=BB36_15 Depth=3
	v_lshlrev_b32_e32 v13, 3, v8
	s_mov_b32 s15, 0
	s_delay_alu instid0(VALU_DEP_1)
	v_add3_u32 v20, 0, v13, 0x20000
	ds_load_b64 v[13:14], v20
.LBB36_27:                              ;   Parent Loop BB36_10 Depth=1
                                        ;     Parent Loop BB36_13 Depth=2
                                        ;       Parent Loop BB36_15 Depth=3
                                        ; =>      This Inner Loop Header: Depth=4
	s_waitcnt lgkmcnt(0)
	v_add_f64 v[21:22], v[13:14], v[11:12]
	ds_cmpstore_rtn_b64 v[21:22], v20, v[21:22], v[13:14]
	s_waitcnt lgkmcnt(0)
	v_cmp_eq_u64_e32 vcc_lo, v[21:22], v[13:14]
	v_dual_mov_b32 v13, v21 :: v_dual_mov_b32 v14, v22
	s_or_b32 s15, vcc_lo, s15
	s_delay_alu instid0(SALU_CYCLE_1)
	s_and_not1_b32 exec_lo, exec_lo, s15
	s_cbranch_execnz .LBB36_27
; %bb.28:                               ;   in Loop: Header=BB36_15 Depth=3
	s_or_b32 exec_lo, exec_lo, s15
	s_delay_alu instid0(SALU_CYCLE_1)
	s_and_not1_b32 s14, s14, exec_lo
	s_branch .LBB36_14
.LBB36_29:
	s_or_b32 exec_lo, exec_lo, s1
.LBB36_30:
	s_delay_alu instid0(SALU_CYCLE_1)
	s_and_not1_b32 vcc_lo, exec_lo, s12
	s_cbranch_vccnz .LBB36_51
; %bb.31:
	s_waitcnt lgkmcnt(0)
	s_ashr_i32 s49, s48, 31
	v_subrev_nc_u32_e32 v3, s47, v0
	s_lshl_b64 s[0:1], s[48:49], 2
	s_delay_alu instid0(SALU_CYCLE_1)
	s_add_u32 s0, s36, s0
	s_addc_u32 s1, s37, s1
	s_load_b64 s[0:1], s[0:1], 0x0
	s_waitcnt lgkmcnt(0)
	v_add_nc_u32_e32 v3, s0, v3
	s_sub_i32 s0, s1, s47
	s_mov_b32 s1, exec_lo
	s_delay_alu instid0(VALU_DEP_1)
	v_cmpx_gt_i32_e64 s0, v3
	s_cbranch_execz .LBB36_50
; %bb.32:
	s_mov_b32 s2, 0
	s_branch .LBB36_34
.LBB36_33:                              ;   in Loop: Header=BB36_34 Depth=1
	s_or_b32 exec_lo, exec_lo, s3
	v_add_nc_u32_e32 v3, 0x400, v3
	s_delay_alu instid0(VALU_DEP_1) | instskip(SKIP_1) | instid1(SALU_CYCLE_1)
	v_cmp_le_i32_e32 vcc_lo, s0, v3
	s_or_b32 s2, vcc_lo, s2
	s_and_not1_b32 exec_lo, exec_lo, s2
	s_cbranch_execz .LBB36_50
.LBB36_34:                              ; =>This Loop Header: Depth=1
                                        ;     Child Loop BB36_36 Depth 2
                                        ;       Child Loop BB36_42 Depth 3
                                        ;       Child Loop BB36_48 Depth 3
	v_ashrrev_i32_e32 v4, 31, v3
	s_mov_b32 s3, 0
	s_delay_alu instid0(VALU_DEP_1) | instskip(SKIP_1) | instid1(VALU_DEP_2)
	v_lshlrev_b64 v[5:6], 3, v[3:4]
	v_lshlrev_b64 v[7:8], 2, v[3:4]
	v_add_co_u32 v5, vcc_lo, s40, v5
	s_delay_alu instid0(VALU_DEP_3) | instskip(NEXT) | instid1(VALU_DEP_3)
	v_add_co_ci_u32_e32 v6, vcc_lo, s41, v6, vcc_lo
	v_add_co_u32 v7, vcc_lo, s38, v7
	s_delay_alu instid0(VALU_DEP_4)
	v_add_co_ci_u32_e32 v8, vcc_lo, s39, v8, vcc_lo
	global_load_b64 v[5:6], v[5:6], off
	global_load_b32 v7, v[7:8], off
	s_waitcnt vmcnt(1)
	v_mul_f64 v[4:5], v[1:2], v[5:6]
	s_waitcnt vmcnt(0)
	v_subrev_nc_u32_e32 v8, s47, v7
	s_delay_alu instid0(VALU_DEP_1) | instskip(NEXT) | instid1(VALU_DEP_1)
	v_mul_lo_u32 v6, 0x89, v8
	v_and_b32_e32 v9, 0x7fff, v6
	s_branch .LBB36_36
.LBB36_35:                              ;   in Loop: Header=BB36_36 Depth=2
	s_or_b32 exec_lo, exec_lo, s4
	s_xor_b32 s4, s5, -1
	s_delay_alu instid0(SALU_CYCLE_1) | instskip(NEXT) | instid1(SALU_CYCLE_1)
	s_and_b32 s4, exec_lo, s4
	s_or_b32 s3, s4, s3
	s_delay_alu instid0(SALU_CYCLE_1)
	s_and_not1_b32 exec_lo, exec_lo, s3
	s_cbranch_execz .LBB36_33
.LBB36_36:                              ;   Parent Loop BB36_34 Depth=1
                                        ; =>  This Loop Header: Depth=2
                                        ;       Child Loop BB36_42 Depth 3
                                        ;       Child Loop BB36_48 Depth 3
	s_delay_alu instid0(VALU_DEP_1)
	v_lshl_add_u32 v6, v9, 2, 0
	s_mov_b32 s4, exec_lo
                                        ; implicit-def: $sgpr5
	ds_load_b32 v7, v6
	s_waitcnt lgkmcnt(0)
	v_cmpx_ne_u32_e64 v7, v8
	s_xor_b32 s4, exec_lo, s4
	s_cbranch_execz .LBB36_46
; %bb.37:                               ;   in Loop: Header=BB36_36 Depth=2
	s_mov_b32 s6, exec_lo
                                        ; implicit-def: $sgpr5
	v_cmpx_ne_u32_e64 s33, v7
	s_xor_b32 s6, exec_lo, s6
; %bb.38:                               ;   in Loop: Header=BB36_36 Depth=2
	v_add_nc_u32_e32 v6, 1, v9
	s_mov_b32 s5, -1
	s_delay_alu instid0(VALU_DEP_1)
	v_and_b32_e32 v9, 0x7fff, v6
                                        ; implicit-def: $vgpr6
; %bb.39:                               ;   in Loop: Header=BB36_36 Depth=2
	s_and_not1_saveexec_b32 s6, s6
	s_cbranch_execz .LBB36_45
; %bb.40:                               ;   in Loop: Header=BB36_36 Depth=2
	v_mov_b32_e32 v7, s33
	s_mov_b32 s8, -1
	s_mov_b32 s7, exec_lo
	ds_cmpstore_rtn_b32 v6, v6, v8, v7
	s_waitcnt lgkmcnt(0)
	v_cmpx_eq_u32_e64 s33, v6
	s_cbranch_execz .LBB36_44
; %bb.41:                               ;   in Loop: Header=BB36_36 Depth=2
	v_lshlrev_b32_e32 v6, 3, v9
	s_mov_b32 s8, 0
	s_delay_alu instid0(VALU_DEP_1)
	v_add3_u32 v10, 0, v6, 0x20000
	ds_load_b64 v[6:7], v10
.LBB36_42:                              ;   Parent Loop BB36_34 Depth=1
                                        ;     Parent Loop BB36_36 Depth=2
                                        ; =>    This Inner Loop Header: Depth=3
	s_waitcnt lgkmcnt(0)
	v_add_f64 v[11:12], v[6:7], v[4:5]
	ds_cmpstore_rtn_b64 v[11:12], v10, v[11:12], v[6:7]
	s_waitcnt lgkmcnt(0)
	v_cmp_eq_u64_e32 vcc_lo, v[11:12], v[6:7]
	v_dual_mov_b32 v6, v11 :: v_dual_mov_b32 v7, v12
	s_or_b32 s8, vcc_lo, s8
	s_delay_alu instid0(SALU_CYCLE_1)
	s_and_not1_b32 exec_lo, exec_lo, s8
	s_cbranch_execnz .LBB36_42
; %bb.43:                               ;   in Loop: Header=BB36_36 Depth=2
	s_or_b32 exec_lo, exec_lo, s8
	s_delay_alu instid0(SALU_CYCLE_1)
	s_xor_b32 s8, exec_lo, -1
.LBB36_44:                              ;   in Loop: Header=BB36_36 Depth=2
	s_or_b32 exec_lo, exec_lo, s7
	s_delay_alu instid0(SALU_CYCLE_1) | instskip(SKIP_1) | instid1(SALU_CYCLE_1)
	s_and_not1_b32 s5, s5, exec_lo
	s_and_b32 s7, s8, exec_lo
	s_or_b32 s5, s5, s7
.LBB36_45:                              ;   in Loop: Header=BB36_36 Depth=2
	s_or_b32 exec_lo, exec_lo, s6
	s_delay_alu instid0(SALU_CYCLE_1)
	s_and_b32 s5, s5, exec_lo
.LBB36_46:                              ;   in Loop: Header=BB36_36 Depth=2
	s_and_not1_saveexec_b32 s4, s4
	s_cbranch_execz .LBB36_35
; %bb.47:                               ;   in Loop: Header=BB36_36 Depth=2
	v_lshlrev_b32_e32 v6, 3, v9
	s_mov_b32 s6, 0
	s_delay_alu instid0(VALU_DEP_1)
	v_add3_u32 v10, 0, v6, 0x20000
	ds_load_b64 v[6:7], v10
.LBB36_48:                              ;   Parent Loop BB36_34 Depth=1
                                        ;     Parent Loop BB36_36 Depth=2
                                        ; =>    This Inner Loop Header: Depth=3
	s_waitcnt lgkmcnt(0)
	v_add_f64 v[11:12], v[6:7], v[4:5]
	ds_cmpstore_rtn_b64 v[11:12], v10, v[11:12], v[6:7]
	s_waitcnt lgkmcnt(0)
	v_cmp_eq_u64_e32 vcc_lo, v[11:12], v[6:7]
	v_dual_mov_b32 v6, v11 :: v_dual_mov_b32 v7, v12
	s_or_b32 s6, vcc_lo, s6
	s_delay_alu instid0(SALU_CYCLE_1)
	s_and_not1_b32 exec_lo, exec_lo, s6
	s_cbranch_execnz .LBB36_48
; %bb.49:                               ;   in Loop: Header=BB36_36 Depth=2
	s_or_b32 exec_lo, exec_lo, s6
	s_delay_alu instid0(SALU_CYCLE_1)
	s_and_not1_b32 s5, s5, exec_lo
	s_branch .LBB36_35
.LBB36_50:
	s_or_b32 exec_lo, exec_lo, s1
.LBB36_51:
	v_mbcnt_lo_u32_b32 v1, -1, 0
	v_lshrrev_b32_e32 v2, 3, v0
	s_add_i32 s68, 0, 0x6007c
	v_cmp_eq_u32_e32 vcc_lo, 0x3ff, v0
	v_cmp_lt_u32_e64 s0, 31, v0
	v_xor_b32_e32 v1, 63, v1
	v_dual_mov_b32 v6, s68 :: v_dual_and_b32 v3, 0x7c, v2
	v_cmp_lt_u32_e64 s1, 63, v0
	v_cmp_lt_u32_e64 s2, 0x5f, v0
	s_delay_alu instid0(VALU_DEP_4) | instskip(NEXT) | instid1(VALU_DEP_4)
	v_lshrrev_b64 v[1:2], v1, -1
	v_add3_u32 v4, 0, 0x60000, v3
	v_cmp_lt_u32_e64 s3, 0x7f, v0
	v_cmp_lt_u32_e64 s4, 0x9f, v0
	;; [unrolled: 1-line block ×28, first 2 shown]
	v_mov_b32_e32 v5, 0
	s_mov_b32 s36, 0
	s_add_i32 s37, 0, 0x60000
	s_add_i32 s38, 0, 0x60004
	;; [unrolled: 1-line block ×31, first 2 shown]
	s_waitcnt lgkmcnt(0)
	s_barrier
	buffer_gl0_inv
	s_branch .LBB36_53
.LBB36_52:                              ;   in Loop: Header=BB36_53 Depth=1
	s_or_b32 exec_lo, exec_lo, s31
	s_waitcnt lgkmcnt(0)
	s_barrier
	buffer_gl0_inv
	ds_load_b32 v2, v6
	v_add_nc_u32_e32 v17, 0x400, v17
	v_add_nc_u32_e32 v16, 0x2000, v16
	;; [unrolled: 1-line block ×3, first 2 shown]
	s_delay_alu instid0(VALU_DEP_3) | instskip(NEXT) | instid1(VALU_DEP_1)
	v_cmp_lt_u32_e64 s31, 0x7bff, v17
	s_or_b32 s36, s31, s36
	s_waitcnt lgkmcnt(0)
	v_add_nc_u32_e32 v5, v2, v5
	s_and_not1_b32 exec_lo, exec_lo, s36
	s_cbranch_execz .LBB36_119
.LBB36_53:                              ; =>This Inner Loop Header: Depth=1
	ds_load_b32 v7, v15
	ds_load_b64 v[2:3], v16
	s_waitcnt lgkmcnt(0)
	s_barrier
	buffer_gl0_inv
	v_cmp_gt_i32_e64 s31, s33, v7
	s_delay_alu instid0(VALU_DEP_1) | instskip(NEXT) | instid1(SALU_CYCLE_1)
	s_bcnt1_i32_b32 s73, s31
	v_dual_mov_b32 v9, s73 :: v_dual_and_b32 v8, s31, v1
	s_delay_alu instid0(VALU_DEP_1)
	v_bcnt_u32_b32 v8, v8, 0
	ds_store_b32 v4, v9
	s_waitcnt lgkmcnt(0)
	s_barrier
	buffer_gl0_inv
	s_and_saveexec_b32 s73, s0
	s_cbranch_execnz .LBB36_86
; %bb.54:                               ;   in Loop: Header=BB36_53 Depth=1
	s_or_b32 exec_lo, exec_lo, s73
	s_and_saveexec_b32 s73, s1
	s_cbranch_execnz .LBB36_87
.LBB36_55:                              ;   in Loop: Header=BB36_53 Depth=1
	s_or_b32 exec_lo, exec_lo, s73
	s_and_saveexec_b32 s73, s2
	s_cbranch_execnz .LBB36_88
.LBB36_56:                              ;   in Loop: Header=BB36_53 Depth=1
	s_or_b32 exec_lo, exec_lo, s73
	s_and_saveexec_b32 s73, s3
	s_cbranch_execnz .LBB36_89
.LBB36_57:                              ;   in Loop: Header=BB36_53 Depth=1
	s_or_b32 exec_lo, exec_lo, s73
	s_and_saveexec_b32 s73, s4
	s_cbranch_execnz .LBB36_90
.LBB36_58:                              ;   in Loop: Header=BB36_53 Depth=1
	s_or_b32 exec_lo, exec_lo, s73
	s_and_saveexec_b32 s73, s5
	s_cbranch_execnz .LBB36_91
.LBB36_59:                              ;   in Loop: Header=BB36_53 Depth=1
	s_or_b32 exec_lo, exec_lo, s73
	s_and_saveexec_b32 s73, s6
	s_cbranch_execnz .LBB36_92
.LBB36_60:                              ;   in Loop: Header=BB36_53 Depth=1
	s_or_b32 exec_lo, exec_lo, s73
	s_and_saveexec_b32 s73, s7
	s_cbranch_execnz .LBB36_93
.LBB36_61:                              ;   in Loop: Header=BB36_53 Depth=1
	s_or_b32 exec_lo, exec_lo, s73
	s_and_saveexec_b32 s73, s8
	s_cbranch_execnz .LBB36_94
.LBB36_62:                              ;   in Loop: Header=BB36_53 Depth=1
	s_or_b32 exec_lo, exec_lo, s73
	s_and_saveexec_b32 s73, s9
	s_cbranch_execnz .LBB36_95
.LBB36_63:                              ;   in Loop: Header=BB36_53 Depth=1
	s_or_b32 exec_lo, exec_lo, s73
	s_and_saveexec_b32 s73, s10
	s_cbranch_execnz .LBB36_96
.LBB36_64:                              ;   in Loop: Header=BB36_53 Depth=1
	s_or_b32 exec_lo, exec_lo, s73
	s_and_saveexec_b32 s73, s11
	s_cbranch_execnz .LBB36_97
.LBB36_65:                              ;   in Loop: Header=BB36_53 Depth=1
	s_or_b32 exec_lo, exec_lo, s73
	s_and_saveexec_b32 s73, s12
	s_cbranch_execnz .LBB36_98
.LBB36_66:                              ;   in Loop: Header=BB36_53 Depth=1
	s_or_b32 exec_lo, exec_lo, s73
	s_and_saveexec_b32 s73, s13
	s_cbranch_execnz .LBB36_99
.LBB36_67:                              ;   in Loop: Header=BB36_53 Depth=1
	s_or_b32 exec_lo, exec_lo, s73
	s_and_saveexec_b32 s73, s14
	s_cbranch_execnz .LBB36_100
.LBB36_68:                              ;   in Loop: Header=BB36_53 Depth=1
	s_or_b32 exec_lo, exec_lo, s73
	s_and_saveexec_b32 s73, s15
	s_cbranch_execnz .LBB36_101
.LBB36_69:                              ;   in Loop: Header=BB36_53 Depth=1
	s_or_b32 exec_lo, exec_lo, s73
	s_and_saveexec_b32 s73, s16
	s_cbranch_execnz .LBB36_102
.LBB36_70:                              ;   in Loop: Header=BB36_53 Depth=1
	s_or_b32 exec_lo, exec_lo, s73
	s_and_saveexec_b32 s73, s17
	s_cbranch_execnz .LBB36_103
.LBB36_71:                              ;   in Loop: Header=BB36_53 Depth=1
	s_or_b32 exec_lo, exec_lo, s73
	s_and_saveexec_b32 s73, s18
	s_cbranch_execnz .LBB36_104
.LBB36_72:                              ;   in Loop: Header=BB36_53 Depth=1
	s_or_b32 exec_lo, exec_lo, s73
	s_and_saveexec_b32 s73, s19
	s_cbranch_execnz .LBB36_105
.LBB36_73:                              ;   in Loop: Header=BB36_53 Depth=1
	s_or_b32 exec_lo, exec_lo, s73
	s_and_saveexec_b32 s73, s20
	s_cbranch_execnz .LBB36_106
.LBB36_74:                              ;   in Loop: Header=BB36_53 Depth=1
	s_or_b32 exec_lo, exec_lo, s73
	s_and_saveexec_b32 s73, s21
	s_cbranch_execnz .LBB36_107
.LBB36_75:                              ;   in Loop: Header=BB36_53 Depth=1
	s_or_b32 exec_lo, exec_lo, s73
	s_and_saveexec_b32 s73, s22
	s_cbranch_execnz .LBB36_108
.LBB36_76:                              ;   in Loop: Header=BB36_53 Depth=1
	s_or_b32 exec_lo, exec_lo, s73
	s_and_saveexec_b32 s73, s23
	s_cbranch_execnz .LBB36_109
.LBB36_77:                              ;   in Loop: Header=BB36_53 Depth=1
	s_or_b32 exec_lo, exec_lo, s73
	s_and_saveexec_b32 s73, s24
	s_cbranch_execnz .LBB36_110
.LBB36_78:                              ;   in Loop: Header=BB36_53 Depth=1
	s_or_b32 exec_lo, exec_lo, s73
	s_and_saveexec_b32 s73, s25
	s_cbranch_execnz .LBB36_111
.LBB36_79:                              ;   in Loop: Header=BB36_53 Depth=1
	s_or_b32 exec_lo, exec_lo, s73
	s_and_saveexec_b32 s73, s26
	s_cbranch_execnz .LBB36_112
.LBB36_80:                              ;   in Loop: Header=BB36_53 Depth=1
	s_or_b32 exec_lo, exec_lo, s73
	s_and_saveexec_b32 s73, s27
	s_cbranch_execnz .LBB36_113
.LBB36_81:                              ;   in Loop: Header=BB36_53 Depth=1
	s_or_b32 exec_lo, exec_lo, s73
	s_and_saveexec_b32 s73, s28
	s_cbranch_execnz .LBB36_114
.LBB36_82:                              ;   in Loop: Header=BB36_53 Depth=1
	s_or_b32 exec_lo, exec_lo, s73
	s_and_saveexec_b32 s73, s29
	s_cbranch_execnz .LBB36_115
.LBB36_83:                              ;   in Loop: Header=BB36_53 Depth=1
	s_or_b32 exec_lo, exec_lo, s73
	s_and_saveexec_b32 s73, s30
	s_cbranch_execnz .LBB36_116
.LBB36_84:                              ;   in Loop: Header=BB36_53 Depth=1
	s_or_b32 exec_lo, exec_lo, s73
	s_and_saveexec_b32 s73, s31
	s_cbranch_execnz .LBB36_117
.LBB36_85:                              ;   in Loop: Header=BB36_53 Depth=1
	s_or_b32 exec_lo, exec_lo, s73
	s_and_saveexec_b32 s31, vcc_lo
	s_cbranch_execz .LBB36_52
	s_branch .LBB36_118
.LBB36_86:                              ;   in Loop: Header=BB36_53 Depth=1
	v_mov_b32_e32 v9, s37
	ds_load_b32 v9, v9
	s_waitcnt lgkmcnt(0)
	v_add_nc_u32_e32 v8, v9, v8
	s_or_b32 exec_lo, exec_lo, s73
	s_and_saveexec_b32 s73, s1
	s_cbranch_execz .LBB36_55
.LBB36_87:                              ;   in Loop: Header=BB36_53 Depth=1
	v_mov_b32_e32 v9, s38
	ds_load_b32 v9, v9
	s_waitcnt lgkmcnt(0)
	v_add_nc_u32_e32 v8, v9, v8
	s_or_b32 exec_lo, exec_lo, s73
	s_and_saveexec_b32 s73, s2
	s_cbranch_execz .LBB36_56
.LBB36_88:                              ;   in Loop: Header=BB36_53 Depth=1
	v_mov_b32_e32 v9, s39
	ds_load_b32 v9, v9
	s_waitcnt lgkmcnt(0)
	v_add_nc_u32_e32 v8, v9, v8
	s_or_b32 exec_lo, exec_lo, s73
	s_and_saveexec_b32 s73, s3
	s_cbranch_execz .LBB36_57
.LBB36_89:                              ;   in Loop: Header=BB36_53 Depth=1
	v_mov_b32_e32 v9, s40
	ds_load_b32 v9, v9
	s_waitcnt lgkmcnt(0)
	v_add_nc_u32_e32 v8, v9, v8
	s_or_b32 exec_lo, exec_lo, s73
	s_and_saveexec_b32 s73, s4
	s_cbranch_execz .LBB36_58
.LBB36_90:                              ;   in Loop: Header=BB36_53 Depth=1
	v_mov_b32_e32 v9, s41
	ds_load_b32 v9, v9
	s_waitcnt lgkmcnt(0)
	v_add_nc_u32_e32 v8, v9, v8
	s_or_b32 exec_lo, exec_lo, s73
	s_and_saveexec_b32 s73, s5
	s_cbranch_execz .LBB36_59
.LBB36_91:                              ;   in Loop: Header=BB36_53 Depth=1
	v_mov_b32_e32 v9, s44
	ds_load_b32 v9, v9
	s_waitcnt lgkmcnt(0)
	v_add_nc_u32_e32 v8, v9, v8
	s_or_b32 exec_lo, exec_lo, s73
	s_and_saveexec_b32 s73, s6
	s_cbranch_execz .LBB36_60
.LBB36_92:                              ;   in Loop: Header=BB36_53 Depth=1
	v_mov_b32_e32 v9, s45
	ds_load_b32 v9, v9
	s_waitcnt lgkmcnt(0)
	v_add_nc_u32_e32 v8, v9, v8
	s_or_b32 exec_lo, exec_lo, s73
	s_and_saveexec_b32 s73, s7
	s_cbranch_execz .LBB36_61
.LBB36_93:                              ;   in Loop: Header=BB36_53 Depth=1
	v_mov_b32_e32 v9, s47
	ds_load_b32 v9, v9
	s_waitcnt lgkmcnt(0)
	v_add_nc_u32_e32 v8, v9, v8
	s_or_b32 exec_lo, exec_lo, s73
	s_and_saveexec_b32 s73, s8
	s_cbranch_execz .LBB36_62
.LBB36_94:                              ;   in Loop: Header=BB36_53 Depth=1
	v_mov_b32_e32 v9, s49
	ds_load_b32 v9, v9
	s_waitcnt lgkmcnt(0)
	v_add_nc_u32_e32 v8, v9, v8
	s_or_b32 exec_lo, exec_lo, s73
	s_and_saveexec_b32 s73, s9
	s_cbranch_execz .LBB36_63
.LBB36_95:                              ;   in Loop: Header=BB36_53 Depth=1
	v_mov_b32_e32 v9, s50
	ds_load_b32 v9, v9
	s_waitcnt lgkmcnt(0)
	v_add_nc_u32_e32 v8, v9, v8
	s_or_b32 exec_lo, exec_lo, s73
	s_and_saveexec_b32 s73, s10
	s_cbranch_execz .LBB36_64
.LBB36_96:                              ;   in Loop: Header=BB36_53 Depth=1
	v_mov_b32_e32 v9, s51
	ds_load_b32 v9, v9
	s_waitcnt lgkmcnt(0)
	v_add_nc_u32_e32 v8, v9, v8
	s_or_b32 exec_lo, exec_lo, s73
	s_and_saveexec_b32 s73, s11
	s_cbranch_execz .LBB36_65
.LBB36_97:                              ;   in Loop: Header=BB36_53 Depth=1
	v_mov_b32_e32 v9, s52
	ds_load_b32 v9, v9
	s_waitcnt lgkmcnt(0)
	v_add_nc_u32_e32 v8, v9, v8
	s_or_b32 exec_lo, exec_lo, s73
	s_and_saveexec_b32 s73, s12
	s_cbranch_execz .LBB36_66
.LBB36_98:                              ;   in Loop: Header=BB36_53 Depth=1
	v_mov_b32_e32 v9, s53
	ds_load_b32 v9, v9
	s_waitcnt lgkmcnt(0)
	v_add_nc_u32_e32 v8, v9, v8
	s_or_b32 exec_lo, exec_lo, s73
	s_and_saveexec_b32 s73, s13
	s_cbranch_execz .LBB36_67
.LBB36_99:                              ;   in Loop: Header=BB36_53 Depth=1
	v_mov_b32_e32 v9, s54
	ds_load_b32 v9, v9
	s_waitcnt lgkmcnt(0)
	v_add_nc_u32_e32 v8, v9, v8
	s_or_b32 exec_lo, exec_lo, s73
	s_and_saveexec_b32 s73, s14
	s_cbranch_execz .LBB36_68
.LBB36_100:                             ;   in Loop: Header=BB36_53 Depth=1
	v_mov_b32_e32 v9, s55
	ds_load_b32 v9, v9
	s_waitcnt lgkmcnt(0)
	v_add_nc_u32_e32 v8, v9, v8
	s_or_b32 exec_lo, exec_lo, s73
	s_and_saveexec_b32 s73, s15
	s_cbranch_execz .LBB36_69
.LBB36_101:                             ;   in Loop: Header=BB36_53 Depth=1
	v_mov_b32_e32 v9, s56
	ds_load_b32 v9, v9
	s_waitcnt lgkmcnt(0)
	v_add_nc_u32_e32 v8, v9, v8
	s_or_b32 exec_lo, exec_lo, s73
	s_and_saveexec_b32 s73, s16
	s_cbranch_execz .LBB36_70
.LBB36_102:                             ;   in Loop: Header=BB36_53 Depth=1
	v_mov_b32_e32 v9, s57
	ds_load_b32 v9, v9
	s_waitcnt lgkmcnt(0)
	v_add_nc_u32_e32 v8, v9, v8
	s_or_b32 exec_lo, exec_lo, s73
	s_and_saveexec_b32 s73, s17
	s_cbranch_execz .LBB36_71
.LBB36_103:                             ;   in Loop: Header=BB36_53 Depth=1
	v_mov_b32_e32 v9, s58
	ds_load_b32 v9, v9
	s_waitcnt lgkmcnt(0)
	v_add_nc_u32_e32 v8, v9, v8
	s_or_b32 exec_lo, exec_lo, s73
	s_and_saveexec_b32 s73, s18
	s_cbranch_execz .LBB36_72
.LBB36_104:                             ;   in Loop: Header=BB36_53 Depth=1
	v_mov_b32_e32 v9, s59
	ds_load_b32 v9, v9
	s_waitcnt lgkmcnt(0)
	v_add_nc_u32_e32 v8, v9, v8
	s_or_b32 exec_lo, exec_lo, s73
	s_and_saveexec_b32 s73, s19
	s_cbranch_execz .LBB36_73
.LBB36_105:                             ;   in Loop: Header=BB36_53 Depth=1
	v_mov_b32_e32 v9, s60
	ds_load_b32 v9, v9
	s_waitcnt lgkmcnt(0)
	v_add_nc_u32_e32 v8, v9, v8
	s_or_b32 exec_lo, exec_lo, s73
	s_and_saveexec_b32 s73, s20
	s_cbranch_execz .LBB36_74
.LBB36_106:                             ;   in Loop: Header=BB36_53 Depth=1
	v_mov_b32_e32 v9, s61
	ds_load_b32 v9, v9
	s_waitcnt lgkmcnt(0)
	v_add_nc_u32_e32 v8, v9, v8
	s_or_b32 exec_lo, exec_lo, s73
	s_and_saveexec_b32 s73, s21
	s_cbranch_execz .LBB36_75
.LBB36_107:                             ;   in Loop: Header=BB36_53 Depth=1
	v_mov_b32_e32 v9, s62
	ds_load_b32 v9, v9
	s_waitcnt lgkmcnt(0)
	v_add_nc_u32_e32 v8, v9, v8
	s_or_b32 exec_lo, exec_lo, s73
	s_and_saveexec_b32 s73, s22
	s_cbranch_execz .LBB36_76
.LBB36_108:                             ;   in Loop: Header=BB36_53 Depth=1
	v_mov_b32_e32 v9, s63
	ds_load_b32 v9, v9
	s_waitcnt lgkmcnt(0)
	v_add_nc_u32_e32 v8, v9, v8
	s_or_b32 exec_lo, exec_lo, s73
	s_and_saveexec_b32 s73, s23
	s_cbranch_execz .LBB36_77
.LBB36_109:                             ;   in Loop: Header=BB36_53 Depth=1
	v_mov_b32_e32 v9, s64
	ds_load_b32 v9, v9
	s_waitcnt lgkmcnt(0)
	v_add_nc_u32_e32 v8, v9, v8
	s_or_b32 exec_lo, exec_lo, s73
	s_and_saveexec_b32 s73, s24
	s_cbranch_execz .LBB36_78
.LBB36_110:                             ;   in Loop: Header=BB36_53 Depth=1
	v_mov_b32_e32 v9, s65
	ds_load_b32 v9, v9
	s_waitcnt lgkmcnt(0)
	v_add_nc_u32_e32 v8, v9, v8
	s_or_b32 exec_lo, exec_lo, s73
	s_and_saveexec_b32 s73, s25
	s_cbranch_execz .LBB36_79
.LBB36_111:                             ;   in Loop: Header=BB36_53 Depth=1
	v_mov_b32_e32 v9, s66
	ds_load_b32 v9, v9
	s_waitcnt lgkmcnt(0)
	v_add_nc_u32_e32 v8, v9, v8
	s_or_b32 exec_lo, exec_lo, s73
	s_and_saveexec_b32 s73, s26
	s_cbranch_execz .LBB36_80
.LBB36_112:                             ;   in Loop: Header=BB36_53 Depth=1
	v_mov_b32_e32 v9, s67
	ds_load_b32 v9, v9
	s_waitcnt lgkmcnt(0)
	v_add_nc_u32_e32 v8, v9, v8
	s_or_b32 exec_lo, exec_lo, s73
	s_and_saveexec_b32 s73, s27
	s_cbranch_execz .LBB36_81
.LBB36_113:                             ;   in Loop: Header=BB36_53 Depth=1
	v_mov_b32_e32 v9, s69
	ds_load_b32 v9, v9
	s_waitcnt lgkmcnt(0)
	v_add_nc_u32_e32 v8, v9, v8
	s_or_b32 exec_lo, exec_lo, s73
	s_and_saveexec_b32 s73, s28
	s_cbranch_execz .LBB36_82
.LBB36_114:                             ;   in Loop: Header=BB36_53 Depth=1
	v_mov_b32_e32 v9, s70
	ds_load_b32 v9, v9
	s_waitcnt lgkmcnt(0)
	v_add_nc_u32_e32 v8, v9, v8
	s_or_b32 exec_lo, exec_lo, s73
	s_and_saveexec_b32 s73, s29
	s_cbranch_execz .LBB36_83
.LBB36_115:                             ;   in Loop: Header=BB36_53 Depth=1
	v_mov_b32_e32 v9, s71
	ds_load_b32 v9, v9
	s_waitcnt lgkmcnt(0)
	v_add_nc_u32_e32 v8, v9, v8
	s_or_b32 exec_lo, exec_lo, s73
	s_and_saveexec_b32 s73, s30
	s_cbranch_execz .LBB36_84
.LBB36_116:                             ;   in Loop: Header=BB36_53 Depth=1
	v_mov_b32_e32 v9, s72
	ds_load_b32 v9, v9
	s_waitcnt lgkmcnt(0)
	v_add_nc_u32_e32 v8, v9, v8
	s_or_b32 exec_lo, exec_lo, s73
	s_and_saveexec_b32 s73, s31
	s_cbranch_execz .LBB36_85
.LBB36_117:                             ;   in Loop: Header=BB36_53 Depth=1
	s_delay_alu instid0(VALU_DEP_1) | instskip(NEXT) | instid1(VALU_DEP_1)
	v_add3_u32 v9, v5, -1, v8
	v_lshlrev_b32_e32 v10, 3, v9
	v_lshl_add_u32 v9, v9, 2, 0
	s_delay_alu instid0(VALU_DEP_2)
	v_add3_u32 v10, 0, v10, 0x20000
	ds_store_b32 v9, v7
	ds_store_b64 v10, v[2:3]
	s_or_b32 exec_lo, exec_lo, s73
	s_and_saveexec_b32 s31, vcc_lo
	s_cbranch_execz .LBB36_52
.LBB36_118:                             ;   in Loop: Header=BB36_53 Depth=1
	v_mov_b32_e32 v2, s68
	ds_store_b32 v2, v8
	s_branch .LBB36_52
.LBB36_119:
	s_or_b32 exec_lo, exec_lo, s36
	s_ashr_i32 s49, s48, 31
	s_mov_b32 s3, exec_lo
	s_lshl_b64 s[0:1], s[48:49], 2
	s_delay_alu instid0(SALU_CYCLE_1) | instskip(SKIP_4) | instid1(SALU_CYCLE_1)
	s_add_u32 s0, s42, s0
	s_addc_u32 s1, s43, s1
	s_load_b64 s[0:1], s[0:1], 0x0
	s_waitcnt lgkmcnt(0)
	s_sub_i32 s2, s1, s0
	v_cmpx_gt_i32_e64 s2, v0
	s_cbranch_execz .LBB36_129
; %bb.120:
	s_sub_i32 s3, s0, s46
	s_sub_i32 s0, s0, s1
	s_and_b32 s1, s2, 7
	s_cmp_lt_u32 s0, -7
	s_mov_b32 s7, 0
	s_cselect_b32 s4, -1, 0
	s_and_b32 s5, s2, -8
	s_cmp_lg_u32 s1, 0
	s_cselect_b32 s6, -1, 0
	s_branch .LBB36_122
.LBB36_121:                             ;   in Loop: Header=BB36_122 Depth=1
	s_waitcnt lgkmcnt(1)
	s_delay_alu instid0(VALU_DEP_1) | instskip(SKIP_1) | instid1(VALU_DEP_2)
	v_ashrrev_i32_e32 v4, 31, v3
	v_add_nc_u32_e32 v0, 0x400, v0
	v_lshlrev_b64 v[3:4], 3, v[3:4]
	s_delay_alu instid0(VALU_DEP_2) | instskip(SKIP_1) | instid1(VALU_DEP_2)
	v_cmp_le_i32_e32 vcc_lo, s2, v0
	s_or_b32 s7, vcc_lo, s7
	v_add_co_u32 v3, s0, s34, v3
	s_delay_alu instid0(VALU_DEP_1)
	v_add_co_ci_u32_e64 v4, s0, s35, v4, s0
	s_waitcnt lgkmcnt(0)
	global_store_b64 v[3:4], v[1:2], off
	s_and_not1_b32 exec_lo, exec_lo, s7
	s_cbranch_execz .LBB36_129
.LBB36_122:                             ; =>This Loop Header: Depth=1
                                        ;     Child Loop BB36_124 Depth 2
                                        ;     Child Loop BB36_128 Depth 2
	v_lshlrev_b32_e32 v1, 3, v0
	v_lshl_add_u32 v2, v0, 2, 0
	v_mov_b32_e32 v3, s3
	s_and_not1_b32 vcc_lo, exec_lo, s4
	s_mov_b32 s0, 0
	v_add3_u32 v1, 0, v1, 0x20000
	ds_load_b32 v4, v2
	ds_load_b64 v[1:2], v1
	s_cbranch_vccnz .LBB36_126
; %bb.123:                              ;   in Loop: Header=BB36_122 Depth=1
	v_mov_b32_e32 v3, s3
	s_mov_b32 s8, 0
	s_set_inst_prefetch_distance 0x1
	.p2align	6
.LBB36_124:                             ;   Parent Loop BB36_122 Depth=1
                                        ; =>  This Inner Loop Header: Depth=2
	v_mov_b32_e32 v11, s8
	s_add_i32 s0, s0, 8
	s_add_i32 s8, s8, 32
	s_cmp_eq_u32 s5, s0
	ds_load_2addr_b32 v[5:6], v11 offset1:1
	ds_load_2addr_b32 v[7:8], v11 offset0:2 offset1:3
	ds_load_2addr_b32 v[9:10], v11 offset0:4 offset1:5
	;; [unrolled: 1-line block ×3, first 2 shown]
	s_waitcnt lgkmcnt(3)
	v_cmp_gt_i32_e32 vcc_lo, v4, v5
	v_cndmask_b32_e64 v5, 0, 1, vcc_lo
	s_waitcnt lgkmcnt(2)
	v_cmp_gt_i32_e32 vcc_lo, v4, v7
	v_cndmask_b32_e64 v7, 0, 1, vcc_lo
	v_cmp_gt_i32_e32 vcc_lo, v4, v6
	v_add_co_ci_u32_e32 v3, vcc_lo, v3, v5, vcc_lo
	s_waitcnt lgkmcnt(1)
	v_cmp_gt_i32_e32 vcc_lo, v4, v9
	v_cndmask_b32_e64 v5, 0, 1, vcc_lo
	v_cmp_gt_i32_e32 vcc_lo, v4, v8
	v_add_co_ci_u32_e32 v3, vcc_lo, v3, v7, vcc_lo
	s_waitcnt lgkmcnt(0)
	v_cmp_gt_i32_e32 vcc_lo, v4, v11
	v_cndmask_b32_e64 v6, 0, 1, vcc_lo
	v_cmp_gt_i32_e32 vcc_lo, v4, v10
	v_add_co_ci_u32_e32 v3, vcc_lo, v3, v5, vcc_lo
	v_cmp_gt_i32_e32 vcc_lo, v4, v12
	s_delay_alu instid0(VALU_DEP_2)
	v_add_co_ci_u32_e32 v3, vcc_lo, v3, v6, vcc_lo
	s_cbranch_scc0 .LBB36_124
; %bb.125:                              ;   in Loop: Header=BB36_122 Depth=1
	s_set_inst_prefetch_distance 0x2
	s_mov_b32 s0, s5
.LBB36_126:                             ;   in Loop: Header=BB36_122 Depth=1
	s_and_not1_b32 vcc_lo, exec_lo, s6
	s_cbranch_vccnz .LBB36_121
; %bb.127:                              ;   in Loop: Header=BB36_122 Depth=1
	s_lshl_b32 s0, s0, 2
	s_mov_b32 s8, s1
	s_add_i32 s0, s0, 0
.LBB36_128:                             ;   Parent Loop BB36_122 Depth=1
                                        ; =>  This Inner Loop Header: Depth=2
	s_delay_alu instid0(SALU_CYCLE_1)
	v_mov_b32_e32 v5, s0
	s_add_i32 s8, s8, -1
	s_add_i32 s0, s0, 4
	s_cmp_lg_u32 s8, 0
	ds_load_b32 v5, v5
	s_waitcnt lgkmcnt(0)
	v_cmp_gt_i32_e32 vcc_lo, v4, v5
	v_add_co_ci_u32_e32 v3, vcc_lo, 0, v3, vcc_lo
	s_cbranch_scc1 .LBB36_128
	s_branch .LBB36_121
.LBB36_129:
	s_nop 0
	s_sendmsg sendmsg(MSG_DEALLOC_VGPRS)
	s_endpgm
	.section	.rodata,"a",@progbits
	.p2align	6, 0x0
	.amdhsa_kernel _ZN9rocsparseL41csrgemm_numeric_fill_block_per_row_kernelILj1024ELj64ELj32768ELj137ELj32EiidEEvT5_PKS1_S3_NS_24const_host_device_scalarIT6_EEPKT4_S3_PKS5_S9_S3_SB_S6_S9_S3_SB_S9_S3_PS5_21rocsparse_index_base_SD_SD_SD_bbb
		.amdhsa_group_segment_fixed_size 0
		.amdhsa_private_segment_fixed_size 0
		.amdhsa_kernarg_size 156
		.amdhsa_user_sgpr_count 15
		.amdhsa_user_sgpr_dispatch_ptr 0
		.amdhsa_user_sgpr_queue_ptr 0
		.amdhsa_user_sgpr_kernarg_segment_ptr 1
		.amdhsa_user_sgpr_dispatch_id 0
		.amdhsa_user_sgpr_private_segment_size 0
		.amdhsa_wavefront_size32 1
		.amdhsa_uses_dynamic_stack 0
		.amdhsa_enable_private_segment 0
		.amdhsa_system_sgpr_workgroup_id_x 1
		.amdhsa_system_sgpr_workgroup_id_y 0
		.amdhsa_system_sgpr_workgroup_id_z 0
		.amdhsa_system_sgpr_workgroup_info 0
		.amdhsa_system_vgpr_workitem_id 0
		.amdhsa_next_free_vgpr 23
		.amdhsa_next_free_sgpr 74
		.amdhsa_reserve_vcc 1
		.amdhsa_float_round_mode_32 0
		.amdhsa_float_round_mode_16_64 0
		.amdhsa_float_denorm_mode_32 3
		.amdhsa_float_denorm_mode_16_64 3
		.amdhsa_dx10_clamp 1
		.amdhsa_ieee_mode 1
		.amdhsa_fp16_overflow 0
		.amdhsa_workgroup_processor_mode 1
		.amdhsa_memory_ordered 1
		.amdhsa_forward_progress 0
		.amdhsa_shared_vgpr_count 0
		.amdhsa_exception_fp_ieee_invalid_op 0
		.amdhsa_exception_fp_denorm_src 0
		.amdhsa_exception_fp_ieee_div_zero 0
		.amdhsa_exception_fp_ieee_overflow 0
		.amdhsa_exception_fp_ieee_underflow 0
		.amdhsa_exception_fp_ieee_inexact 0
		.amdhsa_exception_int_div_zero 0
	.end_amdhsa_kernel
	.section	.text._ZN9rocsparseL41csrgemm_numeric_fill_block_per_row_kernelILj1024ELj64ELj32768ELj137ELj32EiidEEvT5_PKS1_S3_NS_24const_host_device_scalarIT6_EEPKT4_S3_PKS5_S9_S3_SB_S6_S9_S3_SB_S9_S3_PS5_21rocsparse_index_base_SD_SD_SD_bbb,"axG",@progbits,_ZN9rocsparseL41csrgemm_numeric_fill_block_per_row_kernelILj1024ELj64ELj32768ELj137ELj32EiidEEvT5_PKS1_S3_NS_24const_host_device_scalarIT6_EEPKT4_S3_PKS5_S9_S3_SB_S6_S9_S3_SB_S9_S3_PS5_21rocsparse_index_base_SD_SD_SD_bbb,comdat
.Lfunc_end36:
	.size	_ZN9rocsparseL41csrgemm_numeric_fill_block_per_row_kernelILj1024ELj64ELj32768ELj137ELj32EiidEEvT5_PKS1_S3_NS_24const_host_device_scalarIT6_EEPKT4_S3_PKS5_S9_S3_SB_S6_S9_S3_SB_S9_S3_PS5_21rocsparse_index_base_SD_SD_SD_bbb, .Lfunc_end36-_ZN9rocsparseL41csrgemm_numeric_fill_block_per_row_kernelILj1024ELj64ELj32768ELj137ELj32EiidEEvT5_PKS1_S3_NS_24const_host_device_scalarIT6_EEPKT4_S3_PKS5_S9_S3_SB_S6_S9_S3_SB_S9_S3_PS5_21rocsparse_index_base_SD_SD_SD_bbb
                                        ; -- End function
	.section	.AMDGPU.csdata,"",@progbits
; Kernel info:
; codeLenInByte = 4772
; NumSgprs: 76
; NumVgprs: 23
; ScratchSize: 0
; MemoryBound: 0
; FloatMode: 240
; IeeeMode: 1
; LDSByteSize: 0 bytes/workgroup (compile time only)
; SGPRBlocks: 9
; VGPRBlocks: 2
; NumSGPRsForWavesPerEU: 76
; NumVGPRsForWavesPerEU: 23
; Occupancy: 16
; WaveLimiterHint : 1
; COMPUTE_PGM_RSRC2:SCRATCH_EN: 0
; COMPUTE_PGM_RSRC2:USER_SGPR: 15
; COMPUTE_PGM_RSRC2:TRAP_HANDLER: 0
; COMPUTE_PGM_RSRC2:TGID_X_EN: 1
; COMPUTE_PGM_RSRC2:TGID_Y_EN: 0
; COMPUTE_PGM_RSRC2:TGID_Z_EN: 0
; COMPUTE_PGM_RSRC2:TIDIG_COMP_CNT: 0
	.section	.text._ZN9rocsparseL41csrgemm_numeric_fill_block_per_row_kernelILj1024ELj64ELj32768ELj137ELj64EiidEEvT5_PKS1_S3_NS_24const_host_device_scalarIT6_EEPKT4_S3_PKS5_S9_S3_SB_S6_S9_S3_SB_S9_S3_PS5_21rocsparse_index_base_SD_SD_SD_bbb,"axG",@progbits,_ZN9rocsparseL41csrgemm_numeric_fill_block_per_row_kernelILj1024ELj64ELj32768ELj137ELj64EiidEEvT5_PKS1_S3_NS_24const_host_device_scalarIT6_EEPKT4_S3_PKS5_S9_S3_SB_S6_S9_S3_SB_S9_S3_PS5_21rocsparse_index_base_SD_SD_SD_bbb,comdat
	.globl	_ZN9rocsparseL41csrgemm_numeric_fill_block_per_row_kernelILj1024ELj64ELj32768ELj137ELj64EiidEEvT5_PKS1_S3_NS_24const_host_device_scalarIT6_EEPKT4_S3_PKS5_S9_S3_SB_S6_S9_S3_SB_S9_S3_PS5_21rocsparse_index_base_SD_SD_SD_bbb ; -- Begin function _ZN9rocsparseL41csrgemm_numeric_fill_block_per_row_kernelILj1024ELj64ELj32768ELj137ELj64EiidEEvT5_PKS1_S3_NS_24const_host_device_scalarIT6_EEPKT4_S3_PKS5_S9_S3_SB_S6_S9_S3_SB_S9_S3_PS5_21rocsparse_index_base_SD_SD_SD_bbb
	.p2align	8
	.type	_ZN9rocsparseL41csrgemm_numeric_fill_block_per_row_kernelILj1024ELj64ELj32768ELj137ELj64EiidEEvT5_PKS1_S3_NS_24const_host_device_scalarIT6_EEPKT4_S3_PKS5_S9_S3_SB_S6_S9_S3_SB_S9_S3_PS5_21rocsparse_index_base_SD_SD_SD_bbb,@function
_ZN9rocsparseL41csrgemm_numeric_fill_block_per_row_kernelILj1024ELj64ELj32768ELj137ELj64EiidEEvT5_PKS1_S3_NS_24const_host_device_scalarIT6_EEPKT4_S3_PKS5_S9_S3_SB_S6_S9_S3_SB_S9_S3_PS5_21rocsparse_index_base_SD_SD_SD_bbb: ; @_ZN9rocsparseL41csrgemm_numeric_fill_block_per_row_kernelILj1024ELj64ELj32768ELj137ELj64EiidEEvT5_PKS1_S3_NS_24const_host_device_scalarIT6_EEPKT4_S3_PKS5_S9_S3_SB_S6_S9_S3_SB_S9_S3_PS5_21rocsparse_index_base_SD_SD_SD_bbb
; %bb.0:
	s_clause 0x3
	s_load_b32 s12, s[0:1], 0x98
	s_load_b64 s[4:5], s[0:1], 0x18
	s_load_b128 s[24:27], s[0:1], 0x88
	s_load_b64 s[2:3], s[0:1], 0x50
	s_waitcnt lgkmcnt(0)
	s_and_b32 s6, 1, s12
	s_bitcmp1_b32 s12, 16
	s_cselect_b32 s14, -1, 0
	s_cmp_eq_u32 s6, 1
	s_cselect_b32 s13, -1, 0
	s_delay_alu instid0(SALU_CYCLE_1)
	s_and_b32 s6, s13, exec_lo
	s_cselect_b32 s7, s5, 0
	s_cselect_b32 s6, s4, 0
	s_xor_b32 s8, s13, -1
	v_dual_mov_b32 v3, s6 :: v_dual_mov_b32 v4, s7
	s_or_b32 s8, s8, s14
	s_delay_alu instid0(SALU_CYCLE_1)
	s_and_b32 vcc_lo, exec_lo, s8
	s_cbranch_vccnz .LBB37_2
; %bb.1:
	v_dual_mov_b32 v1, s4 :: v_dual_mov_b32 v2, s5
	flat_load_b64 v[3:4], v[1:2]
.LBB37_2:
	s_clause 0x4
	s_load_b64 s[34:35], s[0:1], 0x80
	s_load_b256 s[16:23], s[0:1], 0x58
	s_load_b128 s[28:31], s[0:1], 0x40
	s_load_b128 s[36:39], s[0:1], 0x8
	s_load_b256 s[4:11], s[0:1], 0x20
	s_bitcmp1_b32 s12, 8
	s_cselect_b32 s12, -1, 0
	s_delay_alu instid0(SALU_CYCLE_1)
	s_and_b32 s33, s12, exec_lo
	s_cselect_b32 s41, s3, 0
	s_cselect_b32 s40, s2, 0
	s_xor_b32 s33, s12, -1
	v_dual_mov_b32 v1, s40 :: v_dual_mov_b32 v2, s41
	s_or_b32 s14, s33, s14
	s_delay_alu instid0(SALU_CYCLE_1)
	s_and_b32 vcc_lo, exec_lo, s14
	s_cbranch_vccnz .LBB37_4
; %bb.3:
	v_dual_mov_b32 v1, s2 :: v_dual_mov_b32 v2, s3
	flat_load_b64 v[1:2], v[1:2]
.LBB37_4:
	s_load_b32 s33, s[0:1], 0x0
	v_dual_mov_b32 v5, 0 :: v_dual_lshlrev_b32 v6, 3, v0
	v_lshl_add_u32 v15, v0, 2, 0
	v_or_b32_e32 v17, 0xfffffc00, v0
	s_mov_b32 s0, 0
	s_delay_alu instid0(VALU_DEP_3) | instskip(NEXT) | instid1(VALU_DEP_3)
	v_add3_u32 v16, v6, 0, 0x20000
	v_dual_mov_b32 v6, v5 :: v_dual_mov_b32 v7, v15
	s_delay_alu instid0(VALU_DEP_3) | instskip(SKIP_1) | instid1(VALU_DEP_3)
	v_mov_b32_e32 v10, v17
	s_waitcnt lgkmcnt(0)
	v_dual_mov_b32 v8, v16 :: v_dual_mov_b32 v9, s33
.LBB37_5:                               ; =>This Inner Loop Header: Depth=1
	s_delay_alu instid0(VALU_DEP_2)
	v_add_nc_u32_e32 v10, 0x400, v10
	ds_store_b32 v7, v9
	ds_store_b64 v8, v[5:6]
	v_add_nc_u32_e32 v8, 0x2000, v8
	v_add_nc_u32_e32 v7, 0x1000, v7
	v_cmp_lt_u32_e32 vcc_lo, 0x7bff, v10
	s_or_b32 s0, vcc_lo, s0
	s_delay_alu instid0(SALU_CYCLE_1)
	s_and_not1_b32 exec_lo, exec_lo, s0
	s_cbranch_execnz .LBB37_5
; %bb.6:
	s_or_b32 exec_lo, exec_lo, s0
	s_waitcnt vmcnt(0) lgkmcnt(0)
	s_barrier
	buffer_gl0_inv
	s_load_b32 s0, s[36:37], 0x0
	s_mov_b32 s1, 0
	v_lshrrev_b32_e32 v18, 6, v0
	s_waitcnt lgkmcnt(0)
	s_add_i32 s0, s0, s15
	s_delay_alu instid0(SALU_CYCLE_1) | instskip(NEXT) | instid1(SALU_CYCLE_1)
	s_lshl_b64 s[0:1], s[0:1], 2
	s_add_u32 s0, s38, s0
	s_addc_u32 s1, s39, s1
	s_and_b32 vcc_lo, exec_lo, s13
	s_load_b32 s36, s[0:1], 0x0
	s_cbranch_vccz .LBB37_30
; %bb.7:
	s_waitcnt lgkmcnt(0)
	s_ashr_i32 s37, s36, 31
	v_subrev_nc_u32_e32 v5, s24, v18
	s_lshl_b64 s[0:1], s[36:37], 2
	s_delay_alu instid0(SALU_CYCLE_1)
	s_add_u32 s0, s4, s0
	s_addc_u32 s1, s5, s1
	s_load_b64 s[0:1], s[0:1], 0x0
	s_waitcnt lgkmcnt(0)
	v_add_nc_u32_e32 v5, s0, v5
	s_sub_i32 s0, s1, s24
	s_mov_b32 s1, exec_lo
	s_delay_alu instid0(VALU_DEP_1)
	v_cmpx_gt_i32_e64 s0, v5
	s_cbranch_execz .LBB37_29
; %bb.8:
	v_and_b32_e32 v6, 63, v0
	s_mov_b32 s2, 0
	s_delay_alu instid0(VALU_DEP_1)
	v_subrev_nc_u32_e32 v19, s25, v6
	s_branch .LBB37_10
.LBB37_9:                               ;   in Loop: Header=BB37_10 Depth=1
	s_or_b32 exec_lo, exec_lo, s3
	v_add_nc_u32_e32 v5, 16, v5
	s_delay_alu instid0(VALU_DEP_1) | instskip(SKIP_1) | instid1(SALU_CYCLE_1)
	v_cmp_le_i32_e32 vcc_lo, s0, v5
	s_or_b32 s2, vcc_lo, s2
	s_and_not1_b32 exec_lo, exec_lo, s2
	s_cbranch_execz .LBB37_29
.LBB37_10:                              ; =>This Loop Header: Depth=1
                                        ;     Child Loop BB37_13 Depth 2
                                        ;       Child Loop BB37_15 Depth 3
                                        ;         Child Loop BB37_21 Depth 4
                                        ;         Child Loop BB37_27 Depth 4
	v_ashrrev_i32_e32 v6, 31, v5
	s_mov_b32 s3, exec_lo
	s_delay_alu instid0(VALU_DEP_1) | instskip(NEXT) | instid1(VALU_DEP_1)
	v_lshlrev_b64 v[7:8], 2, v[5:6]
	v_add_co_u32 v7, vcc_lo, s6, v7
	s_delay_alu instid0(VALU_DEP_2) | instskip(SKIP_3) | instid1(VALU_DEP_1)
	v_add_co_ci_u32_e32 v8, vcc_lo, s7, v8, vcc_lo
	global_load_b32 v7, v[7:8], off
	s_waitcnt vmcnt(0)
	v_subrev_nc_u32_e32 v7, s24, v7
	v_ashrrev_i32_e32 v8, 31, v7
	s_delay_alu instid0(VALU_DEP_1) | instskip(NEXT) | instid1(VALU_DEP_1)
	v_lshlrev_b64 v[7:8], 2, v[7:8]
	v_add_co_u32 v7, vcc_lo, s10, v7
	s_delay_alu instid0(VALU_DEP_2) | instskip(SKIP_4) | instid1(VALU_DEP_1)
	v_add_co_ci_u32_e32 v8, vcc_lo, s11, v8, vcc_lo
	global_load_b64 v[7:8], v[7:8], off
	s_waitcnt vmcnt(0)
	v_subrev_nc_u32_e32 v20, s25, v8
	v_add_nc_u32_e32 v7, v7, v19
	v_cmpx_lt_i32_e64 v7, v20
	s_cbranch_execz .LBB37_9
; %bb.11:                               ;   in Loop: Header=BB37_10 Depth=1
	v_lshlrev_b64 v[8:9], 3, v[5:6]
	s_mov_b32 s4, 0
	s_delay_alu instid0(VALU_DEP_1) | instskip(NEXT) | instid1(VALU_DEP_2)
	v_add_co_u32 v8, vcc_lo, s8, v8
	v_add_co_ci_u32_e32 v9, vcc_lo, s9, v9, vcc_lo
	global_load_b64 v[8:9], v[8:9], off
	s_waitcnt vmcnt(0)
	v_mul_f64 v[9:10], v[3:4], v[8:9]
	s_branch .LBB37_13
.LBB37_12:                              ;   in Loop: Header=BB37_13 Depth=2
	s_or_b32 exec_lo, exec_lo, s5
	v_add_nc_u32_e32 v7, 64, v7
	s_delay_alu instid0(VALU_DEP_1) | instskip(SKIP_1) | instid1(SALU_CYCLE_1)
	v_cmp_ge_i32_e32 vcc_lo, v7, v20
	s_or_b32 s4, vcc_lo, s4
	s_and_not1_b32 exec_lo, exec_lo, s4
	s_cbranch_execz .LBB37_9
.LBB37_13:                              ;   Parent Loop BB37_10 Depth=1
                                        ; =>  This Loop Header: Depth=2
                                        ;       Child Loop BB37_15 Depth 3
                                        ;         Child Loop BB37_21 Depth 4
                                        ;         Child Loop BB37_27 Depth 4
	v_ashrrev_i32_e32 v8, 31, v7
	s_mov_b32 s5, 0
	s_delay_alu instid0(VALU_DEP_1) | instskip(SKIP_1) | instid1(VALU_DEP_2)
	v_lshlrev_b64 v[11:12], 3, v[7:8]
	v_lshlrev_b64 v[13:14], 2, v[7:8]
	v_add_co_u32 v11, vcc_lo, s30, v11
	s_delay_alu instid0(VALU_DEP_3) | instskip(NEXT) | instid1(VALU_DEP_3)
	v_add_co_ci_u32_e32 v12, vcc_lo, s31, v12, vcc_lo
	v_add_co_u32 v13, vcc_lo, s28, v13
	s_delay_alu instid0(VALU_DEP_4)
	v_add_co_ci_u32_e32 v14, vcc_lo, s29, v14, vcc_lo
	global_load_b64 v[11:12], v[11:12], off
	global_load_b32 v6, v[13:14], off
	s_waitcnt vmcnt(1)
	v_mul_f64 v[11:12], v[9:10], v[11:12]
	s_waitcnt vmcnt(0)
	v_subrev_nc_u32_e32 v6, s25, v6
	s_delay_alu instid0(VALU_DEP_1) | instskip(NEXT) | instid1(VALU_DEP_1)
	v_mul_lo_u32 v8, 0x89, v6
	v_and_b32_e32 v8, 0x7fff, v8
	s_branch .LBB37_15
.LBB37_14:                              ;   in Loop: Header=BB37_15 Depth=3
	s_or_b32 exec_lo, exec_lo, s13
	s_xor_b32 s13, s14, -1
	s_delay_alu instid0(SALU_CYCLE_1) | instskip(NEXT) | instid1(SALU_CYCLE_1)
	s_and_b32 s13, exec_lo, s13
	s_or_b32 s5, s13, s5
	s_delay_alu instid0(SALU_CYCLE_1)
	s_and_not1_b32 exec_lo, exec_lo, s5
	s_cbranch_execz .LBB37_12
.LBB37_15:                              ;   Parent Loop BB37_10 Depth=1
                                        ;     Parent Loop BB37_13 Depth=2
                                        ; =>    This Loop Header: Depth=3
                                        ;         Child Loop BB37_21 Depth 4
                                        ;         Child Loop BB37_27 Depth 4
	s_delay_alu instid0(VALU_DEP_1)
	v_lshl_add_u32 v13, v8, 2, 0
	s_mov_b32 s13, exec_lo
                                        ; implicit-def: $sgpr14
	ds_load_b32 v14, v13
	s_waitcnt lgkmcnt(0)
	v_cmpx_ne_u32_e64 v14, v6
	s_xor_b32 s13, exec_lo, s13
	s_cbranch_execz .LBB37_25
; %bb.16:                               ;   in Loop: Header=BB37_15 Depth=3
	s_mov_b32 s15, exec_lo
                                        ; implicit-def: $sgpr14
	v_cmpx_ne_u32_e64 s33, v14
	s_xor_b32 s15, exec_lo, s15
; %bb.17:                               ;   in Loop: Header=BB37_15 Depth=3
	v_add_nc_u32_e32 v8, 1, v8
	s_mov_b32 s14, -1
                                        ; implicit-def: $vgpr13
	s_delay_alu instid0(VALU_DEP_1)
	v_and_b32_e32 v8, 0x7fff, v8
; %bb.18:                               ;   in Loop: Header=BB37_15 Depth=3
	s_and_not1_saveexec_b32 s15, s15
	s_cbranch_execz .LBB37_24
; %bb.19:                               ;   in Loop: Header=BB37_15 Depth=3
	v_mov_b32_e32 v14, s33
	s_mov_b32 s38, -1
	s_mov_b32 s37, exec_lo
	ds_cmpstore_rtn_b32 v13, v13, v6, v14
	s_waitcnt lgkmcnt(0)
	v_cmpx_eq_u32_e64 s33, v13
	s_cbranch_execz .LBB37_23
; %bb.20:                               ;   in Loop: Header=BB37_15 Depth=3
	v_lshlrev_b32_e32 v13, 3, v8
	s_mov_b32 s38, 0
	s_delay_alu instid0(VALU_DEP_1)
	v_add3_u32 v21, 0, v13, 0x20000
	ds_load_b64 v[13:14], v21
.LBB37_21:                              ;   Parent Loop BB37_10 Depth=1
                                        ;     Parent Loop BB37_13 Depth=2
                                        ;       Parent Loop BB37_15 Depth=3
                                        ; =>      This Inner Loop Header: Depth=4
	s_waitcnt lgkmcnt(0)
	v_add_f64 v[22:23], v[13:14], v[11:12]
	ds_cmpstore_rtn_b64 v[22:23], v21, v[22:23], v[13:14]
	s_waitcnt lgkmcnt(0)
	v_cmp_eq_u64_e32 vcc_lo, v[22:23], v[13:14]
	v_dual_mov_b32 v13, v22 :: v_dual_mov_b32 v14, v23
	s_or_b32 s38, vcc_lo, s38
	s_delay_alu instid0(SALU_CYCLE_1)
	s_and_not1_b32 exec_lo, exec_lo, s38
	s_cbranch_execnz .LBB37_21
; %bb.22:                               ;   in Loop: Header=BB37_15 Depth=3
	s_or_b32 exec_lo, exec_lo, s38
	s_delay_alu instid0(SALU_CYCLE_1)
	s_xor_b32 s38, exec_lo, -1
.LBB37_23:                              ;   in Loop: Header=BB37_15 Depth=3
	s_or_b32 exec_lo, exec_lo, s37
	s_delay_alu instid0(SALU_CYCLE_1) | instskip(SKIP_1) | instid1(SALU_CYCLE_1)
	s_and_not1_b32 s14, s14, exec_lo
	s_and_b32 s37, s38, exec_lo
	s_or_b32 s14, s14, s37
.LBB37_24:                              ;   in Loop: Header=BB37_15 Depth=3
	s_or_b32 exec_lo, exec_lo, s15
	s_delay_alu instid0(SALU_CYCLE_1)
	s_and_b32 s14, s14, exec_lo
.LBB37_25:                              ;   in Loop: Header=BB37_15 Depth=3
	s_and_not1_saveexec_b32 s13, s13
	s_cbranch_execz .LBB37_14
; %bb.26:                               ;   in Loop: Header=BB37_15 Depth=3
	v_lshlrev_b32_e32 v13, 3, v8
	s_mov_b32 s15, 0
	s_delay_alu instid0(VALU_DEP_1)
	v_add3_u32 v21, 0, v13, 0x20000
	ds_load_b64 v[13:14], v21
.LBB37_27:                              ;   Parent Loop BB37_10 Depth=1
                                        ;     Parent Loop BB37_13 Depth=2
                                        ;       Parent Loop BB37_15 Depth=3
                                        ; =>      This Inner Loop Header: Depth=4
	s_waitcnt lgkmcnt(0)
	v_add_f64 v[22:23], v[13:14], v[11:12]
	ds_cmpstore_rtn_b64 v[22:23], v21, v[22:23], v[13:14]
	s_waitcnt lgkmcnt(0)
	v_cmp_eq_u64_e32 vcc_lo, v[22:23], v[13:14]
	v_dual_mov_b32 v13, v22 :: v_dual_mov_b32 v14, v23
	s_or_b32 s15, vcc_lo, s15
	s_delay_alu instid0(SALU_CYCLE_1)
	s_and_not1_b32 exec_lo, exec_lo, s15
	s_cbranch_execnz .LBB37_27
; %bb.28:                               ;   in Loop: Header=BB37_15 Depth=3
	s_or_b32 exec_lo, exec_lo, s15
	s_delay_alu instid0(SALU_CYCLE_1)
	s_and_not1_b32 s14, s14, exec_lo
	s_branch .LBB37_14
.LBB37_29:
	s_or_b32 exec_lo, exec_lo, s1
.LBB37_30:
	s_delay_alu instid0(SALU_CYCLE_1)
	s_and_not1_b32 vcc_lo, exec_lo, s12
	s_cbranch_vccnz .LBB37_51
; %bb.31:
	s_waitcnt lgkmcnt(0)
	s_ashr_i32 s37, s36, 31
	v_subrev_nc_u32_e32 v3, s27, v0
	s_lshl_b64 s[0:1], s[36:37], 2
	s_delay_alu instid0(SALU_CYCLE_1)
	s_add_u32 s0, s16, s0
	s_addc_u32 s1, s17, s1
	s_load_b64 s[0:1], s[0:1], 0x0
	s_waitcnt lgkmcnt(0)
	v_add_nc_u32_e32 v3, s0, v3
	s_sub_i32 s0, s1, s27
	s_mov_b32 s1, exec_lo
	s_delay_alu instid0(VALU_DEP_1)
	v_cmpx_gt_i32_e64 s0, v3
	s_cbranch_execz .LBB37_50
; %bb.32:
	s_mov_b32 s2, 0
	s_branch .LBB37_34
.LBB37_33:                              ;   in Loop: Header=BB37_34 Depth=1
	s_or_b32 exec_lo, exec_lo, s3
	v_add_nc_u32_e32 v3, 0x400, v3
	s_delay_alu instid0(VALU_DEP_1) | instskip(SKIP_1) | instid1(SALU_CYCLE_1)
	v_cmp_le_i32_e32 vcc_lo, s0, v3
	s_or_b32 s2, vcc_lo, s2
	s_and_not1_b32 exec_lo, exec_lo, s2
	s_cbranch_execz .LBB37_50
.LBB37_34:                              ; =>This Loop Header: Depth=1
                                        ;     Child Loop BB37_36 Depth 2
                                        ;       Child Loop BB37_42 Depth 3
                                        ;       Child Loop BB37_48 Depth 3
	v_ashrrev_i32_e32 v4, 31, v3
	s_mov_b32 s3, 0
	s_delay_alu instid0(VALU_DEP_1) | instskip(SKIP_1) | instid1(VALU_DEP_2)
	v_lshlrev_b64 v[5:6], 3, v[3:4]
	v_lshlrev_b64 v[7:8], 2, v[3:4]
	v_add_co_u32 v5, vcc_lo, s20, v5
	s_delay_alu instid0(VALU_DEP_3) | instskip(NEXT) | instid1(VALU_DEP_3)
	v_add_co_ci_u32_e32 v6, vcc_lo, s21, v6, vcc_lo
	v_add_co_u32 v7, vcc_lo, s18, v7
	s_delay_alu instid0(VALU_DEP_4)
	v_add_co_ci_u32_e32 v8, vcc_lo, s19, v8, vcc_lo
	global_load_b64 v[5:6], v[5:6], off
	global_load_b32 v7, v[7:8], off
	s_waitcnt vmcnt(1)
	v_mul_f64 v[4:5], v[1:2], v[5:6]
	s_waitcnt vmcnt(0)
	v_subrev_nc_u32_e32 v8, s27, v7
	s_delay_alu instid0(VALU_DEP_1) | instskip(NEXT) | instid1(VALU_DEP_1)
	v_mul_lo_u32 v6, 0x89, v8
	v_and_b32_e32 v9, 0x7fff, v6
	s_branch .LBB37_36
.LBB37_35:                              ;   in Loop: Header=BB37_36 Depth=2
	s_or_b32 exec_lo, exec_lo, s4
	s_xor_b32 s4, s5, -1
	s_delay_alu instid0(SALU_CYCLE_1) | instskip(NEXT) | instid1(SALU_CYCLE_1)
	s_and_b32 s4, exec_lo, s4
	s_or_b32 s3, s4, s3
	s_delay_alu instid0(SALU_CYCLE_1)
	s_and_not1_b32 exec_lo, exec_lo, s3
	s_cbranch_execz .LBB37_33
.LBB37_36:                              ;   Parent Loop BB37_34 Depth=1
                                        ; =>  This Loop Header: Depth=2
                                        ;       Child Loop BB37_42 Depth 3
                                        ;       Child Loop BB37_48 Depth 3
	s_delay_alu instid0(VALU_DEP_1)
	v_lshl_add_u32 v6, v9, 2, 0
	s_mov_b32 s4, exec_lo
                                        ; implicit-def: $sgpr5
	ds_load_b32 v7, v6
	s_waitcnt lgkmcnt(0)
	v_cmpx_ne_u32_e64 v7, v8
	s_xor_b32 s4, exec_lo, s4
	s_cbranch_execz .LBB37_46
; %bb.37:                               ;   in Loop: Header=BB37_36 Depth=2
	s_mov_b32 s6, exec_lo
                                        ; implicit-def: $sgpr5
	v_cmpx_ne_u32_e64 s33, v7
	s_xor_b32 s6, exec_lo, s6
; %bb.38:                               ;   in Loop: Header=BB37_36 Depth=2
	v_add_nc_u32_e32 v6, 1, v9
	s_mov_b32 s5, -1
	s_delay_alu instid0(VALU_DEP_1)
	v_and_b32_e32 v9, 0x7fff, v6
                                        ; implicit-def: $vgpr6
; %bb.39:                               ;   in Loop: Header=BB37_36 Depth=2
	s_and_not1_saveexec_b32 s6, s6
	s_cbranch_execz .LBB37_45
; %bb.40:                               ;   in Loop: Header=BB37_36 Depth=2
	v_mov_b32_e32 v7, s33
	s_mov_b32 s8, -1
	s_mov_b32 s7, exec_lo
	ds_cmpstore_rtn_b32 v6, v6, v8, v7
	s_waitcnt lgkmcnt(0)
	v_cmpx_eq_u32_e64 s33, v6
	s_cbranch_execz .LBB37_44
; %bb.41:                               ;   in Loop: Header=BB37_36 Depth=2
	v_lshlrev_b32_e32 v6, 3, v9
	s_mov_b32 s8, 0
	s_delay_alu instid0(VALU_DEP_1)
	v_add3_u32 v10, 0, v6, 0x20000
	ds_load_b64 v[6:7], v10
.LBB37_42:                              ;   Parent Loop BB37_34 Depth=1
                                        ;     Parent Loop BB37_36 Depth=2
                                        ; =>    This Inner Loop Header: Depth=3
	s_waitcnt lgkmcnt(0)
	v_add_f64 v[11:12], v[6:7], v[4:5]
	ds_cmpstore_rtn_b64 v[11:12], v10, v[11:12], v[6:7]
	s_waitcnt lgkmcnt(0)
	v_cmp_eq_u64_e32 vcc_lo, v[11:12], v[6:7]
	v_dual_mov_b32 v6, v11 :: v_dual_mov_b32 v7, v12
	s_or_b32 s8, vcc_lo, s8
	s_delay_alu instid0(SALU_CYCLE_1)
	s_and_not1_b32 exec_lo, exec_lo, s8
	s_cbranch_execnz .LBB37_42
; %bb.43:                               ;   in Loop: Header=BB37_36 Depth=2
	s_or_b32 exec_lo, exec_lo, s8
	s_delay_alu instid0(SALU_CYCLE_1)
	s_xor_b32 s8, exec_lo, -1
.LBB37_44:                              ;   in Loop: Header=BB37_36 Depth=2
	s_or_b32 exec_lo, exec_lo, s7
	s_delay_alu instid0(SALU_CYCLE_1) | instskip(SKIP_1) | instid1(SALU_CYCLE_1)
	s_and_not1_b32 s5, s5, exec_lo
	s_and_b32 s7, s8, exec_lo
	s_or_b32 s5, s5, s7
.LBB37_45:                              ;   in Loop: Header=BB37_36 Depth=2
	s_or_b32 exec_lo, exec_lo, s6
	s_delay_alu instid0(SALU_CYCLE_1)
	s_and_b32 s5, s5, exec_lo
.LBB37_46:                              ;   in Loop: Header=BB37_36 Depth=2
	s_and_not1_saveexec_b32 s4, s4
	s_cbranch_execz .LBB37_35
; %bb.47:                               ;   in Loop: Header=BB37_36 Depth=2
	v_lshlrev_b32_e32 v6, 3, v9
	s_mov_b32 s6, 0
	s_delay_alu instid0(VALU_DEP_1)
	v_add3_u32 v10, 0, v6, 0x20000
	ds_load_b64 v[6:7], v10
.LBB37_48:                              ;   Parent Loop BB37_34 Depth=1
                                        ;     Parent Loop BB37_36 Depth=2
                                        ; =>    This Inner Loop Header: Depth=3
	s_waitcnt lgkmcnt(0)
	v_add_f64 v[11:12], v[6:7], v[4:5]
	ds_cmpstore_rtn_b64 v[11:12], v10, v[11:12], v[6:7]
	s_waitcnt lgkmcnt(0)
	v_cmp_eq_u64_e32 vcc_lo, v[11:12], v[6:7]
	v_dual_mov_b32 v6, v11 :: v_dual_mov_b32 v7, v12
	s_or_b32 s6, vcc_lo, s6
	s_delay_alu instid0(SALU_CYCLE_1)
	s_and_not1_b32 exec_lo, exec_lo, s6
	s_cbranch_execnz .LBB37_48
; %bb.49:                               ;   in Loop: Header=BB37_36 Depth=2
	s_or_b32 exec_lo, exec_lo, s6
	s_delay_alu instid0(SALU_CYCLE_1)
	s_and_not1_b32 s5, s5, exec_lo
	s_branch .LBB37_35
.LBB37_50:
	s_or_b32 exec_lo, exec_lo, s1
.LBB37_51:
	v_mbcnt_lo_u32_b32 v1, -1, 0
	v_dual_mov_b32 v5, 0 :: v_dual_lshlrev_b32 v2, 2, v18
	s_add_i32 s31, 0, 0x6003c
	v_cmp_eq_u32_e32 vcc_lo, 0x3ff, v0
	s_delay_alu instid0(VALU_DEP_3) | instskip(NEXT) | instid1(VALU_DEP_3)
	v_xor_b32_e32 v1, 63, v1
	v_add3_u32 v4, 0, 0x60000, v2
	v_cmp_lt_u32_e64 s0, 63, v0
	v_cmp_lt_u32_e64 s1, 0x7f, v0
	;; [unrolled: 1-line block ×3, first 2 shown]
	v_lshrrev_b64 v[1:2], v1, -1
	v_cmp_lt_u32_e64 s3, 0xff, v0
	v_cmp_lt_u32_e64 s4, 0x13f, v0
	;; [unrolled: 1-line block ×12, first 2 shown]
	v_mov_b32_e32 v6, s31
	s_mov_b32 s16, 0
	s_add_i32 s17, 0, 0x60000
	s_add_i32 s18, 0, 0x60004
	;; [unrolled: 1-line block ×15, first 2 shown]
	s_waitcnt lgkmcnt(0)
	s_barrier
	buffer_gl0_inv
	s_branch .LBB37_53
.LBB37_52:                              ;   in Loop: Header=BB37_53 Depth=1
	s_or_b32 exec_lo, exec_lo, s15
	s_waitcnt lgkmcnt(0)
	s_barrier
	buffer_gl0_inv
	ds_load_b32 v2, v6
	v_add_nc_u32_e32 v17, 0x400, v17
	v_add_nc_u32_e32 v16, 0x2000, v16
	;; [unrolled: 1-line block ×3, first 2 shown]
	s_delay_alu instid0(VALU_DEP_3) | instskip(NEXT) | instid1(VALU_DEP_1)
	v_cmp_lt_u32_e64 s15, 0x7bff, v17
	s_or_b32 s16, s15, s16
	s_waitcnt lgkmcnt(0)
	v_add_nc_u32_e32 v5, v2, v5
	s_and_not1_b32 exec_lo, exec_lo, s16
	s_cbranch_execz .LBB37_87
.LBB37_53:                              ; =>This Inner Loop Header: Depth=1
	ds_load_b32 v7, v15
	ds_load_b64 v[2:3], v16
	s_waitcnt lgkmcnt(0)
	s_barrier
	buffer_gl0_inv
	v_cmp_gt_i32_e64 s15, s33, v7
	s_delay_alu instid0(VALU_DEP_1) | instskip(NEXT) | instid1(SALU_CYCLE_1)
	s_bcnt1_i32_b32 s41, s15
	v_dual_mov_b32 v9, s41 :: v_dual_and_b32 v8, s15, v1
	s_delay_alu instid0(VALU_DEP_1)
	v_bcnt_u32_b32 v8, v8, 0
	ds_store_b32 v4, v9
	s_waitcnt lgkmcnt(0)
	s_barrier
	buffer_gl0_inv
	s_and_saveexec_b32 s41, s0
	s_cbranch_execnz .LBB37_70
; %bb.54:                               ;   in Loop: Header=BB37_53 Depth=1
	s_or_b32 exec_lo, exec_lo, s41
	s_and_saveexec_b32 s41, s1
	s_cbranch_execnz .LBB37_71
.LBB37_55:                              ;   in Loop: Header=BB37_53 Depth=1
	s_or_b32 exec_lo, exec_lo, s41
	s_and_saveexec_b32 s41, s2
	s_cbranch_execnz .LBB37_72
.LBB37_56:                              ;   in Loop: Header=BB37_53 Depth=1
	s_or_b32 exec_lo, exec_lo, s41
	s_and_saveexec_b32 s41, s3
	s_cbranch_execnz .LBB37_73
.LBB37_57:                              ;   in Loop: Header=BB37_53 Depth=1
	s_or_b32 exec_lo, exec_lo, s41
	s_and_saveexec_b32 s41, s4
	s_cbranch_execnz .LBB37_74
.LBB37_58:                              ;   in Loop: Header=BB37_53 Depth=1
	s_or_b32 exec_lo, exec_lo, s41
	s_and_saveexec_b32 s41, s5
	s_cbranch_execnz .LBB37_75
.LBB37_59:                              ;   in Loop: Header=BB37_53 Depth=1
	s_or_b32 exec_lo, exec_lo, s41
	s_and_saveexec_b32 s41, s6
	s_cbranch_execnz .LBB37_76
.LBB37_60:                              ;   in Loop: Header=BB37_53 Depth=1
	s_or_b32 exec_lo, exec_lo, s41
	s_and_saveexec_b32 s41, s7
	s_cbranch_execnz .LBB37_77
.LBB37_61:                              ;   in Loop: Header=BB37_53 Depth=1
	s_or_b32 exec_lo, exec_lo, s41
	s_and_saveexec_b32 s41, s8
	s_cbranch_execnz .LBB37_78
.LBB37_62:                              ;   in Loop: Header=BB37_53 Depth=1
	s_or_b32 exec_lo, exec_lo, s41
	s_and_saveexec_b32 s41, s9
	s_cbranch_execnz .LBB37_79
.LBB37_63:                              ;   in Loop: Header=BB37_53 Depth=1
	s_or_b32 exec_lo, exec_lo, s41
	s_and_saveexec_b32 s41, s10
	s_cbranch_execnz .LBB37_80
.LBB37_64:                              ;   in Loop: Header=BB37_53 Depth=1
	s_or_b32 exec_lo, exec_lo, s41
	s_and_saveexec_b32 s41, s11
	s_cbranch_execnz .LBB37_81
.LBB37_65:                              ;   in Loop: Header=BB37_53 Depth=1
	s_or_b32 exec_lo, exec_lo, s41
	s_and_saveexec_b32 s41, s12
	s_cbranch_execnz .LBB37_82
.LBB37_66:                              ;   in Loop: Header=BB37_53 Depth=1
	s_or_b32 exec_lo, exec_lo, s41
	s_and_saveexec_b32 s41, s13
	s_cbranch_execnz .LBB37_83
.LBB37_67:                              ;   in Loop: Header=BB37_53 Depth=1
	s_or_b32 exec_lo, exec_lo, s41
	s_and_saveexec_b32 s41, s14
	s_cbranch_execnz .LBB37_84
.LBB37_68:                              ;   in Loop: Header=BB37_53 Depth=1
	s_or_b32 exec_lo, exec_lo, s41
	s_and_saveexec_b32 s41, s15
	s_cbranch_execnz .LBB37_85
.LBB37_69:                              ;   in Loop: Header=BB37_53 Depth=1
	s_or_b32 exec_lo, exec_lo, s41
	s_and_saveexec_b32 s15, vcc_lo
	s_cbranch_execz .LBB37_52
	s_branch .LBB37_86
.LBB37_70:                              ;   in Loop: Header=BB37_53 Depth=1
	v_mov_b32_e32 v9, s17
	ds_load_b32 v9, v9
	s_waitcnt lgkmcnt(0)
	v_add_nc_u32_e32 v8, v9, v8
	s_or_b32 exec_lo, exec_lo, s41
	s_and_saveexec_b32 s41, s1
	s_cbranch_execz .LBB37_55
.LBB37_71:                              ;   in Loop: Header=BB37_53 Depth=1
	v_mov_b32_e32 v9, s18
	ds_load_b32 v9, v9
	s_waitcnt lgkmcnt(0)
	v_add_nc_u32_e32 v8, v9, v8
	s_or_b32 exec_lo, exec_lo, s41
	s_and_saveexec_b32 s41, s2
	s_cbranch_execz .LBB37_56
.LBB37_72:                              ;   in Loop: Header=BB37_53 Depth=1
	v_mov_b32_e32 v9, s19
	ds_load_b32 v9, v9
	s_waitcnt lgkmcnt(0)
	v_add_nc_u32_e32 v8, v9, v8
	s_or_b32 exec_lo, exec_lo, s41
	s_and_saveexec_b32 s41, s3
	s_cbranch_execz .LBB37_57
.LBB37_73:                              ;   in Loop: Header=BB37_53 Depth=1
	v_mov_b32_e32 v9, s20
	ds_load_b32 v9, v9
	s_waitcnt lgkmcnt(0)
	v_add_nc_u32_e32 v8, v9, v8
	s_or_b32 exec_lo, exec_lo, s41
	s_and_saveexec_b32 s41, s4
	s_cbranch_execz .LBB37_58
.LBB37_74:                              ;   in Loop: Header=BB37_53 Depth=1
	v_mov_b32_e32 v9, s21
	ds_load_b32 v9, v9
	s_waitcnt lgkmcnt(0)
	v_add_nc_u32_e32 v8, v9, v8
	s_or_b32 exec_lo, exec_lo, s41
	s_and_saveexec_b32 s41, s5
	s_cbranch_execz .LBB37_59
.LBB37_75:                              ;   in Loop: Header=BB37_53 Depth=1
	v_mov_b32_e32 v9, s24
	ds_load_b32 v9, v9
	s_waitcnt lgkmcnt(0)
	v_add_nc_u32_e32 v8, v9, v8
	s_or_b32 exec_lo, exec_lo, s41
	s_and_saveexec_b32 s41, s6
	s_cbranch_execz .LBB37_60
.LBB37_76:                              ;   in Loop: Header=BB37_53 Depth=1
	v_mov_b32_e32 v9, s25
	ds_load_b32 v9, v9
	s_waitcnt lgkmcnt(0)
	v_add_nc_u32_e32 v8, v9, v8
	s_or_b32 exec_lo, exec_lo, s41
	s_and_saveexec_b32 s41, s7
	s_cbranch_execz .LBB37_61
.LBB37_77:                              ;   in Loop: Header=BB37_53 Depth=1
	v_mov_b32_e32 v9, s27
	ds_load_b32 v9, v9
	s_waitcnt lgkmcnt(0)
	v_add_nc_u32_e32 v8, v9, v8
	s_or_b32 exec_lo, exec_lo, s41
	s_and_saveexec_b32 s41, s8
	s_cbranch_execz .LBB37_62
.LBB37_78:                              ;   in Loop: Header=BB37_53 Depth=1
	v_mov_b32_e32 v9, s28
	ds_load_b32 v9, v9
	s_waitcnt lgkmcnt(0)
	v_add_nc_u32_e32 v8, v9, v8
	s_or_b32 exec_lo, exec_lo, s41
	s_and_saveexec_b32 s41, s9
	s_cbranch_execz .LBB37_63
.LBB37_79:                              ;   in Loop: Header=BB37_53 Depth=1
	v_mov_b32_e32 v9, s29
	ds_load_b32 v9, v9
	s_waitcnt lgkmcnt(0)
	v_add_nc_u32_e32 v8, v9, v8
	s_or_b32 exec_lo, exec_lo, s41
	s_and_saveexec_b32 s41, s10
	s_cbranch_execz .LBB37_64
.LBB37_80:                              ;   in Loop: Header=BB37_53 Depth=1
	v_mov_b32_e32 v9, s30
	ds_load_b32 v9, v9
	s_waitcnt lgkmcnt(0)
	v_add_nc_u32_e32 v8, v9, v8
	s_or_b32 exec_lo, exec_lo, s41
	s_and_saveexec_b32 s41, s11
	s_cbranch_execz .LBB37_65
.LBB37_81:                              ;   in Loop: Header=BB37_53 Depth=1
	v_mov_b32_e32 v9, s37
	ds_load_b32 v9, v9
	s_waitcnt lgkmcnt(0)
	v_add_nc_u32_e32 v8, v9, v8
	s_or_b32 exec_lo, exec_lo, s41
	s_and_saveexec_b32 s41, s12
	s_cbranch_execz .LBB37_66
.LBB37_82:                              ;   in Loop: Header=BB37_53 Depth=1
	v_mov_b32_e32 v9, s38
	ds_load_b32 v9, v9
	s_waitcnt lgkmcnt(0)
	v_add_nc_u32_e32 v8, v9, v8
	s_or_b32 exec_lo, exec_lo, s41
	s_and_saveexec_b32 s41, s13
	s_cbranch_execz .LBB37_67
.LBB37_83:                              ;   in Loop: Header=BB37_53 Depth=1
	v_mov_b32_e32 v9, s39
	ds_load_b32 v9, v9
	s_waitcnt lgkmcnt(0)
	v_add_nc_u32_e32 v8, v9, v8
	s_or_b32 exec_lo, exec_lo, s41
	s_and_saveexec_b32 s41, s14
	s_cbranch_execz .LBB37_68
.LBB37_84:                              ;   in Loop: Header=BB37_53 Depth=1
	v_mov_b32_e32 v9, s40
	ds_load_b32 v9, v9
	s_waitcnt lgkmcnt(0)
	v_add_nc_u32_e32 v8, v9, v8
	s_or_b32 exec_lo, exec_lo, s41
	s_and_saveexec_b32 s41, s15
	s_cbranch_execz .LBB37_69
.LBB37_85:                              ;   in Loop: Header=BB37_53 Depth=1
	s_delay_alu instid0(VALU_DEP_1) | instskip(NEXT) | instid1(VALU_DEP_1)
	v_add3_u32 v9, v5, -1, v8
	v_lshlrev_b32_e32 v10, 3, v9
	v_lshl_add_u32 v9, v9, 2, 0
	s_delay_alu instid0(VALU_DEP_2)
	v_add3_u32 v10, 0, v10, 0x20000
	ds_store_b32 v9, v7
	ds_store_b64 v10, v[2:3]
	s_or_b32 exec_lo, exec_lo, s41
	s_and_saveexec_b32 s15, vcc_lo
	s_cbranch_execz .LBB37_52
.LBB37_86:                              ;   in Loop: Header=BB37_53 Depth=1
	v_mov_b32_e32 v2, s31
	ds_store_b32 v2, v8
	s_branch .LBB37_52
.LBB37_87:
	s_or_b32 exec_lo, exec_lo, s16
	s_ashr_i32 s37, s36, 31
	s_mov_b32 s3, exec_lo
	s_lshl_b64 s[0:1], s[36:37], 2
	s_delay_alu instid0(SALU_CYCLE_1) | instskip(SKIP_4) | instid1(SALU_CYCLE_1)
	s_add_u32 s0, s22, s0
	s_addc_u32 s1, s23, s1
	s_load_b64 s[0:1], s[0:1], 0x0
	s_waitcnt lgkmcnt(0)
	s_sub_i32 s2, s1, s0
	v_cmpx_gt_i32_e64 s2, v0
	s_cbranch_execz .LBB37_97
; %bb.88:
	s_sub_i32 s3, s0, s26
	s_sub_i32 s0, s0, s1
	s_and_b32 s1, s2, 7
	s_cmp_lt_u32 s0, -7
	s_mov_b32 s7, 0
	s_cselect_b32 s4, -1, 0
	s_and_b32 s5, s2, -8
	s_cmp_lg_u32 s1, 0
	s_cselect_b32 s6, -1, 0
	s_branch .LBB37_90
.LBB37_89:                              ;   in Loop: Header=BB37_90 Depth=1
	s_waitcnt lgkmcnt(1)
	s_delay_alu instid0(VALU_DEP_1) | instskip(SKIP_1) | instid1(VALU_DEP_2)
	v_ashrrev_i32_e32 v4, 31, v3
	v_add_nc_u32_e32 v0, 0x400, v0
	v_lshlrev_b64 v[3:4], 3, v[3:4]
	s_delay_alu instid0(VALU_DEP_2) | instskip(SKIP_1) | instid1(VALU_DEP_2)
	v_cmp_le_i32_e32 vcc_lo, s2, v0
	s_or_b32 s7, vcc_lo, s7
	v_add_co_u32 v3, s0, s34, v3
	s_delay_alu instid0(VALU_DEP_1)
	v_add_co_ci_u32_e64 v4, s0, s35, v4, s0
	s_waitcnt lgkmcnt(0)
	global_store_b64 v[3:4], v[1:2], off
	s_and_not1_b32 exec_lo, exec_lo, s7
	s_cbranch_execz .LBB37_97
.LBB37_90:                              ; =>This Loop Header: Depth=1
                                        ;     Child Loop BB37_92 Depth 2
                                        ;     Child Loop BB37_96 Depth 2
	v_lshlrev_b32_e32 v1, 3, v0
	v_lshl_add_u32 v2, v0, 2, 0
	v_mov_b32_e32 v3, s3
	s_and_not1_b32 vcc_lo, exec_lo, s4
	s_mov_b32 s0, 0
	v_add3_u32 v1, 0, v1, 0x20000
	ds_load_b32 v4, v2
	ds_load_b64 v[1:2], v1
	s_cbranch_vccnz .LBB37_94
; %bb.91:                               ;   in Loop: Header=BB37_90 Depth=1
	v_mov_b32_e32 v3, s3
	s_mov_b32 s8, 0
	s_set_inst_prefetch_distance 0x1
	.p2align	6
.LBB37_92:                              ;   Parent Loop BB37_90 Depth=1
                                        ; =>  This Inner Loop Header: Depth=2
	v_mov_b32_e32 v11, s8
	s_add_i32 s0, s0, 8
	s_add_i32 s8, s8, 32
	s_cmp_eq_u32 s5, s0
	ds_load_2addr_b32 v[5:6], v11 offset1:1
	ds_load_2addr_b32 v[7:8], v11 offset0:2 offset1:3
	ds_load_2addr_b32 v[9:10], v11 offset0:4 offset1:5
	;; [unrolled: 1-line block ×3, first 2 shown]
	s_waitcnt lgkmcnt(3)
	v_cmp_gt_i32_e32 vcc_lo, v4, v5
	v_cndmask_b32_e64 v5, 0, 1, vcc_lo
	s_waitcnt lgkmcnt(2)
	v_cmp_gt_i32_e32 vcc_lo, v4, v7
	v_cndmask_b32_e64 v7, 0, 1, vcc_lo
	v_cmp_gt_i32_e32 vcc_lo, v4, v6
	v_add_co_ci_u32_e32 v3, vcc_lo, v3, v5, vcc_lo
	s_waitcnt lgkmcnt(1)
	v_cmp_gt_i32_e32 vcc_lo, v4, v9
	v_cndmask_b32_e64 v5, 0, 1, vcc_lo
	v_cmp_gt_i32_e32 vcc_lo, v4, v8
	v_add_co_ci_u32_e32 v3, vcc_lo, v3, v7, vcc_lo
	;; [unrolled: 5-line block ×3, first 2 shown]
	v_cmp_gt_i32_e32 vcc_lo, v4, v12
	s_delay_alu instid0(VALU_DEP_2)
	v_add_co_ci_u32_e32 v3, vcc_lo, v3, v6, vcc_lo
	s_cbranch_scc0 .LBB37_92
; %bb.93:                               ;   in Loop: Header=BB37_90 Depth=1
	s_set_inst_prefetch_distance 0x2
	s_mov_b32 s0, s5
.LBB37_94:                              ;   in Loop: Header=BB37_90 Depth=1
	s_and_not1_b32 vcc_lo, exec_lo, s6
	s_cbranch_vccnz .LBB37_89
; %bb.95:                               ;   in Loop: Header=BB37_90 Depth=1
	s_lshl_b32 s0, s0, 2
	s_mov_b32 s8, s1
	s_add_i32 s0, s0, 0
.LBB37_96:                              ;   Parent Loop BB37_90 Depth=1
                                        ; =>  This Inner Loop Header: Depth=2
	s_delay_alu instid0(SALU_CYCLE_1)
	v_mov_b32_e32 v5, s0
	s_add_i32 s8, s8, -1
	s_add_i32 s0, s0, 4
	s_cmp_lg_u32 s8, 0
	ds_load_b32 v5, v5
	s_waitcnt lgkmcnt(0)
	v_cmp_gt_i32_e32 vcc_lo, v4, v5
	v_add_co_ci_u32_e32 v3, vcc_lo, 0, v3, vcc_lo
	s_cbranch_scc1 .LBB37_96
	s_branch .LBB37_89
.LBB37_97:
	s_nop 0
	s_sendmsg sendmsg(MSG_DEALLOC_VGPRS)
	s_endpgm
	.section	.rodata,"a",@progbits
	.p2align	6, 0x0
	.amdhsa_kernel _ZN9rocsparseL41csrgemm_numeric_fill_block_per_row_kernelILj1024ELj64ELj32768ELj137ELj64EiidEEvT5_PKS1_S3_NS_24const_host_device_scalarIT6_EEPKT4_S3_PKS5_S9_S3_SB_S6_S9_S3_SB_S9_S3_PS5_21rocsparse_index_base_SD_SD_SD_bbb
		.amdhsa_group_segment_fixed_size 0
		.amdhsa_private_segment_fixed_size 0
		.amdhsa_kernarg_size 156
		.amdhsa_user_sgpr_count 15
		.amdhsa_user_sgpr_dispatch_ptr 0
		.amdhsa_user_sgpr_queue_ptr 0
		.amdhsa_user_sgpr_kernarg_segment_ptr 1
		.amdhsa_user_sgpr_dispatch_id 0
		.amdhsa_user_sgpr_private_segment_size 0
		.amdhsa_wavefront_size32 1
		.amdhsa_uses_dynamic_stack 0
		.amdhsa_enable_private_segment 0
		.amdhsa_system_sgpr_workgroup_id_x 1
		.amdhsa_system_sgpr_workgroup_id_y 0
		.amdhsa_system_sgpr_workgroup_id_z 0
		.amdhsa_system_sgpr_workgroup_info 0
		.amdhsa_system_vgpr_workitem_id 0
		.amdhsa_next_free_vgpr 24
		.amdhsa_next_free_sgpr 42
		.amdhsa_reserve_vcc 1
		.amdhsa_float_round_mode_32 0
		.amdhsa_float_round_mode_16_64 0
		.amdhsa_float_denorm_mode_32 3
		.amdhsa_float_denorm_mode_16_64 3
		.amdhsa_dx10_clamp 1
		.amdhsa_ieee_mode 1
		.amdhsa_fp16_overflow 0
		.amdhsa_workgroup_processor_mode 1
		.amdhsa_memory_ordered 1
		.amdhsa_forward_progress 0
		.amdhsa_shared_vgpr_count 0
		.amdhsa_exception_fp_ieee_invalid_op 0
		.amdhsa_exception_fp_denorm_src 0
		.amdhsa_exception_fp_ieee_div_zero 0
		.amdhsa_exception_fp_ieee_overflow 0
		.amdhsa_exception_fp_ieee_underflow 0
		.amdhsa_exception_fp_ieee_inexact 0
		.amdhsa_exception_int_div_zero 0
	.end_amdhsa_kernel
	.section	.text._ZN9rocsparseL41csrgemm_numeric_fill_block_per_row_kernelILj1024ELj64ELj32768ELj137ELj64EiidEEvT5_PKS1_S3_NS_24const_host_device_scalarIT6_EEPKT4_S3_PKS5_S9_S3_SB_S6_S9_S3_SB_S9_S3_PS5_21rocsparse_index_base_SD_SD_SD_bbb,"axG",@progbits,_ZN9rocsparseL41csrgemm_numeric_fill_block_per_row_kernelILj1024ELj64ELj32768ELj137ELj64EiidEEvT5_PKS1_S3_NS_24const_host_device_scalarIT6_EEPKT4_S3_PKS5_S9_S3_SB_S6_S9_S3_SB_S9_S3_PS5_21rocsparse_index_base_SD_SD_SD_bbb,comdat
.Lfunc_end37:
	.size	_ZN9rocsparseL41csrgemm_numeric_fill_block_per_row_kernelILj1024ELj64ELj32768ELj137ELj64EiidEEvT5_PKS1_S3_NS_24const_host_device_scalarIT6_EEPKT4_S3_PKS5_S9_S3_SB_S6_S9_S3_SB_S9_S3_PS5_21rocsparse_index_base_SD_SD_SD_bbb, .Lfunc_end37-_ZN9rocsparseL41csrgemm_numeric_fill_block_per_row_kernelILj1024ELj64ELj32768ELj137ELj64EiidEEvT5_PKS1_S3_NS_24const_host_device_scalarIT6_EEPKT4_S3_PKS5_S9_S3_SB_S6_S9_S3_SB_S9_S3_PS5_21rocsparse_index_base_SD_SD_SD_bbb
                                        ; -- End function
	.section	.AMDGPU.csdata,"",@progbits
; Kernel info:
; codeLenInByte = 3744
; NumSgprs: 44
; NumVgprs: 24
; ScratchSize: 0
; MemoryBound: 0
; FloatMode: 240
; IeeeMode: 1
; LDSByteSize: 0 bytes/workgroup (compile time only)
; SGPRBlocks: 5
; VGPRBlocks: 2
; NumSGPRsForWavesPerEU: 44
; NumVGPRsForWavesPerEU: 24
; Occupancy: 16
; WaveLimiterHint : 1
; COMPUTE_PGM_RSRC2:SCRATCH_EN: 0
; COMPUTE_PGM_RSRC2:USER_SGPR: 15
; COMPUTE_PGM_RSRC2:TRAP_HANDLER: 0
; COMPUTE_PGM_RSRC2:TGID_X_EN: 1
; COMPUTE_PGM_RSRC2:TGID_Y_EN: 0
; COMPUTE_PGM_RSRC2:TGID_Z_EN: 0
; COMPUTE_PGM_RSRC2:TIDIG_COMP_CNT: 0
	.section	.text._ZN9rocsparseL51csrgemm_numeric_fill_block_per_row_multipass_kernelILj512ELj16ELj2048ELj32EiidEEvT4_PKS1_S3_NS_24const_host_device_scalarIT5_EEPKT3_S3_PKS5_S9_S3_SB_S6_S9_S3_SB_S9_S3_PS5_PS7_21rocsparse_index_base_SE_SE_SE_bbb,"axG",@progbits,_ZN9rocsparseL51csrgemm_numeric_fill_block_per_row_multipass_kernelILj512ELj16ELj2048ELj32EiidEEvT4_PKS1_S3_NS_24const_host_device_scalarIT5_EEPKT3_S3_PKS5_S9_S3_SB_S6_S9_S3_SB_S9_S3_PS5_PS7_21rocsparse_index_base_SE_SE_SE_bbb,comdat
	.globl	_ZN9rocsparseL51csrgemm_numeric_fill_block_per_row_multipass_kernelILj512ELj16ELj2048ELj32EiidEEvT4_PKS1_S3_NS_24const_host_device_scalarIT5_EEPKT3_S3_PKS5_S9_S3_SB_S6_S9_S3_SB_S9_S3_PS5_PS7_21rocsparse_index_base_SE_SE_SE_bbb ; -- Begin function _ZN9rocsparseL51csrgemm_numeric_fill_block_per_row_multipass_kernelILj512ELj16ELj2048ELj32EiidEEvT4_PKS1_S3_NS_24const_host_device_scalarIT5_EEPKT3_S3_PKS5_S9_S3_SB_S6_S9_S3_SB_S9_S3_PS5_PS7_21rocsparse_index_base_SE_SE_SE_bbb
	.p2align	8
	.type	_ZN9rocsparseL51csrgemm_numeric_fill_block_per_row_multipass_kernelILj512ELj16ELj2048ELj32EiidEEvT4_PKS1_S3_NS_24const_host_device_scalarIT5_EEPKT3_S3_PKS5_S9_S3_SB_S6_S9_S3_SB_S9_S3_PS5_PS7_21rocsparse_index_base_SE_SE_SE_bbb,@function
_ZN9rocsparseL51csrgemm_numeric_fill_block_per_row_multipass_kernelILj512ELj16ELj2048ELj32EiidEEvT4_PKS1_S3_NS_24const_host_device_scalarIT5_EEPKT3_S3_PKS5_S9_S3_SB_S6_S9_S3_SB_S9_S3_PS5_PS7_21rocsparse_index_base_SE_SE_SE_bbb: ; @_ZN9rocsparseL51csrgemm_numeric_fill_block_per_row_multipass_kernelILj512ELj16ELj2048ELj32EiidEEvT4_PKS1_S3_NS_24const_host_device_scalarIT5_EEPKT3_S3_PKS5_S9_S3_SB_S6_S9_S3_SB_S9_S3_PS5_PS7_21rocsparse_index_base_SE_SE_SE_bbb
; %bb.0:
	s_clause 0x4
	s_load_b32 s11, s[0:1], 0xa0
	s_load_b64 s[2:3], s[0:1], 0x18
	s_load_b128 s[4:7], s[0:1], 0x8
	s_load_b128 s[28:31], s[0:1], 0x90
	s_load_b64 s[8:9], s[0:1], 0x50
	s_waitcnt lgkmcnt(0)
	s_and_b32 s10, 1, s11
	s_bitcmp1_b32 s11, 16
	s_cselect_b32 s12, -1, 0
	s_cmp_eq_u32 s10, 1
	s_cselect_b32 s10, -1, 0
	s_delay_alu instid0(SALU_CYCLE_1)
	s_and_b32 s13, s10, exec_lo
	s_cselect_b32 s17, s3, 0
	s_cselect_b32 s16, s2, 0
	s_xor_b32 s13, s10, -1
	v_dual_mov_b32 v1, s16 :: v_dual_mov_b32 v2, s17
	s_or_b32 s13, s13, s12
	s_delay_alu instid0(SALU_CYCLE_1)
	s_and_b32 vcc_lo, exec_lo, s13
	s_cbranch_vccnz .LBB38_2
; %bb.1:
	v_dual_mov_b32 v1, s2 :: v_dual_mov_b32 v2, s3
	flat_load_b64 v[1:2], v[1:2]
.LBB38_2:
	s_load_b64 s[2:3], s[0:1], 0x20
	s_bitcmp1_b32 s11, 8
	s_cselect_b32 s33, -1, 0
	s_delay_alu instid0(SALU_CYCLE_1)
	s_and_b32 s11, s33, exec_lo
	s_cselect_b32 s17, s9, 0
	s_cselect_b32 s16, s8, 0
	s_xor_b32 s11, s33, -1
	v_dual_mov_b32 v3, s16 :: v_dual_mov_b32 v4, s17
	s_or_b32 s11, s11, s12
	s_delay_alu instid0(SALU_CYCLE_1)
	s_and_b32 vcc_lo, exec_lo, s11
	s_cbranch_vccnz .LBB38_4
; %bb.3:
	v_dual_mov_b32 v3, s8 :: v_dual_mov_b32 v4, s9
	flat_load_b64 v[3:4], v[3:4]
.LBB38_4:
	s_load_b32 s4, s[4:5], 0x0
	s_mov_b32 s35, 0
	s_mov_b32 s8, 0
	s_waitcnt lgkmcnt(0)
	s_add_i32 s34, s4, s15
	s_delay_alu instid0(SALU_CYCLE_1) | instskip(NEXT) | instid1(SALU_CYCLE_1)
	s_lshl_b64 s[4:5], s[34:35], 2
	s_add_u32 s4, s6, s4
	s_addc_u32 s5, s7, s5
	s_and_not1_b32 vcc_lo, exec_lo, s10
	s_load_b32 s6, s[4:5], 0x0
	s_cbranch_vccz .LBB38_7
; %bb.5:
	s_and_not1_b32 vcc_lo, exec_lo, s10
	s_cbranch_vccz .LBB38_8
.LBB38_6:
	s_load_b32 s34, s[0:1], 0x0
	s_waitcnt lgkmcnt(0)
	s_cmp_lt_i32 s34, 1
	s_cbranch_scc0 .LBB38_9
	s_branch .LBB38_66
.LBB38_7:
	s_waitcnt lgkmcnt(0)
	s_ashr_i32 s7, s6, 31
	s_delay_alu instid0(SALU_CYCLE_1) | instskip(NEXT) | instid1(SALU_CYCLE_1)
	s_lshl_b64 s[4:5], s[6:7], 2
	s_add_u32 s4, s2, s4
	s_addc_u32 s5, s3, s5
	s_load_b32 s4, s[4:5], 0x0
	s_waitcnt lgkmcnt(0)
	s_sub_i32 s8, s4, s28
	s_and_not1_b32 vcc_lo, exec_lo, s10
	s_cbranch_vccnz .LBB38_6
.LBB38_8:
	s_waitcnt lgkmcnt(0)
	s_ashr_i32 s7, s6, 31
	s_delay_alu instid0(SALU_CYCLE_1) | instskip(NEXT) | instid1(SALU_CYCLE_1)
	s_lshl_b64 s[4:5], s[6:7], 2
	s_add_u32 s2, s2, s4
	s_addc_u32 s3, s3, s5
	s_load_b32 s2, s[2:3], 0x4
	s_waitcnt lgkmcnt(0)
	s_sub_i32 s35, s2, s28
	s_load_b32 s34, s[0:1], 0x0
	s_waitcnt lgkmcnt(0)
	s_cmp_lt_i32 s34, 1
	s_cbranch_scc1 .LBB38_66
.LBB38_9:
	s_clause 0x3
	s_load_b256 s[20:27], s[0:1], 0x58
	s_load_b128 s[44:47], s[0:1], 0x80
	s_load_b64 s[48:49], s[0:1], 0x48
	s_load_b256 s[36:43], s[0:1], 0x28
	v_lshrrev_b32_e32 v5, 4, v0
	v_mbcnt_lo_u32_b32 v6, -1, 0
	s_ashr_i32 s7, s6, 31
	v_lshrrev_b32_e32 v7, 3, v0
	s_lshl_b64 s[12:13], s[6:7], 2
	v_add_nc_u32_e32 v21, s8, v5
	v_xor_b32_e32 v5, 8, v6
	v_xor_b32_e32 v8, 4, v6
	;; [unrolled: 1-line block ×3, first 2 shown]
	v_dual_mov_b32 v31, 0x800 :: v_dual_and_b32 v22, 60, v7
	s_delay_alu instid0(VALU_DEP_4)
	v_cmp_gt_i32_e64 s7, 32, v5
	v_xor_b32_e32 v10, 1, v6
	v_xor_b32_e32 v11, 63, v6
	v_and_b32_e32 v19, 15, v0
	v_cmp_eq_u32_e64 s0, 0, v0
	s_waitcnt lgkmcnt(0)
	s_add_u32 s8, s26, s12
	s_addc_u32 s9, s27, s13
	v_cndmask_b32_e64 v7, v6, v5, s7
	s_load_b32 s8, s[8:9], 0x0
	v_cmp_gt_i32_e64 s7, 32, v8
	v_subrev_nc_u32_e32 v20, s31, v0
	v_cmp_eq_u32_e64 s1, 0x1ff, v0
	v_cmp_gt_u32_e64 s2, 32, v0
	v_cmp_gt_u32_e64 s3, 64, v0
	v_cndmask_b32_e64 v8, v6, v8, s7
	v_cmp_gt_i32_e64 s7, 32, v9
	v_cmp_gt_u32_e64 s4, 0x60, v0
	v_cmp_gt_u32_e64 s5, 0x80, v0
	;; [unrolled: 1-line block ×4, first 2 shown]
	v_cndmask_b32_e64 v9, v6, v9, s7
	v_cmp_gt_i32_e64 s7, 32, v10
	v_cmp_gt_u32_e64 s14, 0x180, v0
	v_cmp_gt_u32_e64 s15, 0x1a0, v0
	;; [unrolled: 1-line block ×3, first 2 shown]
	v_lshlrev_b32_e32 v25, 2, v9
	v_cndmask_b32_e64 v10, v6, v10, s7
	v_lshrrev_b64 v[5:6], v11, -1
	v_mov_b32_e32 v6, 0
	s_waitcnt lgkmcnt(0)
	s_sub_i32 s18, s8, s30
	s_add_u32 s26, s20, s12
	v_mov_b32_e32 v28, s18
	v_cmp_gt_i32_e32 vcc_lo, s35, v21
	s_addc_u32 s27, s21, s13
	v_cmp_eq_u32_e64 s6, 15, v19
	v_dual_mov_b32 v30, v6 :: v_dual_lshlrev_b32 v23, 2, v7
	s_and_b32 s21, s10, vcc_lo
	v_dual_mov_b32 v7, v6 :: v_dual_lshlrev_b32 v24, 2, v8
	v_dual_mov_b32 v29, 1 :: v_dual_lshlrev_b32 v26, 2, v10
	v_cmp_gt_u32_e64 s7, 0xa0, v0
	v_cmp_gt_u32_e64 s8, 0xc0, v0
	;; [unrolled: 1-line block ×6, first 2 shown]
	s_add_u32 s30, s40, 4
	v_or_b32_e32 v27, 0xfffffe00, v0
	v_lshlrev_b32_e32 v0, 3, v0
	s_addc_u32 s50, s41, 0
	s_add_u32 s44, s44, -8
	s_addc_u32 s45, s45, -1
	s_branch .LBB38_11
.LBB38_10:                              ;   in Loop: Header=BB38_11 Depth=1
	s_or_b32 exec_lo, exec_lo, s18
	ds_load_b32 v30, v6 offset:18432
	s_waitcnt lgkmcnt(0)
	s_barrier
	buffer_gl0_inv
	v_cmp_le_i32_e32 vcc_lo, s34, v30
	v_add_nc_u32_e32 v31, 0x800, v30
	s_cbranch_vccnz .LBB38_66
.LBB38_11:                              ; =>This Loop Header: Depth=1
                                        ;     Child Loop BB38_12 Depth 2
                                        ;     Child Loop BB38_18 Depth 2
                                        ;       Child Loop BB38_24 Depth 3
                                        ;         Child Loop BB38_28 Depth 4
                                        ;     Child Loop BB38_43 Depth 2
                                        ;       Child Loop BB38_47 Depth 3
                                        ;     Child Loop BB38_57 Depth 2
                                        ;     Child Loop BB38_62 Depth 2
	v_dual_mov_b32 v8, v0 :: v_dual_mov_b32 v9, v27
	s_mov_b32 s18, 0
.LBB38_12:                              ;   Parent Loop BB38_11 Depth=1
                                        ; =>  This Inner Loop Header: Depth=2
	ds_store_b8 v9, v6 offset:16896
	v_add_nc_u32_e32 v9, 0x200, v9
	ds_store_b64 v8, v[6:7]
	v_add_nc_u32_e32 v8, 0x1000, v8
	v_cmp_lt_u32_e32 vcc_lo, 0x5ff, v9
	s_or_b32 s18, vcc_lo, s18
	s_delay_alu instid0(SALU_CYCLE_1)
	s_and_not1_b32 exec_lo, exec_lo, s18
	s_cbranch_execnz .LBB38_12
; %bb.13:                               ;   in Loop: Header=BB38_11 Depth=1
	s_or_b32 exec_lo, exec_lo, s18
	s_and_saveexec_b32 s18, s0
	s_cbranch_execz .LBB38_15
; %bb.14:                               ;   in Loop: Header=BB38_11 Depth=1
	v_mov_b32_e32 v8, s34
	ds_store_b32 v6, v8 offset:18432
.LBB38_15:                              ;   in Loop: Header=BB38_11 Depth=1
	s_or_b32 exec_lo, exec_lo, s18
	v_mov_b32_e32 v32, s34
	s_waitcnt vmcnt(0) lgkmcnt(0)
	s_barrier
	buffer_gl0_inv
	s_and_saveexec_b32 s51, s21
	s_cbranch_execz .LBB38_39
; %bb.16:                               ;   in Loop: Header=BB38_11 Depth=1
	v_cmp_ne_u32_e64 s18, 0, v30
	v_mov_b32_e32 v32, s34
	v_mov_b32_e32 v8, v21
	s_mov_b32 s52, 0
	s_branch .LBB38_18
.LBB38_17:                              ;   in Loop: Header=BB38_18 Depth=2
	s_or_b32 exec_lo, exec_lo, s19
	v_add_nc_u32_e32 v8, 32, v8
	s_delay_alu instid0(VALU_DEP_1) | instskip(SKIP_1) | instid1(SALU_CYCLE_1)
	v_cmp_le_i32_e32 vcc_lo, s35, v8
	s_or_b32 s52, vcc_lo, s52
	s_and_not1_b32 exec_lo, exec_lo, s52
	s_cbranch_execz .LBB38_38
.LBB38_18:                              ;   Parent Loop BB38_11 Depth=1
                                        ; =>  This Loop Header: Depth=2
                                        ;       Child Loop BB38_24 Depth 3
                                        ;         Child Loop BB38_28 Depth 4
	s_delay_alu instid0(VALU_DEP_1) | instskip(NEXT) | instid1(VALU_DEP_1)
	v_ashrrev_i32_e32 v9, 31, v8
	v_lshlrev_b64 v[10:11], 2, v[8:9]
	v_lshlrev_b64 v[14:15], 3, v[8:9]
	s_waitcnt lgkmcnt(0)
	s_delay_alu instid0(VALU_DEP_2) | instskip(NEXT) | instid1(VALU_DEP_3)
	v_add_co_u32 v12, vcc_lo, s36, v10
	v_add_co_ci_u32_e32 v13, vcc_lo, s37, v11, vcc_lo
	global_load_b32 v9, v[12:13], off
	v_add_co_u32 v12, vcc_lo, s38, v14
	v_add_co_ci_u32_e32 v13, vcc_lo, s39, v15, vcc_lo
	s_and_b32 vcc_lo, exec_lo, s18
	global_load_b64 v[12:13], v[12:13], off
	s_waitcnt vmcnt(1)
	v_subrev_nc_u32_e32 v14, s28, v9
	s_delay_alu instid0(VALU_DEP_1)
	v_ashrrev_i32_e32 v15, 31, v14
	s_cbranch_vccz .LBB38_37
; %bb.19:                               ;   in Loop: Header=BB38_18 Depth=2
	v_add_co_u32 v16, vcc_lo, s46, v10
	v_add_co_ci_u32_e32 v17, vcc_lo, s47, v11, vcc_lo
	global_load_b32 v9, v[16:17], off
	s_cbranch_execnz .LBB38_21
.LBB38_20:                              ;   in Loop: Header=BB38_18 Depth=2
	s_delay_alu instid0(VALU_DEP_1) | instskip(NEXT) | instid1(VALU_DEP_1)
	v_lshlrev_b64 v[16:17], 2, v[14:15]
	v_add_co_u32 v16, vcc_lo, s40, v16
	s_delay_alu instid0(VALU_DEP_2)
	v_add_co_ci_u32_e32 v17, vcc_lo, s41, v17, vcc_lo
	global_load_b32 v9, v[16:17], off
	s_waitcnt vmcnt(0)
	v_subrev_nc_u32_e32 v9, s29, v9
.LBB38_21:                              ;   in Loop: Header=BB38_18 Depth=2
	v_lshlrev_b64 v[14:15], 2, v[14:15]
	s_waitcnt vmcnt(0)
	s_delay_alu instid0(VALU_DEP_2) | instskip(SKIP_1) | instid1(VALU_DEP_2)
	v_add_nc_u32_e32 v9, v9, v19
	s_mov_b32 s53, exec_lo
	v_add_co_u32 v14, vcc_lo, s30, v14
	s_delay_alu instid0(VALU_DEP_3) | instskip(SKIP_3) | instid1(VALU_DEP_1)
	v_add_co_ci_u32_e32 v15, vcc_lo, s50, v15, vcc_lo
	global_load_b32 v14, v[14:15], off
	s_waitcnt vmcnt(0)
	v_subrev_nc_u32_e32 v33, s29, v14
	v_cmpx_lt_i32_e64 v9, v33
	s_cbranch_execz .LBB38_35
; %bb.22:                               ;   in Loop: Header=BB38_18 Depth=2
	v_mul_f64 v[12:13], v[1:2], v[12:13]
	v_mov_b32_e32 v14, v9
	s_mov_b32 s55, 0
                                        ; implicit-def: $sgpr54
                                        ; implicit-def: $sgpr56
	s_branch .LBB38_24
.LBB38_23:                              ;   in Loop: Header=BB38_24 Depth=3
	s_or_b32 exec_lo, exec_lo, s20
	s_delay_alu instid0(SALU_CYCLE_1) | instskip(SKIP_4) | instid1(SALU_CYCLE_1)
	s_and_b32 s19, exec_lo, s57
	v_mov_b32_e32 v14, v16
	s_or_b32 s55, s19, s55
	s_and_not1_b32 s19, s54, exec_lo
	s_and_b32 s20, s56, exec_lo
	s_or_b32 s54, s19, s20
	s_and_not1_b32 exec_lo, exec_lo, s55
	s_cbranch_execz .LBB38_32
.LBB38_24:                              ;   Parent Loop BB38_11 Depth=1
                                        ;     Parent Loop BB38_18 Depth=2
                                        ; =>    This Loop Header: Depth=3
                                        ;         Child Loop BB38_28 Depth 4
	s_delay_alu instid0(VALU_DEP_1) | instskip(NEXT) | instid1(VALU_DEP_1)
	v_ashrrev_i32_e32 v15, 31, v14
	v_lshlrev_b64 v[16:17], 2, v[14:15]
	s_delay_alu instid0(VALU_DEP_1) | instskip(NEXT) | instid1(VALU_DEP_2)
	v_add_co_u32 v16, vcc_lo, s42, v16
	v_add_co_ci_u32_e32 v17, vcc_lo, s43, v17, vcc_lo
	global_load_b32 v16, v[16:17], off
	s_waitcnt vmcnt(0)
	v_subrev_nc_u32_e32 v34, s29, v16
	s_delay_alu instid0(VALU_DEP_1) | instskip(SKIP_2) | instid1(VALU_DEP_2)
	v_cmp_lt_i32_e64 s19, v34, v30
	v_cmp_ge_i32_e64 s20, v34, v31
	v_cmp_lt_i32_e32 vcc_lo, v34, v31
	s_or_b32 s57, s19, s20
	s_mov_b32 s19, 0
                                        ; implicit-def: $sgpr20
	s_and_saveexec_b32 s58, s57
	s_delay_alu instid0(SALU_CYCLE_1)
	s_xor_b32 s57, exec_lo, s58
; %bb.25:                               ;   in Loop: Header=BB38_24 Depth=3
	s_mov_b32 s20, -1
	s_and_b32 s19, vcc_lo, exec_lo
; %bb.26:                               ;   in Loop: Header=BB38_24 Depth=3
	s_and_not1_saveexec_b32 s57, s57
	s_cbranch_execz .LBB38_30
; %bb.27:                               ;   in Loop: Header=BB38_24 Depth=3
	v_lshlrev_b64 v[15:16], 3, v[14:15]
	v_sub_nc_u32_e32 v17, v34, v30
	s_mov_b32 s58, 0
	s_delay_alu instid0(VALU_DEP_1) | instskip(NEXT) | instid1(VALU_DEP_3)
	v_lshlrev_b32_e32 v35, 3, v17
	v_add_co_u32 v15, vcc_lo, s48, v15
	s_delay_alu instid0(VALU_DEP_4)
	v_add_co_ci_u32_e32 v16, vcc_lo, s49, v16, vcc_lo
	ds_store_b8 v17, v29 offset:16384
	ds_load_b64 v[17:18], v35
	global_load_b64 v[15:16], v[15:16], off
	s_waitcnt vmcnt(0)
	v_mul_f64 v[15:16], v[12:13], v[15:16]
.LBB38_28:                              ;   Parent Loop BB38_11 Depth=1
                                        ;     Parent Loop BB38_18 Depth=2
                                        ;       Parent Loop BB38_24 Depth=3
                                        ; =>      This Inner Loop Header: Depth=4
	s_waitcnt lgkmcnt(0)
	s_delay_alu instid0(VALU_DEP_1)
	v_add_f64 v[36:37], v[17:18], v[15:16]
	ds_cmpstore_rtn_b64 v[36:37], v35, v[36:37], v[17:18]
	s_waitcnt lgkmcnt(0)
	v_cmp_eq_u64_e32 vcc_lo, v[36:37], v[17:18]
	v_dual_mov_b32 v17, v36 :: v_dual_mov_b32 v18, v37
	s_or_b32 s58, vcc_lo, s58
	s_delay_alu instid0(SALU_CYCLE_1)
	s_and_not1_b32 exec_lo, exec_lo, s58
	s_cbranch_execnz .LBB38_28
; %bb.29:                               ;   in Loop: Header=BB38_24 Depth=3
	s_or_b32 exec_lo, exec_lo, s58
	s_delay_alu instid0(SALU_CYCLE_1)
	s_or_b32 s19, s19, exec_lo
.LBB38_30:                              ;   in Loop: Header=BB38_24 Depth=3
	s_or_b32 exec_lo, exec_lo, s57
	v_mov_b32_e32 v15, v14
	s_and_not1_b32 s56, s56, exec_lo
	s_and_b32 s20, s20, exec_lo
	s_mov_b32 s57, -1
	s_or_b32 s56, s56, s20
                                        ; implicit-def: $vgpr16
	s_and_saveexec_b32 s20, s19
	s_cbranch_execz .LBB38_23
; %bb.31:                               ;   in Loop: Header=BB38_24 Depth=3
	v_dual_mov_b32 v15, v14 :: v_dual_add_nc_u32 v16, 16, v14
	s_and_not1_b32 s56, s56, exec_lo
	s_delay_alu instid0(VALU_DEP_1)
	v_cmp_ge_i32_e32 vcc_lo, v16, v33
	s_or_not1_b32 s57, vcc_lo, exec_lo
	s_branch .LBB38_23
.LBB38_32:                              ;   in Loop: Header=BB38_18 Depth=2
	s_or_b32 exec_lo, exec_lo, s55
	s_and_saveexec_b32 s19, s54
	s_delay_alu instid0(SALU_CYCLE_1)
	s_xor_b32 s19, exec_lo, s19
; %bb.33:                               ;   in Loop: Header=BB38_18 Depth=2
	v_min_i32_e32 v32, v34, v32
	v_mov_b32_e32 v9, v15
; %bb.34:                               ;   in Loop: Header=BB38_18 Depth=2
	s_or_b32 exec_lo, exec_lo, s19
.LBB38_35:                              ;   in Loop: Header=BB38_18 Depth=2
	s_delay_alu instid0(SALU_CYCLE_1)
	s_or_b32 exec_lo, exec_lo, s53
	ds_bpermute_b32 v12, v23, v9
	s_waitcnt lgkmcnt(0)
	v_min_i32_e32 v9, v12, v9
	ds_bpermute_b32 v12, v24, v9
	s_waitcnt lgkmcnt(0)
	v_min_i32_e32 v9, v12, v9
	;; [unrolled: 3-line block ×3, first 2 shown]
	ds_bpermute_b32 v12, v26, v9
	s_and_saveexec_b32 s19, s6
	s_cbranch_execz .LBB38_17
; %bb.36:                               ;   in Loop: Header=BB38_18 Depth=2
	s_waitcnt lgkmcnt(0)
	v_min_i32_e32 v12, v12, v9
	v_add_co_u32 v9, vcc_lo, s46, v10
	v_add_co_ci_u32_e32 v10, vcc_lo, s47, v11, vcc_lo
	global_store_b32 v[9:10], v12, off
	s_branch .LBB38_17
.LBB38_37:                              ;   in Loop: Header=BB38_18 Depth=2
                                        ; implicit-def: $vgpr9
	s_branch .LBB38_20
.LBB38_38:                              ;   in Loop: Header=BB38_11 Depth=1
	s_or_b32 exec_lo, exec_lo, s52
.LBB38_39:                              ;   in Loop: Header=BB38_11 Depth=1
	s_delay_alu instid0(SALU_CYCLE_1) | instskip(NEXT) | instid1(SALU_CYCLE_1)
	s_or_b32 exec_lo, exec_lo, s51
	s_and_not1_b32 vcc_lo, exec_lo, s33
	s_cbranch_vccnz .LBB38_55
; %bb.40:                               ;   in Loop: Header=BB38_11 Depth=1
	s_load_b64 s[18:19], s[26:27], 0x0
	s_mov_b32 s20, exec_lo
	s_waitcnt lgkmcnt(0)
	v_add_nc_u32_e32 v8, s18, v20
	s_sub_i32 s51, s19, s31
	s_delay_alu instid0(VALU_DEP_1) | instid1(SALU_CYCLE_1)
	v_cmpx_gt_i32_e64 s51, v8
	s_cbranch_execz .LBB38_54
; %bb.41:                               ;   in Loop: Header=BB38_11 Depth=1
	s_mov_b32 s52, 0
                                        ; implicit-def: $sgpr53
                                        ; implicit-def: $sgpr54
	s_branch .LBB38_43
.LBB38_42:                              ;   in Loop: Header=BB38_43 Depth=2
	s_or_b32 exec_lo, exec_lo, s55
	s_delay_alu instid0(SALU_CYCLE_1) | instskip(NEXT) | instid1(SALU_CYCLE_1)
	s_and_b32 s18, exec_lo, s19
	s_or_b32 s52, s18, s52
	s_and_not1_b32 s18, s53, exec_lo
	s_and_b32 s19, s54, exec_lo
	s_delay_alu instid0(SALU_CYCLE_1)
	s_or_b32 s53, s18, s19
	s_and_not1_b32 exec_lo, exec_lo, s52
	s_cbranch_execz .LBB38_51
.LBB38_43:                              ;   Parent Loop BB38_11 Depth=1
                                        ; =>  This Loop Header: Depth=2
                                        ;       Child Loop BB38_47 Depth 3
	v_ashrrev_i32_e32 v9, 31, v8
	s_delay_alu instid0(VALU_DEP_1) | instskip(NEXT) | instid1(VALU_DEP_1)
	v_lshlrev_b64 v[10:11], 2, v[8:9]
	v_add_co_u32 v10, vcc_lo, s22, v10
	s_delay_alu instid0(VALU_DEP_2) | instskip(SKIP_3) | instid1(VALU_DEP_1)
	v_add_co_ci_u32_e32 v11, vcc_lo, s23, v11, vcc_lo
	global_load_b32 v10, v[10:11], off
	s_waitcnt vmcnt(0)
	v_subrev_nc_u32_e32 v13, s31, v10
	v_cmp_lt_i32_e64 s18, v13, v30
	v_cmp_ge_i32_e64 s19, v13, v31
	v_cmp_lt_i32_e32 vcc_lo, v13, v31
	s_delay_alu instid0(VALU_DEP_2) | instskip(SKIP_2) | instid1(SALU_CYCLE_1)
	s_or_b32 s55, s18, s19
	s_mov_b32 s18, 0
                                        ; implicit-def: $sgpr19
	s_and_saveexec_b32 s56, s55
	s_xor_b32 s55, exec_lo, s56
; %bb.44:                               ;   in Loop: Header=BB38_43 Depth=2
	s_mov_b32 s19, -1
	s_and_b32 s18, vcc_lo, exec_lo
; %bb.45:                               ;   in Loop: Header=BB38_43 Depth=2
	s_and_not1_saveexec_b32 s55, s55
	s_cbranch_execz .LBB38_49
; %bb.46:                               ;   in Loop: Header=BB38_43 Depth=2
	v_lshlrev_b64 v[9:10], 3, v[8:9]
	v_sub_nc_u32_e32 v11, v13, v30
	s_mov_b32 s56, 0
	s_delay_alu instid0(VALU_DEP_1) | instskip(NEXT) | instid1(VALU_DEP_3)
	v_lshlrev_b32_e32 v14, 3, v11
	v_add_co_u32 v9, vcc_lo, s24, v9
	s_delay_alu instid0(VALU_DEP_4)
	v_add_co_ci_u32_e32 v10, vcc_lo, s25, v10, vcc_lo
	ds_store_b8 v11, v29 offset:16384
	ds_load_b64 v[11:12], v14
	global_load_b64 v[9:10], v[9:10], off
	s_waitcnt vmcnt(0)
	v_mul_f64 v[9:10], v[3:4], v[9:10]
.LBB38_47:                              ;   Parent Loop BB38_11 Depth=1
                                        ;     Parent Loop BB38_43 Depth=2
                                        ; =>    This Inner Loop Header: Depth=3
	s_waitcnt lgkmcnt(0)
	s_delay_alu instid0(VALU_DEP_1)
	v_add_f64 v[15:16], v[11:12], v[9:10]
	ds_cmpstore_rtn_b64 v[15:16], v14, v[15:16], v[11:12]
	s_waitcnt lgkmcnt(0)
	v_cmp_eq_u64_e32 vcc_lo, v[15:16], v[11:12]
	v_dual_mov_b32 v11, v15 :: v_dual_mov_b32 v12, v16
	s_or_b32 s56, vcc_lo, s56
	s_delay_alu instid0(SALU_CYCLE_1)
	s_and_not1_b32 exec_lo, exec_lo, s56
	s_cbranch_execnz .LBB38_47
; %bb.48:                               ;   in Loop: Header=BB38_43 Depth=2
	s_or_b32 exec_lo, exec_lo, s56
	s_delay_alu instid0(SALU_CYCLE_1)
	s_or_b32 s18, s18, exec_lo
.LBB38_49:                              ;   in Loop: Header=BB38_43 Depth=2
	s_or_b32 exec_lo, exec_lo, s55
	s_delay_alu instid0(SALU_CYCLE_1)
	s_and_not1_b32 s54, s54, exec_lo
	s_and_b32 s55, s19, exec_lo
	s_mov_b32 s19, -1
	s_or_b32 s54, s54, s55
	s_and_saveexec_b32 s55, s18
	s_cbranch_execz .LBB38_42
; %bb.50:                               ;   in Loop: Header=BB38_43 Depth=2
	v_add_nc_u32_e32 v8, 0x200, v8
	s_and_not1_b32 s54, s54, exec_lo
	s_delay_alu instid0(VALU_DEP_1)
	v_cmp_le_i32_e32 vcc_lo, s51, v8
	s_or_not1_b32 s19, vcc_lo, exec_lo
	s_branch .LBB38_42
.LBB38_51:                              ;   in Loop: Header=BB38_11 Depth=1
	s_or_b32 exec_lo, exec_lo, s52
	s_and_saveexec_b32 s18, s53
	s_delay_alu instid0(SALU_CYCLE_1)
	s_xor_b32 s18, exec_lo, s18
; %bb.52:                               ;   in Loop: Header=BB38_11 Depth=1
	v_min_i32_e32 v32, v13, v32
; %bb.53:                               ;   in Loop: Header=BB38_11 Depth=1
	s_or_b32 exec_lo, exec_lo, s18
.LBB38_54:                              ;   in Loop: Header=BB38_11 Depth=1
	s_delay_alu instid0(SALU_CYCLE_1)
	s_or_b32 exec_lo, exec_lo, s20
.LBB38_55:                              ;   in Loop: Header=BB38_11 Depth=1
	ds_bpermute_b32 v8, v23, v32
	s_waitcnt lgkmcnt(0)
	v_min_i32_e32 v8, v8, v32
	ds_bpermute_b32 v9, v24, v8
	s_waitcnt lgkmcnt(0)
	v_min_i32_e32 v8, v9, v8
	;; [unrolled: 3-line block ×3, first 2 shown]
	ds_bpermute_b32 v9, v26, v8
	s_and_saveexec_b32 s18, s6
	s_cbranch_execz .LBB38_60
; %bb.56:                               ;   in Loop: Header=BB38_11 Depth=1
	s_waitcnt lgkmcnt(0)
	v_min_i32_e32 v8, v9, v8
	s_mov_b32 s20, exec_lo
	s_brev_b32 s19, -2
.LBB38_57:                              ;   Parent Loop BB38_11 Depth=1
                                        ; =>  This Inner Loop Header: Depth=2
	s_ctz_i32_b32 s51, s20
	s_delay_alu instid0(VALU_DEP_1) | instid1(SALU_CYCLE_1)
	v_readlane_b32 s52, v8, s51
	s_lshl_b32 s51, 1, s51
	s_delay_alu instid0(SALU_CYCLE_1) | instskip(NEXT) | instid1(VALU_DEP_1)
	s_and_not1_b32 s20, s20, s51
	s_min_i32 s19, s19, s52
	s_cmp_lg_u32 s20, 0
	s_cbranch_scc1 .LBB38_57
; %bb.58:                               ;   in Loop: Header=BB38_11 Depth=1
	v_mbcnt_lo_u32_b32 v8, exec_lo, 0
	s_mov_b32 s20, exec_lo
	s_delay_alu instid0(VALU_DEP_1)
	v_cmpx_eq_u32_e32 0, v8
	s_xor_b32 s20, exec_lo, s20
	s_cbranch_execz .LBB38_60
; %bb.59:                               ;   in Loop: Header=BB38_11 Depth=1
	v_mov_b32_e32 v8, s19
	ds_min_i32 v6, v8 offset:18432
.LBB38_60:                              ;   in Loop: Header=BB38_11 Depth=1
	s_or_b32 exec_lo, exec_lo, s18
	v_dual_mov_b32 v10, v0 :: v_dual_mov_b32 v11, v27
	s_mov_b32 s18, 0
	s_waitcnt lgkmcnt(0)
	s_waitcnt_vscnt null, 0x0
	s_barrier
	buffer_gl0_inv
	s_branch .LBB38_62
.LBB38_61:                              ;   in Loop: Header=BB38_62 Depth=2
	s_or_b32 exec_lo, exec_lo, s19
	s_waitcnt lgkmcnt(0)
	s_waitcnt_vscnt null, 0x0
	s_barrier
	buffer_gl0_inv
	ds_load_b32 v8, v6 offset:60
	v_add_nc_u32_e32 v11, 0x200, v11
	v_add_nc_u32_e32 v10, 0x1000, v10
	s_delay_alu instid0(VALU_DEP_2)
	v_cmp_lt_u32_e32 vcc_lo, 0x5ff, v11
	s_or_b32 s18, vcc_lo, s18
	s_waitcnt lgkmcnt(0)
	v_add_nc_u32_e32 v28, v8, v28
	s_and_not1_b32 exec_lo, exec_lo, s18
	s_cbranch_execz .LBB38_10
.LBB38_62:                              ;   Parent Loop BB38_11 Depth=1
                                        ; =>  This Inner Loop Header: Depth=2
	ds_load_u8 v16, v11 offset:16896
	ds_load_b64 v[8:9], v10
	s_waitcnt lgkmcnt(0)
	s_barrier
	buffer_gl0_inv
	v_cmp_ne_u16_e32 vcc_lo, 0, v16
	s_bcnt1_i32_b32 s19, vcc_lo
	s_delay_alu instid0(SALU_CYCLE_1)
	v_dual_mov_b32 v12, s19 :: v_dual_and_b32 v17, vcc_lo, v5
	s_mov_b32 s19, exec_lo
	ds_store_b32 v22, v12
	s_waitcnt lgkmcnt(0)
	s_barrier
	buffer_gl0_inv
	ds_load_b128 v[12:15], v6
	ds_load_b128 v[30:33], v6 offset:16
	ds_load_b128 v[34:37], v6 offset:32
	s_waitcnt lgkmcnt(2)
	v_cndmask_b32_e64 v12, v12, 0, s2
	v_cndmask_b32_e64 v18, v13, 0, s3
	;; [unrolled: 1-line block ×4, first 2 shown]
	s_waitcnt lgkmcnt(1)
	v_cndmask_b32_e64 v30, v30, 0, s7
	v_bcnt_u32_b32 v17, v17, v12
	ds_load_b96 v[12:14], v6 offset:48
	v_add3_u32 v17, v17, v18, v38
	v_cndmask_b32_e64 v18, v31, 0, s8
	v_cndmask_b32_e64 v31, v32, 0, s9
	s_delay_alu instid0(VALU_DEP_3) | instskip(SKIP_3) | instid1(VALU_DEP_3)
	v_add3_u32 v15, v17, v15, v30
	v_cndmask_b32_e64 v17, v33, 0, s10
	s_waitcnt lgkmcnt(1)
	v_cndmask_b32_e64 v30, v34, 0, s11
	v_add3_u32 v15, v15, v18, v31
	v_cndmask_b32_e64 v18, v35, 0, s12
	v_cndmask_b32_e64 v31, v36, 0, s13
	s_delay_alu instid0(VALU_DEP_3)
	v_add3_u32 v15, v15, v17, v30
	v_cndmask_b32_e64 v17, v37, 0, s14
	s_waitcnt lgkmcnt(0)
	v_cndmask_b32_e64 v12, v12, 0, s15
	v_cndmask_b32_e64 v13, v13, 0, s16
	;; [unrolled: 1-line block ×3, first 2 shown]
	v_add3_u32 v15, v15, v18, v31
	s_delay_alu instid0(VALU_DEP_1) | instskip(SKIP_1) | instid1(VALU_DEP_2)
	v_add3_u32 v12, v15, v17, v12
	v_and_b32_e32 v15, 1, v16
	v_add3_u32 v12, v12, v13, v14
	s_delay_alu instid0(VALU_DEP_2)
	v_cmpx_eq_u32_e32 1, v15
	s_cbranch_execz .LBB38_64
; %bb.63:                               ;   in Loop: Header=BB38_62 Depth=2
	s_delay_alu instid0(VALU_DEP_2) | instskip(NEXT) | instid1(VALU_DEP_1)
	v_add_nc_u32_e32 v13, v12, v28
	v_ashrrev_i32_e32 v14, 31, v13
	s_delay_alu instid0(VALU_DEP_1) | instskip(NEXT) | instid1(VALU_DEP_1)
	v_lshlrev_b64 v[13:14], 3, v[13:14]
	v_add_co_u32 v13, vcc_lo, s44, v13
	s_delay_alu instid0(VALU_DEP_2)
	v_add_co_ci_u32_e32 v14, vcc_lo, s45, v14, vcc_lo
	global_store_b64 v[13:14], v[8:9], off
.LBB38_64:                              ;   in Loop: Header=BB38_62 Depth=2
	s_or_b32 exec_lo, exec_lo, s19
	s_and_saveexec_b32 s19, s1
	s_cbranch_execz .LBB38_61
; %bb.65:                               ;   in Loop: Header=BB38_62 Depth=2
	ds_store_b32 v6, v12 offset:60
	s_branch .LBB38_61
.LBB38_66:
	s_endpgm
	.section	.rodata,"a",@progbits
	.p2align	6, 0x0
	.amdhsa_kernel _ZN9rocsparseL51csrgemm_numeric_fill_block_per_row_multipass_kernelILj512ELj16ELj2048ELj32EiidEEvT4_PKS1_S3_NS_24const_host_device_scalarIT5_EEPKT3_S3_PKS5_S9_S3_SB_S6_S9_S3_SB_S9_S3_PS5_PS7_21rocsparse_index_base_SE_SE_SE_bbb
		.amdhsa_group_segment_fixed_size 18440
		.amdhsa_private_segment_fixed_size 0
		.amdhsa_kernarg_size 164
		.amdhsa_user_sgpr_count 15
		.amdhsa_user_sgpr_dispatch_ptr 0
		.amdhsa_user_sgpr_queue_ptr 0
		.amdhsa_user_sgpr_kernarg_segment_ptr 1
		.amdhsa_user_sgpr_dispatch_id 0
		.amdhsa_user_sgpr_private_segment_size 0
		.amdhsa_wavefront_size32 1
		.amdhsa_uses_dynamic_stack 0
		.amdhsa_enable_private_segment 0
		.amdhsa_system_sgpr_workgroup_id_x 1
		.amdhsa_system_sgpr_workgroup_id_y 0
		.amdhsa_system_sgpr_workgroup_id_z 0
		.amdhsa_system_sgpr_workgroup_info 0
		.amdhsa_system_vgpr_workitem_id 0
		.amdhsa_next_free_vgpr 39
		.amdhsa_next_free_sgpr 59
		.amdhsa_reserve_vcc 1
		.amdhsa_float_round_mode_32 0
		.amdhsa_float_round_mode_16_64 0
		.amdhsa_float_denorm_mode_32 3
		.amdhsa_float_denorm_mode_16_64 3
		.amdhsa_dx10_clamp 1
		.amdhsa_ieee_mode 1
		.amdhsa_fp16_overflow 0
		.amdhsa_workgroup_processor_mode 1
		.amdhsa_memory_ordered 1
		.amdhsa_forward_progress 0
		.amdhsa_shared_vgpr_count 0
		.amdhsa_exception_fp_ieee_invalid_op 0
		.amdhsa_exception_fp_denorm_src 0
		.amdhsa_exception_fp_ieee_div_zero 0
		.amdhsa_exception_fp_ieee_overflow 0
		.amdhsa_exception_fp_ieee_underflow 0
		.amdhsa_exception_fp_ieee_inexact 0
		.amdhsa_exception_int_div_zero 0
	.end_amdhsa_kernel
	.section	.text._ZN9rocsparseL51csrgemm_numeric_fill_block_per_row_multipass_kernelILj512ELj16ELj2048ELj32EiidEEvT4_PKS1_S3_NS_24const_host_device_scalarIT5_EEPKT3_S3_PKS5_S9_S3_SB_S6_S9_S3_SB_S9_S3_PS5_PS7_21rocsparse_index_base_SE_SE_SE_bbb,"axG",@progbits,_ZN9rocsparseL51csrgemm_numeric_fill_block_per_row_multipass_kernelILj512ELj16ELj2048ELj32EiidEEvT4_PKS1_S3_NS_24const_host_device_scalarIT5_EEPKT3_S3_PKS5_S9_S3_SB_S6_S9_S3_SB_S9_S3_PS5_PS7_21rocsparse_index_base_SE_SE_SE_bbb,comdat
.Lfunc_end38:
	.size	_ZN9rocsparseL51csrgemm_numeric_fill_block_per_row_multipass_kernelILj512ELj16ELj2048ELj32EiidEEvT4_PKS1_S3_NS_24const_host_device_scalarIT5_EEPKT3_S3_PKS5_S9_S3_SB_S6_S9_S3_SB_S9_S3_PS5_PS7_21rocsparse_index_base_SE_SE_SE_bbb, .Lfunc_end38-_ZN9rocsparseL51csrgemm_numeric_fill_block_per_row_multipass_kernelILj512ELj16ELj2048ELj32EiidEEvT4_PKS1_S3_NS_24const_host_device_scalarIT5_EEPKT3_S3_PKS5_S9_S3_SB_S6_S9_S3_SB_S9_S3_PS5_PS7_21rocsparse_index_base_SE_SE_SE_bbb
                                        ; -- End function
	.section	.AMDGPU.csdata,"",@progbits
; Kernel info:
; codeLenInByte = 2996
; NumSgprs: 61
; NumVgprs: 39
; ScratchSize: 0
; MemoryBound: 0
; FloatMode: 240
; IeeeMode: 1
; LDSByteSize: 18440 bytes/workgroup (compile time only)
; SGPRBlocks: 7
; VGPRBlocks: 4
; NumSGPRsForWavesPerEU: 61
; NumVGPRsForWavesPerEU: 39
; Occupancy: 16
; WaveLimiterHint : 1
; COMPUTE_PGM_RSRC2:SCRATCH_EN: 0
; COMPUTE_PGM_RSRC2:USER_SGPR: 15
; COMPUTE_PGM_RSRC2:TRAP_HANDLER: 0
; COMPUTE_PGM_RSRC2:TGID_X_EN: 1
; COMPUTE_PGM_RSRC2:TGID_Y_EN: 0
; COMPUTE_PGM_RSRC2:TGID_Z_EN: 0
; COMPUTE_PGM_RSRC2:TIDIG_COMP_CNT: 0
	.section	.text._ZN9rocsparseL51csrgemm_numeric_fill_block_per_row_multipass_kernelILj512ELj16ELj2048ELj64EiidEEvT4_PKS1_S3_NS_24const_host_device_scalarIT5_EEPKT3_S3_PKS5_S9_S3_SB_S6_S9_S3_SB_S9_S3_PS5_PS7_21rocsparse_index_base_SE_SE_SE_bbb,"axG",@progbits,_ZN9rocsparseL51csrgemm_numeric_fill_block_per_row_multipass_kernelILj512ELj16ELj2048ELj64EiidEEvT4_PKS1_S3_NS_24const_host_device_scalarIT5_EEPKT3_S3_PKS5_S9_S3_SB_S6_S9_S3_SB_S9_S3_PS5_PS7_21rocsparse_index_base_SE_SE_SE_bbb,comdat
	.globl	_ZN9rocsparseL51csrgemm_numeric_fill_block_per_row_multipass_kernelILj512ELj16ELj2048ELj64EiidEEvT4_PKS1_S3_NS_24const_host_device_scalarIT5_EEPKT3_S3_PKS5_S9_S3_SB_S6_S9_S3_SB_S9_S3_PS5_PS7_21rocsparse_index_base_SE_SE_SE_bbb ; -- Begin function _ZN9rocsparseL51csrgemm_numeric_fill_block_per_row_multipass_kernelILj512ELj16ELj2048ELj64EiidEEvT4_PKS1_S3_NS_24const_host_device_scalarIT5_EEPKT3_S3_PKS5_S9_S3_SB_S6_S9_S3_SB_S9_S3_PS5_PS7_21rocsparse_index_base_SE_SE_SE_bbb
	.p2align	8
	.type	_ZN9rocsparseL51csrgemm_numeric_fill_block_per_row_multipass_kernelILj512ELj16ELj2048ELj64EiidEEvT4_PKS1_S3_NS_24const_host_device_scalarIT5_EEPKT3_S3_PKS5_S9_S3_SB_S6_S9_S3_SB_S9_S3_PS5_PS7_21rocsparse_index_base_SE_SE_SE_bbb,@function
_ZN9rocsparseL51csrgemm_numeric_fill_block_per_row_multipass_kernelILj512ELj16ELj2048ELj64EiidEEvT4_PKS1_S3_NS_24const_host_device_scalarIT5_EEPKT3_S3_PKS5_S9_S3_SB_S6_S9_S3_SB_S9_S3_PS5_PS7_21rocsparse_index_base_SE_SE_SE_bbb: ; @_ZN9rocsparseL51csrgemm_numeric_fill_block_per_row_multipass_kernelILj512ELj16ELj2048ELj64EiidEEvT4_PKS1_S3_NS_24const_host_device_scalarIT5_EEPKT3_S3_PKS5_S9_S3_SB_S6_S9_S3_SB_S9_S3_PS5_PS7_21rocsparse_index_base_SE_SE_SE_bbb
; %bb.0:
	s_clause 0x4
	s_load_b32 s11, s[0:1], 0xa0
	s_load_b64 s[2:3], s[0:1], 0x18
	s_load_b128 s[4:7], s[0:1], 0x8
	s_load_b128 s[28:31], s[0:1], 0x90
	s_load_b64 s[8:9], s[0:1], 0x50
	s_waitcnt lgkmcnt(0)
	s_and_b32 s10, 1, s11
	s_bitcmp1_b32 s11, 16
	s_cselect_b32 s12, -1, 0
	s_cmp_eq_u32 s10, 1
	s_cselect_b32 s10, -1, 0
	s_delay_alu instid0(SALU_CYCLE_1)
	s_and_b32 s13, s10, exec_lo
	s_cselect_b32 s17, s3, 0
	s_cselect_b32 s16, s2, 0
	s_xor_b32 s13, s10, -1
	v_dual_mov_b32 v1, s16 :: v_dual_mov_b32 v2, s17
	s_or_b32 s13, s13, s12
	s_delay_alu instid0(SALU_CYCLE_1)
	s_and_b32 vcc_lo, exec_lo, s13
	s_cbranch_vccnz .LBB39_2
; %bb.1:
	v_dual_mov_b32 v1, s2 :: v_dual_mov_b32 v2, s3
	flat_load_b64 v[1:2], v[1:2]
.LBB39_2:
	s_load_b64 s[2:3], s[0:1], 0x20
	s_bitcmp1_b32 s11, 8
	s_cselect_b32 s33, -1, 0
	s_delay_alu instid0(SALU_CYCLE_1)
	s_and_b32 s11, s33, exec_lo
	s_cselect_b32 s17, s9, 0
	s_cselect_b32 s16, s8, 0
	s_xor_b32 s11, s33, -1
	v_dual_mov_b32 v3, s16 :: v_dual_mov_b32 v4, s17
	s_or_b32 s11, s11, s12
	s_delay_alu instid0(SALU_CYCLE_1)
	s_and_b32 vcc_lo, exec_lo, s11
	s_cbranch_vccnz .LBB39_4
; %bb.3:
	v_dual_mov_b32 v3, s8 :: v_dual_mov_b32 v4, s9
	flat_load_b64 v[3:4], v[3:4]
.LBB39_4:
	s_load_b32 s4, s[4:5], 0x0
	s_mov_b32 s35, 0
	s_waitcnt lgkmcnt(0)
	s_add_i32 s34, s4, s15
	s_delay_alu instid0(SALU_CYCLE_1) | instskip(NEXT) | instid1(SALU_CYCLE_1)
	s_lshl_b64 s[4:5], s[34:35], 2
	s_add_u32 s4, s6, s4
	s_addc_u32 s5, s7, s5
	s_and_not1_b32 vcc_lo, exec_lo, s10
	s_load_b32 s8, s[4:5], 0x0
	s_mov_b32 s7, 0
	s_cbranch_vccz .LBB39_7
; %bb.5:
	s_and_not1_b32 vcc_lo, exec_lo, s10
	s_cbranch_vccz .LBB39_8
.LBB39_6:
	s_load_b32 s34, s[0:1], 0x0
	s_waitcnt lgkmcnt(0)
	s_cmp_lt_i32 s34, 1
	s_cbranch_scc0 .LBB39_9
	s_branch .LBB39_66
.LBB39_7:
	s_waitcnt lgkmcnt(0)
	s_ashr_i32 s9, s8, 31
	s_delay_alu instid0(SALU_CYCLE_1) | instskip(NEXT) | instid1(SALU_CYCLE_1)
	s_lshl_b64 s[4:5], s[8:9], 2
	s_add_u32 s4, s2, s4
	s_addc_u32 s5, s3, s5
	s_load_b32 s4, s[4:5], 0x0
	s_waitcnt lgkmcnt(0)
	s_sub_i32 s7, s4, s28
	s_and_not1_b32 vcc_lo, exec_lo, s10
	s_cbranch_vccnz .LBB39_6
.LBB39_8:
	s_waitcnt lgkmcnt(0)
	s_ashr_i32 s9, s8, 31
	s_delay_alu instid0(SALU_CYCLE_1) | instskip(NEXT) | instid1(SALU_CYCLE_1)
	s_lshl_b64 s[4:5], s[8:9], 2
	s_add_u32 s2, s2, s4
	s_addc_u32 s3, s3, s5
	s_load_b32 s2, s[2:3], 0x4
	s_waitcnt lgkmcnt(0)
	s_sub_i32 s35, s2, s28
	s_load_b32 s34, s[0:1], 0x0
	s_waitcnt lgkmcnt(0)
	s_cmp_lt_i32 s34, 1
	s_cbranch_scc1 .LBB39_66
.LBB39_9:
	s_clause 0x3
	s_load_b256 s[12:19], s[0:1], 0x58
	s_load_b128 s[36:39], s[0:1], 0x80
	s_load_b64 s[40:41], s[0:1], 0x48
	s_load_b256 s[20:27], s[0:1], 0x28
	s_ashr_i32 s9, s8, 31
	v_mbcnt_lo_u32_b32 v6, -1, 0
	s_lshl_b64 s[42:43], s[8:9], 2
	v_lshrrev_b32_e32 v5, 4, v0
	v_and_b32_e32 v19, 15, v0
	v_cmp_eq_u32_e64 s0, 0, v0
	v_xor_b32_e32 v7, 8, v6
	v_xor_b32_e32 v8, 4, v6
	;; [unrolled: 1-line block ×5, first 2 shown]
	v_dual_mov_b32 v31, 0x800 :: v_dual_and_b32 v22, 28, v5
	v_subrev_nc_u32_e32 v20, s31, v0
	v_cmp_eq_u32_e64 s1, 0x1ff, v0
	v_cmp_gt_u32_e64 s2, 64, v0
	s_waitcnt lgkmcnt(0)
	s_add_u32 s8, s18, s42
	s_addc_u32 s9, s19, s43
	v_cmp_gt_u32_e64 s3, 0x80, v0
	s_load_b32 s9, s[8:9], 0x0
	v_cmp_gt_i32_e64 s8, 32, v7
	v_cmp_gt_u32_e64 s4, 0xc0, v0
	v_cmp_gt_u32_e64 s5, 0x100, v0
	;; [unrolled: 1-line block ×3, first 2 shown]
	v_or_b32_e32 v27, 0xfffffe00, v0
	v_cndmask_b32_e64 v7, v6, v7, s8
	v_cmp_gt_i32_e64 s8, 32, v8
	v_mov_b32_e32 v29, 1
	s_delay_alu instid0(VALU_DEP_2) | instskip(SKIP_1) | instid1(VALU_DEP_1)
	v_cndmask_b32_e64 v8, v6, v8, s8
	v_cmp_gt_i32_e64 s8, 32, v9
	v_cndmask_b32_e64 v9, v6, v9, s8
	v_cmp_gt_i32_e64 s8, 32, v10
	s_waitcnt lgkmcnt(0)
	s_sub_i32 s11, s9, s30
	s_delay_alu instid0(SALU_CYCLE_1) | instskip(SKIP_3) | instid1(VALU_DEP_3)
	v_dual_mov_b32 v28, s11 :: v_dual_add_nc_u32 v21, s7, v5
	s_add_u32 s18, s12, s42
	v_cndmask_b32_e64 v10, v6, v10, s8
	v_lshrrev_b64 v[5:6], v11, -1
	v_cmp_gt_i32_e32 vcc_lo, s35, v21
	v_mov_b32_e32 v6, 0
	s_addc_u32 s19, s13, s43
	v_cmp_eq_u32_e64 s7, 15, v19
	v_lshlrev_b32_e32 v23, 2, v7
	s_and_b32 s13, s10, vcc_lo
	v_mov_b32_e32 v30, v6
	v_dual_mov_b32 v7, v6 :: v_dual_lshlrev_b32 v24, 2, v8
	v_lshlrev_b32_e32 v25, 2, v9
	v_lshlrev_b32_e32 v26, 2, v10
	v_cmp_gt_u32_e64 s8, 0x180, v0
	v_cmp_gt_u32_e64 s9, 0x1c0, v0
	s_add_u32 s30, s24, 4
	v_lshlrev_b32_e32 v0, 3, v0
	s_addc_u32 s42, s25, 0
	s_add_u32 s36, s36, -8
	s_addc_u32 s37, s37, -1
	s_branch .LBB39_11
.LBB39_10:                              ;   in Loop: Header=BB39_11 Depth=1
	s_or_b32 exec_lo, exec_lo, s10
	ds_load_b32 v30, v6 offset:18432
	s_waitcnt lgkmcnt(0)
	s_barrier
	buffer_gl0_inv
	v_cmp_le_i32_e32 vcc_lo, s34, v30
	v_add_nc_u32_e32 v31, 0x800, v30
	s_cbranch_vccnz .LBB39_66
.LBB39_11:                              ; =>This Loop Header: Depth=1
                                        ;     Child Loop BB39_12 Depth 2
                                        ;     Child Loop BB39_18 Depth 2
                                        ;       Child Loop BB39_24 Depth 3
                                        ;         Child Loop BB39_28 Depth 4
                                        ;     Child Loop BB39_43 Depth 2
                                        ;       Child Loop BB39_47 Depth 3
                                        ;     Child Loop BB39_57 Depth 2
                                        ;     Child Loop BB39_62 Depth 2
	v_dual_mov_b32 v8, v0 :: v_dual_mov_b32 v9, v27
	s_mov_b32 s10, 0
.LBB39_12:                              ;   Parent Loop BB39_11 Depth=1
                                        ; =>  This Inner Loop Header: Depth=2
	ds_store_b8 v9, v6 offset:16896
	v_add_nc_u32_e32 v9, 0x200, v9
	ds_store_b64 v8, v[6:7]
	v_add_nc_u32_e32 v8, 0x1000, v8
	v_cmp_lt_u32_e32 vcc_lo, 0x5ff, v9
	s_or_b32 s10, vcc_lo, s10
	s_delay_alu instid0(SALU_CYCLE_1)
	s_and_not1_b32 exec_lo, exec_lo, s10
	s_cbranch_execnz .LBB39_12
; %bb.13:                               ;   in Loop: Header=BB39_11 Depth=1
	s_or_b32 exec_lo, exec_lo, s10
	s_and_saveexec_b32 s10, s0
	s_cbranch_execz .LBB39_15
; %bb.14:                               ;   in Loop: Header=BB39_11 Depth=1
	v_mov_b32_e32 v8, s34
	ds_store_b32 v6, v8 offset:18432
.LBB39_15:                              ;   in Loop: Header=BB39_11 Depth=1
	s_or_b32 exec_lo, exec_lo, s10
	v_mov_b32_e32 v32, s34
	s_waitcnt vmcnt(0) lgkmcnt(0)
	s_barrier
	buffer_gl0_inv
	s_and_saveexec_b32 s43, s13
	s_cbranch_execz .LBB39_39
; %bb.16:                               ;   in Loop: Header=BB39_11 Depth=1
	v_cmp_ne_u32_e64 s10, 0, v30
	v_mov_b32_e32 v32, s34
	v_mov_b32_e32 v8, v21
	s_mov_b32 s44, 0
	s_branch .LBB39_18
.LBB39_17:                              ;   in Loop: Header=BB39_18 Depth=2
	s_or_b32 exec_lo, exec_lo, s11
	v_add_nc_u32_e32 v8, 32, v8
	s_delay_alu instid0(VALU_DEP_1) | instskip(SKIP_1) | instid1(SALU_CYCLE_1)
	v_cmp_le_i32_e32 vcc_lo, s35, v8
	s_or_b32 s44, vcc_lo, s44
	s_and_not1_b32 exec_lo, exec_lo, s44
	s_cbranch_execz .LBB39_38
.LBB39_18:                              ;   Parent Loop BB39_11 Depth=1
                                        ; =>  This Loop Header: Depth=2
                                        ;       Child Loop BB39_24 Depth 3
                                        ;         Child Loop BB39_28 Depth 4
	s_delay_alu instid0(VALU_DEP_1) | instskip(NEXT) | instid1(VALU_DEP_1)
	v_ashrrev_i32_e32 v9, 31, v8
	v_lshlrev_b64 v[10:11], 2, v[8:9]
	v_lshlrev_b64 v[14:15], 3, v[8:9]
	s_waitcnt lgkmcnt(0)
	s_delay_alu instid0(VALU_DEP_2) | instskip(NEXT) | instid1(VALU_DEP_3)
	v_add_co_u32 v12, vcc_lo, s20, v10
	v_add_co_ci_u32_e32 v13, vcc_lo, s21, v11, vcc_lo
	global_load_b32 v9, v[12:13], off
	v_add_co_u32 v12, vcc_lo, s22, v14
	v_add_co_ci_u32_e32 v13, vcc_lo, s23, v15, vcc_lo
	s_and_b32 vcc_lo, exec_lo, s10
	global_load_b64 v[12:13], v[12:13], off
	s_waitcnt vmcnt(1)
	v_subrev_nc_u32_e32 v14, s28, v9
	s_delay_alu instid0(VALU_DEP_1)
	v_ashrrev_i32_e32 v15, 31, v14
	s_cbranch_vccz .LBB39_37
; %bb.19:                               ;   in Loop: Header=BB39_18 Depth=2
	v_add_co_u32 v16, vcc_lo, s38, v10
	v_add_co_ci_u32_e32 v17, vcc_lo, s39, v11, vcc_lo
	global_load_b32 v9, v[16:17], off
	s_cbranch_execnz .LBB39_21
.LBB39_20:                              ;   in Loop: Header=BB39_18 Depth=2
	s_delay_alu instid0(VALU_DEP_1) | instskip(NEXT) | instid1(VALU_DEP_1)
	v_lshlrev_b64 v[16:17], 2, v[14:15]
	v_add_co_u32 v16, vcc_lo, s24, v16
	s_delay_alu instid0(VALU_DEP_2)
	v_add_co_ci_u32_e32 v17, vcc_lo, s25, v17, vcc_lo
	global_load_b32 v9, v[16:17], off
	s_waitcnt vmcnt(0)
	v_subrev_nc_u32_e32 v9, s29, v9
.LBB39_21:                              ;   in Loop: Header=BB39_18 Depth=2
	v_lshlrev_b64 v[14:15], 2, v[14:15]
	s_waitcnt vmcnt(0)
	s_delay_alu instid0(VALU_DEP_2) | instskip(SKIP_1) | instid1(VALU_DEP_2)
	v_add_nc_u32_e32 v9, v9, v19
	s_mov_b32 s45, exec_lo
	v_add_co_u32 v14, vcc_lo, s30, v14
	s_delay_alu instid0(VALU_DEP_3) | instskip(SKIP_3) | instid1(VALU_DEP_1)
	v_add_co_ci_u32_e32 v15, vcc_lo, s42, v15, vcc_lo
	global_load_b32 v14, v[14:15], off
	s_waitcnt vmcnt(0)
	v_subrev_nc_u32_e32 v33, s29, v14
	v_cmpx_lt_i32_e64 v9, v33
	s_cbranch_execz .LBB39_35
; %bb.22:                               ;   in Loop: Header=BB39_18 Depth=2
	v_mul_f64 v[12:13], v[1:2], v[12:13]
	v_mov_b32_e32 v14, v9
	s_mov_b32 s47, 0
                                        ; implicit-def: $sgpr46
                                        ; implicit-def: $sgpr48
	s_branch .LBB39_24
.LBB39_23:                              ;   in Loop: Header=BB39_24 Depth=3
	s_or_b32 exec_lo, exec_lo, s12
	s_delay_alu instid0(SALU_CYCLE_1) | instskip(SKIP_4) | instid1(SALU_CYCLE_1)
	s_and_b32 s11, exec_lo, s49
	v_mov_b32_e32 v14, v16
	s_or_b32 s47, s11, s47
	s_and_not1_b32 s11, s46, exec_lo
	s_and_b32 s12, s48, exec_lo
	s_or_b32 s46, s11, s12
	s_and_not1_b32 exec_lo, exec_lo, s47
	s_cbranch_execz .LBB39_32
.LBB39_24:                              ;   Parent Loop BB39_11 Depth=1
                                        ;     Parent Loop BB39_18 Depth=2
                                        ; =>    This Loop Header: Depth=3
                                        ;         Child Loop BB39_28 Depth 4
	s_delay_alu instid0(VALU_DEP_1) | instskip(NEXT) | instid1(VALU_DEP_1)
	v_ashrrev_i32_e32 v15, 31, v14
	v_lshlrev_b64 v[16:17], 2, v[14:15]
	s_delay_alu instid0(VALU_DEP_1) | instskip(NEXT) | instid1(VALU_DEP_2)
	v_add_co_u32 v16, vcc_lo, s26, v16
	v_add_co_ci_u32_e32 v17, vcc_lo, s27, v17, vcc_lo
	global_load_b32 v16, v[16:17], off
	s_waitcnt vmcnt(0)
	v_subrev_nc_u32_e32 v34, s29, v16
	s_delay_alu instid0(VALU_DEP_1) | instskip(SKIP_2) | instid1(VALU_DEP_2)
	v_cmp_lt_i32_e64 s11, v34, v30
	v_cmp_ge_i32_e64 s12, v34, v31
	v_cmp_lt_i32_e32 vcc_lo, v34, v31
	s_or_b32 s49, s11, s12
	s_mov_b32 s11, 0
                                        ; implicit-def: $sgpr12
	s_and_saveexec_b32 s50, s49
	s_delay_alu instid0(SALU_CYCLE_1)
	s_xor_b32 s49, exec_lo, s50
; %bb.25:                               ;   in Loop: Header=BB39_24 Depth=3
	s_mov_b32 s12, -1
	s_and_b32 s11, vcc_lo, exec_lo
; %bb.26:                               ;   in Loop: Header=BB39_24 Depth=3
	s_and_not1_saveexec_b32 s49, s49
	s_cbranch_execz .LBB39_30
; %bb.27:                               ;   in Loop: Header=BB39_24 Depth=3
	v_lshlrev_b64 v[15:16], 3, v[14:15]
	v_sub_nc_u32_e32 v17, v34, v30
	s_mov_b32 s50, 0
	s_delay_alu instid0(VALU_DEP_1) | instskip(NEXT) | instid1(VALU_DEP_3)
	v_lshlrev_b32_e32 v35, 3, v17
	v_add_co_u32 v15, vcc_lo, s40, v15
	s_delay_alu instid0(VALU_DEP_4)
	v_add_co_ci_u32_e32 v16, vcc_lo, s41, v16, vcc_lo
	ds_store_b8 v17, v29 offset:16384
	ds_load_b64 v[17:18], v35
	global_load_b64 v[15:16], v[15:16], off
	s_waitcnt vmcnt(0)
	v_mul_f64 v[15:16], v[12:13], v[15:16]
.LBB39_28:                              ;   Parent Loop BB39_11 Depth=1
                                        ;     Parent Loop BB39_18 Depth=2
                                        ;       Parent Loop BB39_24 Depth=3
                                        ; =>      This Inner Loop Header: Depth=4
	s_waitcnt lgkmcnt(0)
	s_delay_alu instid0(VALU_DEP_1)
	v_add_f64 v[36:37], v[17:18], v[15:16]
	ds_cmpstore_rtn_b64 v[36:37], v35, v[36:37], v[17:18]
	s_waitcnt lgkmcnt(0)
	v_cmp_eq_u64_e32 vcc_lo, v[36:37], v[17:18]
	v_dual_mov_b32 v17, v36 :: v_dual_mov_b32 v18, v37
	s_or_b32 s50, vcc_lo, s50
	s_delay_alu instid0(SALU_CYCLE_1)
	s_and_not1_b32 exec_lo, exec_lo, s50
	s_cbranch_execnz .LBB39_28
; %bb.29:                               ;   in Loop: Header=BB39_24 Depth=3
	s_or_b32 exec_lo, exec_lo, s50
	s_delay_alu instid0(SALU_CYCLE_1)
	s_or_b32 s11, s11, exec_lo
.LBB39_30:                              ;   in Loop: Header=BB39_24 Depth=3
	s_or_b32 exec_lo, exec_lo, s49
	v_mov_b32_e32 v15, v14
	s_and_not1_b32 s48, s48, exec_lo
	s_and_b32 s12, s12, exec_lo
	s_mov_b32 s49, -1
	s_or_b32 s48, s48, s12
                                        ; implicit-def: $vgpr16
	s_and_saveexec_b32 s12, s11
	s_cbranch_execz .LBB39_23
; %bb.31:                               ;   in Loop: Header=BB39_24 Depth=3
	v_dual_mov_b32 v15, v14 :: v_dual_add_nc_u32 v16, 16, v14
	s_and_not1_b32 s48, s48, exec_lo
	s_delay_alu instid0(VALU_DEP_1)
	v_cmp_ge_i32_e32 vcc_lo, v16, v33
	s_or_not1_b32 s49, vcc_lo, exec_lo
	s_branch .LBB39_23
.LBB39_32:                              ;   in Loop: Header=BB39_18 Depth=2
	s_or_b32 exec_lo, exec_lo, s47
	s_and_saveexec_b32 s11, s46
	s_delay_alu instid0(SALU_CYCLE_1)
	s_xor_b32 s11, exec_lo, s11
; %bb.33:                               ;   in Loop: Header=BB39_18 Depth=2
	v_min_i32_e32 v32, v34, v32
	v_mov_b32_e32 v9, v15
; %bb.34:                               ;   in Loop: Header=BB39_18 Depth=2
	s_or_b32 exec_lo, exec_lo, s11
.LBB39_35:                              ;   in Loop: Header=BB39_18 Depth=2
	s_delay_alu instid0(SALU_CYCLE_1)
	s_or_b32 exec_lo, exec_lo, s45
	ds_bpermute_b32 v12, v23, v9
	s_waitcnt lgkmcnt(0)
	v_min_i32_e32 v9, v12, v9
	ds_bpermute_b32 v12, v24, v9
	s_waitcnt lgkmcnt(0)
	v_min_i32_e32 v9, v12, v9
	;; [unrolled: 3-line block ×3, first 2 shown]
	ds_bpermute_b32 v12, v26, v9
	s_and_saveexec_b32 s11, s7
	s_cbranch_execz .LBB39_17
; %bb.36:                               ;   in Loop: Header=BB39_18 Depth=2
	s_waitcnt lgkmcnt(0)
	v_min_i32_e32 v12, v12, v9
	v_add_co_u32 v9, vcc_lo, s38, v10
	v_add_co_ci_u32_e32 v10, vcc_lo, s39, v11, vcc_lo
	global_store_b32 v[9:10], v12, off
	s_branch .LBB39_17
.LBB39_37:                              ;   in Loop: Header=BB39_18 Depth=2
                                        ; implicit-def: $vgpr9
	s_branch .LBB39_20
.LBB39_38:                              ;   in Loop: Header=BB39_11 Depth=1
	s_or_b32 exec_lo, exec_lo, s44
.LBB39_39:                              ;   in Loop: Header=BB39_11 Depth=1
	s_delay_alu instid0(SALU_CYCLE_1) | instskip(NEXT) | instid1(SALU_CYCLE_1)
	s_or_b32 exec_lo, exec_lo, s43
	s_and_not1_b32 vcc_lo, exec_lo, s33
	s_cbranch_vccnz .LBB39_55
; %bb.40:                               ;   in Loop: Header=BB39_11 Depth=1
	s_load_b64 s[10:11], s[18:19], 0x0
	s_mov_b32 s12, exec_lo
	s_waitcnt lgkmcnt(0)
	v_add_nc_u32_e32 v8, s10, v20
	s_sub_i32 s43, s11, s31
	s_delay_alu instid0(VALU_DEP_1) | instid1(SALU_CYCLE_1)
	v_cmpx_gt_i32_e64 s43, v8
	s_cbranch_execz .LBB39_54
; %bb.41:                               ;   in Loop: Header=BB39_11 Depth=1
	s_mov_b32 s44, 0
                                        ; implicit-def: $sgpr45
                                        ; implicit-def: $sgpr46
	s_branch .LBB39_43
.LBB39_42:                              ;   in Loop: Header=BB39_43 Depth=2
	s_or_b32 exec_lo, exec_lo, s47
	s_delay_alu instid0(SALU_CYCLE_1) | instskip(NEXT) | instid1(SALU_CYCLE_1)
	s_and_b32 s10, exec_lo, s11
	s_or_b32 s44, s10, s44
	s_and_not1_b32 s10, s45, exec_lo
	s_and_b32 s11, s46, exec_lo
	s_delay_alu instid0(SALU_CYCLE_1)
	s_or_b32 s45, s10, s11
	s_and_not1_b32 exec_lo, exec_lo, s44
	s_cbranch_execz .LBB39_51
.LBB39_43:                              ;   Parent Loop BB39_11 Depth=1
                                        ; =>  This Loop Header: Depth=2
                                        ;       Child Loop BB39_47 Depth 3
	v_ashrrev_i32_e32 v9, 31, v8
	s_delay_alu instid0(VALU_DEP_1) | instskip(NEXT) | instid1(VALU_DEP_1)
	v_lshlrev_b64 v[10:11], 2, v[8:9]
	v_add_co_u32 v10, vcc_lo, s14, v10
	s_delay_alu instid0(VALU_DEP_2) | instskip(SKIP_3) | instid1(VALU_DEP_1)
	v_add_co_ci_u32_e32 v11, vcc_lo, s15, v11, vcc_lo
	global_load_b32 v10, v[10:11], off
	s_waitcnt vmcnt(0)
	v_subrev_nc_u32_e32 v13, s31, v10
	v_cmp_lt_i32_e64 s10, v13, v30
	v_cmp_ge_i32_e64 s11, v13, v31
	v_cmp_lt_i32_e32 vcc_lo, v13, v31
	s_delay_alu instid0(VALU_DEP_2) | instskip(SKIP_2) | instid1(SALU_CYCLE_1)
	s_or_b32 s47, s10, s11
	s_mov_b32 s10, 0
                                        ; implicit-def: $sgpr11
	s_and_saveexec_b32 s48, s47
	s_xor_b32 s47, exec_lo, s48
; %bb.44:                               ;   in Loop: Header=BB39_43 Depth=2
	s_mov_b32 s11, -1
	s_and_b32 s10, vcc_lo, exec_lo
; %bb.45:                               ;   in Loop: Header=BB39_43 Depth=2
	s_and_not1_saveexec_b32 s47, s47
	s_cbranch_execz .LBB39_49
; %bb.46:                               ;   in Loop: Header=BB39_43 Depth=2
	v_lshlrev_b64 v[9:10], 3, v[8:9]
	v_sub_nc_u32_e32 v11, v13, v30
	s_mov_b32 s48, 0
	s_delay_alu instid0(VALU_DEP_1) | instskip(NEXT) | instid1(VALU_DEP_3)
	v_lshlrev_b32_e32 v14, 3, v11
	v_add_co_u32 v9, vcc_lo, s16, v9
	s_delay_alu instid0(VALU_DEP_4)
	v_add_co_ci_u32_e32 v10, vcc_lo, s17, v10, vcc_lo
	ds_store_b8 v11, v29 offset:16384
	ds_load_b64 v[11:12], v14
	global_load_b64 v[9:10], v[9:10], off
	s_waitcnt vmcnt(0)
	v_mul_f64 v[9:10], v[3:4], v[9:10]
.LBB39_47:                              ;   Parent Loop BB39_11 Depth=1
                                        ;     Parent Loop BB39_43 Depth=2
                                        ; =>    This Inner Loop Header: Depth=3
	s_waitcnt lgkmcnt(0)
	s_delay_alu instid0(VALU_DEP_1)
	v_add_f64 v[15:16], v[11:12], v[9:10]
	ds_cmpstore_rtn_b64 v[15:16], v14, v[15:16], v[11:12]
	s_waitcnt lgkmcnt(0)
	v_cmp_eq_u64_e32 vcc_lo, v[15:16], v[11:12]
	v_dual_mov_b32 v11, v15 :: v_dual_mov_b32 v12, v16
	s_or_b32 s48, vcc_lo, s48
	s_delay_alu instid0(SALU_CYCLE_1)
	s_and_not1_b32 exec_lo, exec_lo, s48
	s_cbranch_execnz .LBB39_47
; %bb.48:                               ;   in Loop: Header=BB39_43 Depth=2
	s_or_b32 exec_lo, exec_lo, s48
	s_delay_alu instid0(SALU_CYCLE_1)
	s_or_b32 s10, s10, exec_lo
.LBB39_49:                              ;   in Loop: Header=BB39_43 Depth=2
	s_or_b32 exec_lo, exec_lo, s47
	s_delay_alu instid0(SALU_CYCLE_1)
	s_and_not1_b32 s46, s46, exec_lo
	s_and_b32 s47, s11, exec_lo
	s_mov_b32 s11, -1
	s_or_b32 s46, s46, s47
	s_and_saveexec_b32 s47, s10
	s_cbranch_execz .LBB39_42
; %bb.50:                               ;   in Loop: Header=BB39_43 Depth=2
	v_add_nc_u32_e32 v8, 0x200, v8
	s_and_not1_b32 s46, s46, exec_lo
	s_delay_alu instid0(VALU_DEP_1)
	v_cmp_le_i32_e32 vcc_lo, s43, v8
	s_or_not1_b32 s11, vcc_lo, exec_lo
	s_branch .LBB39_42
.LBB39_51:                              ;   in Loop: Header=BB39_11 Depth=1
	s_or_b32 exec_lo, exec_lo, s44
	s_and_saveexec_b32 s10, s45
	s_delay_alu instid0(SALU_CYCLE_1)
	s_xor_b32 s10, exec_lo, s10
; %bb.52:                               ;   in Loop: Header=BB39_11 Depth=1
	v_min_i32_e32 v32, v13, v32
; %bb.53:                               ;   in Loop: Header=BB39_11 Depth=1
	s_or_b32 exec_lo, exec_lo, s10
.LBB39_54:                              ;   in Loop: Header=BB39_11 Depth=1
	s_delay_alu instid0(SALU_CYCLE_1)
	s_or_b32 exec_lo, exec_lo, s12
.LBB39_55:                              ;   in Loop: Header=BB39_11 Depth=1
	ds_bpermute_b32 v8, v23, v32
	s_waitcnt lgkmcnt(0)
	v_min_i32_e32 v8, v8, v32
	ds_bpermute_b32 v9, v24, v8
	s_waitcnt lgkmcnt(0)
	v_min_i32_e32 v8, v9, v8
	;; [unrolled: 3-line block ×3, first 2 shown]
	ds_bpermute_b32 v9, v26, v8
	s_and_saveexec_b32 s10, s7
	s_cbranch_execz .LBB39_60
; %bb.56:                               ;   in Loop: Header=BB39_11 Depth=1
	s_waitcnt lgkmcnt(0)
	v_min_i32_e32 v8, v9, v8
	s_mov_b32 s12, exec_lo
	s_brev_b32 s11, -2
.LBB39_57:                              ;   Parent Loop BB39_11 Depth=1
                                        ; =>  This Inner Loop Header: Depth=2
	s_ctz_i32_b32 s43, s12
	s_delay_alu instid0(VALU_DEP_1) | instid1(SALU_CYCLE_1)
	v_readlane_b32 s44, v8, s43
	s_lshl_b32 s43, 1, s43
	s_delay_alu instid0(SALU_CYCLE_1) | instskip(NEXT) | instid1(VALU_DEP_1)
	s_and_not1_b32 s12, s12, s43
	s_min_i32 s11, s11, s44
	s_cmp_lg_u32 s12, 0
	s_cbranch_scc1 .LBB39_57
; %bb.58:                               ;   in Loop: Header=BB39_11 Depth=1
	v_mbcnt_lo_u32_b32 v8, exec_lo, 0
	s_mov_b32 s12, exec_lo
	s_delay_alu instid0(VALU_DEP_1)
	v_cmpx_eq_u32_e32 0, v8
	s_xor_b32 s12, exec_lo, s12
	s_cbranch_execz .LBB39_60
; %bb.59:                               ;   in Loop: Header=BB39_11 Depth=1
	v_mov_b32_e32 v8, s11
	ds_min_i32 v6, v8 offset:18432
.LBB39_60:                              ;   in Loop: Header=BB39_11 Depth=1
	s_or_b32 exec_lo, exec_lo, s10
	v_dual_mov_b32 v10, v0 :: v_dual_mov_b32 v11, v27
	s_mov_b32 s10, 0
	s_waitcnt lgkmcnt(0)
	s_waitcnt_vscnt null, 0x0
	s_barrier
	buffer_gl0_inv
	s_branch .LBB39_62
.LBB39_61:                              ;   in Loop: Header=BB39_62 Depth=2
	s_or_b32 exec_lo, exec_lo, s11
	s_waitcnt lgkmcnt(0)
	s_waitcnt_vscnt null, 0x0
	s_barrier
	buffer_gl0_inv
	ds_load_b32 v8, v6 offset:28
	v_add_nc_u32_e32 v11, 0x200, v11
	v_add_nc_u32_e32 v10, 0x1000, v10
	s_delay_alu instid0(VALU_DEP_2)
	v_cmp_lt_u32_e32 vcc_lo, 0x5ff, v11
	s_or_b32 s10, vcc_lo, s10
	s_waitcnt lgkmcnt(0)
	v_add_nc_u32_e32 v28, v8, v28
	s_and_not1_b32 exec_lo, exec_lo, s10
	s_cbranch_execz .LBB39_10
.LBB39_62:                              ;   Parent Loop BB39_11 Depth=1
                                        ; =>  This Inner Loop Header: Depth=2
	ds_load_u8 v30, v11 offset:16896
	ds_load_b64 v[8:9], v10
	s_waitcnt lgkmcnt(0)
	s_barrier
	buffer_gl0_inv
	v_cmp_ne_u16_e32 vcc_lo, 0, v30
	s_bcnt1_i32_b32 s11, vcc_lo
	s_delay_alu instid0(SALU_CYCLE_1)
	v_dual_mov_b32 v12, s11 :: v_dual_and_b32 v31, vcc_lo, v5
	s_mov_b32 s11, exec_lo
	ds_store_b32 v22, v12
	s_waitcnt lgkmcnt(0)
	s_barrier
	buffer_gl0_inv
	ds_load_b128 v[12:15], v6
	ds_load_b96 v[16:18], v6 offset:16
	s_waitcnt lgkmcnt(1)
	v_cndmask_b32_e64 v12, v12, 0, s2
	v_cndmask_b32_e64 v13, v13, 0, s3
	;; [unrolled: 1-line block ×4, first 2 shown]
	s_waitcnt lgkmcnt(0)
	v_cndmask_b32_e64 v16, v16, 0, s6
	v_bcnt_u32_b32 v12, v31, v12
	s_delay_alu instid0(VALU_DEP_1) | instskip(SKIP_2) | instid1(VALU_DEP_3)
	v_add3_u32 v12, v12, v13, v14
	v_cndmask_b32_e64 v13, v17, 0, s8
	v_cndmask_b32_e64 v14, v18, 0, s9
	v_add3_u32 v12, v12, v15, v16
	v_and_b32_e32 v15, 1, v30
	s_delay_alu instid0(VALU_DEP_2) | instskip(NEXT) | instid1(VALU_DEP_2)
	v_add3_u32 v12, v12, v13, v14
	v_cmpx_eq_u32_e32 1, v15
	s_cbranch_execz .LBB39_64
; %bb.63:                               ;   in Loop: Header=BB39_62 Depth=2
	s_delay_alu instid0(VALU_DEP_2) | instskip(NEXT) | instid1(VALU_DEP_1)
	v_add_nc_u32_e32 v13, v12, v28
	v_ashrrev_i32_e32 v14, 31, v13
	s_delay_alu instid0(VALU_DEP_1) | instskip(NEXT) | instid1(VALU_DEP_1)
	v_lshlrev_b64 v[13:14], 3, v[13:14]
	v_add_co_u32 v13, vcc_lo, s36, v13
	s_delay_alu instid0(VALU_DEP_2)
	v_add_co_ci_u32_e32 v14, vcc_lo, s37, v14, vcc_lo
	global_store_b64 v[13:14], v[8:9], off
.LBB39_64:                              ;   in Loop: Header=BB39_62 Depth=2
	s_or_b32 exec_lo, exec_lo, s11
	s_and_saveexec_b32 s11, s1
	s_cbranch_execz .LBB39_61
; %bb.65:                               ;   in Loop: Header=BB39_62 Depth=2
	ds_store_b32 v6, v12 offset:28
	s_branch .LBB39_61
.LBB39_66:
	s_endpgm
	.section	.rodata,"a",@progbits
	.p2align	6, 0x0
	.amdhsa_kernel _ZN9rocsparseL51csrgemm_numeric_fill_block_per_row_multipass_kernelILj512ELj16ELj2048ELj64EiidEEvT4_PKS1_S3_NS_24const_host_device_scalarIT5_EEPKT3_S3_PKS5_S9_S3_SB_S6_S9_S3_SB_S9_S3_PS5_PS7_21rocsparse_index_base_SE_SE_SE_bbb
		.amdhsa_group_segment_fixed_size 18440
		.amdhsa_private_segment_fixed_size 0
		.amdhsa_kernarg_size 164
		.amdhsa_user_sgpr_count 15
		.amdhsa_user_sgpr_dispatch_ptr 0
		.amdhsa_user_sgpr_queue_ptr 0
		.amdhsa_user_sgpr_kernarg_segment_ptr 1
		.amdhsa_user_sgpr_dispatch_id 0
		.amdhsa_user_sgpr_private_segment_size 0
		.amdhsa_wavefront_size32 1
		.amdhsa_uses_dynamic_stack 0
		.amdhsa_enable_private_segment 0
		.amdhsa_system_sgpr_workgroup_id_x 1
		.amdhsa_system_sgpr_workgroup_id_y 0
		.amdhsa_system_sgpr_workgroup_id_z 0
		.amdhsa_system_sgpr_workgroup_info 0
		.amdhsa_system_vgpr_workitem_id 0
		.amdhsa_next_free_vgpr 38
		.amdhsa_next_free_sgpr 51
		.amdhsa_reserve_vcc 1
		.amdhsa_float_round_mode_32 0
		.amdhsa_float_round_mode_16_64 0
		.amdhsa_float_denorm_mode_32 3
		.amdhsa_float_denorm_mode_16_64 3
		.amdhsa_dx10_clamp 1
		.amdhsa_ieee_mode 1
		.amdhsa_fp16_overflow 0
		.amdhsa_workgroup_processor_mode 1
		.amdhsa_memory_ordered 1
		.amdhsa_forward_progress 0
		.amdhsa_shared_vgpr_count 0
		.amdhsa_exception_fp_ieee_invalid_op 0
		.amdhsa_exception_fp_denorm_src 0
		.amdhsa_exception_fp_ieee_div_zero 0
		.amdhsa_exception_fp_ieee_overflow 0
		.amdhsa_exception_fp_ieee_underflow 0
		.amdhsa_exception_fp_ieee_inexact 0
		.amdhsa_exception_int_div_zero 0
	.end_amdhsa_kernel
	.section	.text._ZN9rocsparseL51csrgemm_numeric_fill_block_per_row_multipass_kernelILj512ELj16ELj2048ELj64EiidEEvT4_PKS1_S3_NS_24const_host_device_scalarIT5_EEPKT3_S3_PKS5_S9_S3_SB_S6_S9_S3_SB_S9_S3_PS5_PS7_21rocsparse_index_base_SE_SE_SE_bbb,"axG",@progbits,_ZN9rocsparseL51csrgemm_numeric_fill_block_per_row_multipass_kernelILj512ELj16ELj2048ELj64EiidEEvT4_PKS1_S3_NS_24const_host_device_scalarIT5_EEPKT3_S3_PKS5_S9_S3_SB_S6_S9_S3_SB_S9_S3_PS5_PS7_21rocsparse_index_base_SE_SE_SE_bbb,comdat
.Lfunc_end39:
	.size	_ZN9rocsparseL51csrgemm_numeric_fill_block_per_row_multipass_kernelILj512ELj16ELj2048ELj64EiidEEvT4_PKS1_S3_NS_24const_host_device_scalarIT5_EEPKT3_S3_PKS5_S9_S3_SB_S6_S9_S3_SB_S9_S3_PS5_PS7_21rocsparse_index_base_SE_SE_SE_bbb, .Lfunc_end39-_ZN9rocsparseL51csrgemm_numeric_fill_block_per_row_multipass_kernelILj512ELj16ELj2048ELj64EiidEEvT4_PKS1_S3_NS_24const_host_device_scalarIT5_EEPKT3_S3_PKS5_S9_S3_SB_S6_S9_S3_SB_S9_S3_PS5_PS7_21rocsparse_index_base_SE_SE_SE_bbb
                                        ; -- End function
	.section	.AMDGPU.csdata,"",@progbits
; Kernel info:
; codeLenInByte = 2776
; NumSgprs: 53
; NumVgprs: 38
; ScratchSize: 0
; MemoryBound: 0
; FloatMode: 240
; IeeeMode: 1
; LDSByteSize: 18440 bytes/workgroup (compile time only)
; SGPRBlocks: 6
; VGPRBlocks: 4
; NumSGPRsForWavesPerEU: 53
; NumVGPRsForWavesPerEU: 38
; Occupancy: 16
; WaveLimiterHint : 1
; COMPUTE_PGM_RSRC2:SCRATCH_EN: 0
; COMPUTE_PGM_RSRC2:USER_SGPR: 15
; COMPUTE_PGM_RSRC2:TRAP_HANDLER: 0
; COMPUTE_PGM_RSRC2:TGID_X_EN: 1
; COMPUTE_PGM_RSRC2:TGID_Y_EN: 0
; COMPUTE_PGM_RSRC2:TGID_Z_EN: 0
; COMPUTE_PGM_RSRC2:TIDIG_COMP_CNT: 0
	.section	.text._ZN9rocsparseL38csrgemm_numeric_fill_wf_per_row_kernelILj256ELj8ELj16ELj137Eii21rocsparse_complex_numIfEEEvT4_S3_PKS3_S5_NS_24const_host_device_scalarIT5_EEPKT3_S5_PKS7_SB_S5_SD_S8_SB_S5_SD_SB_S5_PS7_21rocsparse_index_base_SF_SF_SF_bbb,"axG",@progbits,_ZN9rocsparseL38csrgemm_numeric_fill_wf_per_row_kernelILj256ELj8ELj16ELj137Eii21rocsparse_complex_numIfEEEvT4_S3_PKS3_S5_NS_24const_host_device_scalarIT5_EEPKT3_S5_PKS7_SB_S5_SD_S8_SB_S5_SD_SB_S5_PS7_21rocsparse_index_base_SF_SF_SF_bbb,comdat
	.globl	_ZN9rocsparseL38csrgemm_numeric_fill_wf_per_row_kernelILj256ELj8ELj16ELj137Eii21rocsparse_complex_numIfEEEvT4_S3_PKS3_S5_NS_24const_host_device_scalarIT5_EEPKT3_S5_PKS7_SB_S5_SD_S8_SB_S5_SD_SB_S5_PS7_21rocsparse_index_base_SF_SF_SF_bbb ; -- Begin function _ZN9rocsparseL38csrgemm_numeric_fill_wf_per_row_kernelILj256ELj8ELj16ELj137Eii21rocsparse_complex_numIfEEEvT4_S3_PKS3_S5_NS_24const_host_device_scalarIT5_EEPKT3_S5_PKS7_SB_S5_SD_S8_SB_S5_SD_SB_S5_PS7_21rocsparse_index_base_SF_SF_SF_bbb
	.p2align	8
	.type	_ZN9rocsparseL38csrgemm_numeric_fill_wf_per_row_kernelILj256ELj8ELj16ELj137Eii21rocsparse_complex_numIfEEEvT4_S3_PKS3_S5_NS_24const_host_device_scalarIT5_EEPKT3_S5_PKS7_SB_S5_SD_S8_SB_S5_SD_SB_S5_PS7_21rocsparse_index_base_SF_SF_SF_bbb,@function
_ZN9rocsparseL38csrgemm_numeric_fill_wf_per_row_kernelILj256ELj8ELj16ELj137Eii21rocsparse_complex_numIfEEEvT4_S3_PKS3_S5_NS_24const_host_device_scalarIT5_EEPKT3_S5_PKS7_SB_S5_SD_S8_SB_S5_SD_SB_S5_PS7_21rocsparse_index_base_SF_SF_SF_bbb: ; @_ZN9rocsparseL38csrgemm_numeric_fill_wf_per_row_kernelILj256ELj8ELj16ELj137Eii21rocsparse_complex_numIfEEEvT4_S3_PKS3_S5_NS_24const_host_device_scalarIT5_EEPKT3_S5_PKS7_SB_S5_SD_S8_SB_S5_SD_SB_S5_PS7_21rocsparse_index_base_SF_SF_SF_bbb
; %bb.0:
	s_clause 0x7
	s_load_b32 s14, s[0:1], 0x98
	s_load_b64 s[12:13], s[0:1], 0x70
	s_load_b128 s[28:31], s[0:1], 0x60
	s_load_b256 s[4:11], s[0:1], 0x40
	s_load_b128 s[36:39], s[0:1], 0x8
	s_load_b256 s[16:23], s[0:1], 0x20
	s_load_b64 s[2:3], s[0:1], 0x80
	s_load_b128 s[24:27], s[0:1], 0x88
	s_mov_b32 s35, 0
	s_mov_b32 s40, 0
	s_waitcnt lgkmcnt(0)
	s_bitcmp1_b32 s14, 0
	s_cselect_b32 s41, -1, 0
	s_bitcmp1_b32 s14, 16
	s_cselect_b32 s33, -1, 0
	s_delay_alu instid0(SALU_CYCLE_1) | instskip(SKIP_2) | instid1(VALU_DEP_1)
	s_xor_b32 s33, s33, -1
	s_bitcmp0_b32 s14, 0
	v_cndmask_b32_e64 v1, 0, 1, s33
	v_cmp_ne_u32_e32 vcc_lo, 1, v1
	s_cbranch_scc1 .LBB40_5
; %bb.1:
	s_load_b64 s[34:35], s[0:1], 0x18
	s_and_b32 vcc_lo, exec_lo, vcc_lo
	s_waitcnt lgkmcnt(0)
	s_mov_b32 s40, s34
	s_cbranch_vccnz .LBB40_3
; %bb.2:
	s_load_b32 s40, s[34:35], 0x0
.LBB40_3:
	s_and_not1_b32 vcc_lo, exec_lo, s33
	s_cbranch_vccnz .LBB40_5
; %bb.4:
	s_load_b32 s35, s[34:35], 0x4
.LBB40_5:
	s_bitcmp1_b32 s14, 8
	s_mov_b32 s33, 0
	s_cselect_b32 s34, -1, 0
	s_bfe_u32 s14, s14, 0x10008
	s_delay_alu instid0(SALU_CYCLE_1)
	s_cmp_eq_u32 s14, 0
	s_mov_b32 s14, 0
	s_cbranch_scc1 .LBB40_11
; %bb.6:
	v_cmp_ne_u32_e32 vcc_lo, 1, v1
	s_mov_b32 s14, s8
	s_cbranch_vccnz .LBB40_8
; %bb.7:
	s_load_b32 s14, s[8:9], 0x0
.LBB40_8:
	v_cmp_ne_u32_e32 vcc_lo, 1, v1
	s_cbranch_vccnz .LBB40_10
; %bb.9:
	s_load_b32 s9, s[8:9], 0x4
.LBB40_10:
	s_waitcnt lgkmcnt(0)
	s_mov_b32 s33, s9
.LBB40_11:
	s_load_b64 s[0:1], s[0:1], 0x0
	v_and_b32_e32 v11, 7, v0
	v_lshrrev_b32_e32 v2, 3, v0
	v_mov_b32_e32 v0, 0
	s_mov_b32 s8, 0
	s_delay_alu instid0(VALU_DEP_3) | instskip(SKIP_2) | instid1(VALU_DEP_3)
	v_lshlrev_b32_e32 v4, 3, v11
	v_lshlrev_b32_e32 v3, 2, v11
	v_or_b32_e32 v8, -8, v11
	v_lshl_or_b32 v7, v2, 7, v4
	v_lshlrev_b32_e32 v1, 6, v2
	s_delay_alu instid0(VALU_DEP_2) | instskip(NEXT) | instid1(VALU_DEP_2)
	v_dual_mov_b32 v9, v8 :: v_dual_mov_b32 v4, v7
	v_or3_b32 v6, v1, v3, 0x1000
	v_mov_b32_e32 v1, v0
	s_waitcnt lgkmcnt(0)
	v_mov_b32_e32 v5, s1
	s_delay_alu instid0(VALU_DEP_3)
	v_mov_b32_e32 v3, v6
.LBB40_12:                              ; =>This Inner Loop Header: Depth=1
	v_add_co_u32 v9, s9, v9, 8
	s_delay_alu instid0(VALU_DEP_1)
	s_xor_b32 s9, s9, -1
	ds_store_b32 v3, v5
	ds_store_b64 v4, v[0:1]
	v_add_nc_u32_e32 v4, 64, v4
	v_add_nc_u32_e32 v3, 32, v3
	s_and_b32 s9, exec_lo, s9
	s_delay_alu instid0(SALU_CYCLE_1) | instskip(NEXT) | instid1(SALU_CYCLE_1)
	s_or_b32 s8, s9, s8
	s_and_not1_b32 exec_lo, exec_lo, s8
	s_cbranch_execnz .LBB40_12
; %bb.13:
	s_or_b32 exec_lo, exec_lo, s8
	s_lshl_b32 s8, s15, 5
	s_waitcnt lgkmcnt(0)
	buffer_gl0_inv
	v_and_or_b32 v0, 0x1fffffe0, s8, v2
	s_delay_alu instid0(VALU_DEP_1)
	v_cmp_gt_i32_e32 vcc_lo, s0, v0
	s_and_saveexec_b32 s0, vcc_lo
	s_cbranch_execz .LBB40_57
; %bb.14:
	s_cmp_eq_u64 s[38:39], 0
	s_cbranch_scc1 .LBB40_16
; %bb.15:
	s_load_b32 s0, s[36:37], 0x0
	s_waitcnt lgkmcnt(0)
	v_add_nc_u32_e32 v0, s0, v0
	s_delay_alu instid0(VALU_DEP_1) | instskip(NEXT) | instid1(VALU_DEP_1)
	v_ashrrev_i32_e32 v1, 31, v0
	v_lshlrev_b64 v[0:1], 2, v[0:1]
	s_delay_alu instid0(VALU_DEP_1) | instskip(NEXT) | instid1(VALU_DEP_2)
	v_add_co_u32 v0, vcc_lo, s38, v0
	v_add_co_ci_u32_e32 v1, vcc_lo, s39, v1, vcc_lo
	global_load_b32 v0, v[0:1], off
.LBB40_16:
	s_waitcnt vmcnt(0)
	v_ashrrev_i32_e32 v1, 31, v0
	v_lshl_or_b32 v9, v2, 6, 0x1000
	v_lshlrev_b32_e32 v10, 7, v2
	s_and_not1_b32 vcc_lo, exec_lo, s41
	s_delay_alu instid0(VALU_DEP_3)
	v_lshlrev_b64 v[0:1], 2, v[0:1]
	s_cbranch_vccnz .LBB40_36
; %bb.17:
	s_delay_alu instid0(VALU_DEP_1) | instskip(NEXT) | instid1(VALU_DEP_2)
	v_add_co_u32 v2, vcc_lo, s16, v0
	v_add_co_ci_u32_e32 v3, vcc_lo, s17, v1, vcc_lo
	v_subrev_nc_u32_e32 v4, s24, v11
	s_mov_b32 s0, exec_lo
	global_load_b64 v[2:3], v[2:3], off
	s_waitcnt vmcnt(0)
	v_subrev_nc_u32_e32 v12, s24, v3
	v_add_nc_u32_e32 v2, v2, v4
	s_delay_alu instid0(VALU_DEP_1)
	v_cmpx_lt_i32_e64 v2, v12
	s_cbranch_execz .LBB40_35
; %bb.18:
	s_mov_b32 s8, 0
	s_branch .LBB40_20
.LBB40_19:                              ;   in Loop: Header=BB40_20 Depth=1
	s_or_b32 exec_lo, exec_lo, s9
	v_add_nc_u32_e32 v2, 8, v2
	s_delay_alu instid0(VALU_DEP_1) | instskip(SKIP_1) | instid1(SALU_CYCLE_1)
	v_cmp_ge_i32_e32 vcc_lo, v2, v12
	s_or_b32 s8, vcc_lo, s8
	s_and_not1_b32 exec_lo, exec_lo, s8
	s_cbranch_execz .LBB40_35
.LBB40_20:                              ; =>This Loop Header: Depth=1
                                        ;     Child Loop BB40_23 Depth 2
                                        ;       Child Loop BB40_25 Depth 3
	v_ashrrev_i32_e32 v3, 31, v2
	s_mov_b32 s9, exec_lo
	s_delay_alu instid0(VALU_DEP_1) | instskip(NEXT) | instid1(VALU_DEP_1)
	v_lshlrev_b64 v[4:5], 2, v[2:3]
	v_add_co_u32 v4, vcc_lo, s18, v4
	s_delay_alu instid0(VALU_DEP_2) | instskip(SKIP_3) | instid1(VALU_DEP_1)
	v_add_co_ci_u32_e32 v5, vcc_lo, s19, v5, vcc_lo
	global_load_b32 v4, v[4:5], off
	s_waitcnt vmcnt(0)
	v_subrev_nc_u32_e32 v4, s24, v4
	v_ashrrev_i32_e32 v5, 31, v4
	s_delay_alu instid0(VALU_DEP_1) | instskip(NEXT) | instid1(VALU_DEP_1)
	v_lshlrev_b64 v[4:5], 2, v[4:5]
	v_add_co_u32 v4, vcc_lo, s22, v4
	s_delay_alu instid0(VALU_DEP_2)
	v_add_co_ci_u32_e32 v5, vcc_lo, s23, v5, vcc_lo
	global_load_b64 v[4:5], v[4:5], off
	s_waitcnt vmcnt(0)
	v_cmpx_lt_i32_e64 v4, v5
	s_cbranch_execz .LBB40_19
; %bb.21:                               ;   in Loop: Header=BB40_20 Depth=1
	v_lshlrev_b64 v[13:14], 3, v[2:3]
	v_subrev_nc_u32_e32 v5, s25, v5
	v_subrev_nc_u32_e32 v3, s25, v4
	s_mov_b32 s15, 0
	s_delay_alu instid0(VALU_DEP_3) | instskip(NEXT) | instid1(VALU_DEP_4)
	v_add_co_u32 v13, vcc_lo, s20, v13
	v_add_co_ci_u32_e32 v14, vcc_lo, s21, v14, vcc_lo
	global_load_b64 v[15:16], v[13:14], off
	s_waitcnt vmcnt(0)
	v_mul_f32_e64 v13, v16, -s35
	s_delay_alu instid0(VALU_DEP_1) | instskip(NEXT) | instid1(VALU_DEP_1)
	v_dual_mul_f32 v14, s40, v16 :: v_dual_fmac_f32 v13, s40, v15
	v_fmac_f32_e32 v14, s35, v15
	s_branch .LBB40_23
.LBB40_22:                              ;   in Loop: Header=BB40_23 Depth=2
	s_or_b32 exec_lo, exec_lo, s16
	v_add_nc_u32_e32 v3, 1, v3
	s_delay_alu instid0(VALU_DEP_1) | instskip(SKIP_1) | instid1(SALU_CYCLE_1)
	v_cmp_ge_i32_e32 vcc_lo, v3, v5
	s_or_b32 s15, vcc_lo, s15
	s_and_not1_b32 exec_lo, exec_lo, s15
	s_cbranch_execz .LBB40_19
.LBB40_23:                              ;   Parent Loop BB40_20 Depth=1
                                        ; =>  This Loop Header: Depth=2
                                        ;       Child Loop BB40_25 Depth 3
	v_ashrrev_i32_e32 v4, 31, v3
	s_mov_b32 s16, 0
	s_delay_alu instid0(VALU_DEP_1) | instskip(SKIP_1) | instid1(VALU_DEP_2)
	v_lshlrev_b64 v[15:16], 2, v[3:4]
	v_lshlrev_b64 v[17:18], 3, v[3:4]
	v_add_co_u32 v15, vcc_lo, s4, v15
	s_delay_alu instid0(VALU_DEP_3) | instskip(NEXT) | instid1(VALU_DEP_3)
	v_add_co_ci_u32_e32 v16, vcc_lo, s5, v16, vcc_lo
	v_add_co_u32 v17, vcc_lo, s6, v17
	s_delay_alu instid0(VALU_DEP_4)
	v_add_co_ci_u32_e32 v18, vcc_lo, s7, v18, vcc_lo
	global_load_b32 v4, v[15:16], off
	global_load_b64 v[17:18], v[17:18], off
	s_waitcnt vmcnt(1)
	v_subrev_nc_u32_e32 v4, s25, v4
	s_waitcnt vmcnt(0)
	v_mul_f32_e64 v15, v18, -v14
	v_mul_f32_e32 v16, v13, v18
	s_delay_alu instid0(VALU_DEP_3) | instskip(NEXT) | instid1(VALU_DEP_3)
	v_lshl_add_u32 v18, v4, 3, v4
	v_fmac_f32_e32 v15, v13, v17
	s_delay_alu instid0(VALU_DEP_2)
	v_dual_fmac_f32 v16, v14, v17 :: v_dual_and_b32 v17, 15, v18
	s_branch .LBB40_25
.LBB40_24:                              ;   in Loop: Header=BB40_25 Depth=3
	s_or_b32 exec_lo, exec_lo, s17
	s_xor_b32 s17, s36, -1
	s_delay_alu instid0(SALU_CYCLE_1) | instskip(NEXT) | instid1(SALU_CYCLE_1)
	s_and_b32 s17, exec_lo, s17
	s_or_b32 s16, s17, s16
	s_delay_alu instid0(SALU_CYCLE_1)
	s_and_not1_b32 exec_lo, exec_lo, s16
	s_cbranch_execz .LBB40_22
.LBB40_25:                              ;   Parent Loop BB40_20 Depth=1
                                        ;     Parent Loop BB40_23 Depth=2
                                        ; =>    This Inner Loop Header: Depth=3
	s_delay_alu instid0(VALU_DEP_1)
	v_lshl_add_u32 v18, v17, 2, v9
	s_mov_b32 s17, exec_lo
                                        ; implicit-def: $sgpr36
	ds_load_b32 v19, v18
	s_waitcnt lgkmcnt(0)
	v_cmpx_ne_u32_e64 v19, v4
	s_xor_b32 s17, exec_lo, s17
	s_cbranch_execz .LBB40_33
; %bb.26:                               ;   in Loop: Header=BB40_25 Depth=3
	s_mov_b32 s37, exec_lo
                                        ; implicit-def: $sgpr36
	v_cmpx_ne_u32_e64 s1, v19
	s_xor_b32 s37, exec_lo, s37
; %bb.27:                               ;   in Loop: Header=BB40_25 Depth=3
	v_add_nc_u32_e32 v17, 1, v17
	s_mov_b32 s36, -1
                                        ; implicit-def: $vgpr18
	s_delay_alu instid0(VALU_DEP_1)
	v_and_b32_e32 v17, 15, v17
; %bb.28:                               ;   in Loop: Header=BB40_25 Depth=3
	s_and_not1_saveexec_b32 s37, s37
	s_cbranch_execz .LBB40_32
; %bb.29:                               ;   in Loop: Header=BB40_25 Depth=3
	v_mov_b32_e32 v19, s1
	s_mov_b32 s38, -1
	s_mov_b32 s39, exec_lo
	ds_cmpstore_rtn_b32 v18, v18, v4, v19
	s_waitcnt lgkmcnt(0)
	v_cmpx_eq_u32_e64 s1, v18
	s_cbranch_execz .LBB40_31
; %bb.30:                               ;   in Loop: Header=BB40_25 Depth=3
	v_lshl_add_u32 v18, v17, 3, v10
	s_xor_b32 s38, exec_lo, -1
	ds_add_f32 v18, v15
	ds_add_f32 v18, v16 offset:4
.LBB40_31:                              ;   in Loop: Header=BB40_25 Depth=3
	s_or_b32 exec_lo, exec_lo, s39
	s_delay_alu instid0(SALU_CYCLE_1) | instskip(SKIP_1) | instid1(SALU_CYCLE_1)
	s_and_not1_b32 s36, s36, exec_lo
	s_and_b32 s38, s38, exec_lo
	s_or_b32 s36, s36, s38
.LBB40_32:                              ;   in Loop: Header=BB40_25 Depth=3
	s_or_b32 exec_lo, exec_lo, s37
	s_delay_alu instid0(SALU_CYCLE_1)
	s_and_b32 s36, s36, exec_lo
.LBB40_33:                              ;   in Loop: Header=BB40_25 Depth=3
	s_and_not1_saveexec_b32 s17, s17
	s_cbranch_execz .LBB40_24
; %bb.34:                               ;   in Loop: Header=BB40_25 Depth=3
	v_lshl_add_u32 v18, v17, 3, v10
	s_and_not1_b32 s36, s36, exec_lo
	ds_add_f32 v18, v15
	ds_add_f32 v18, v16 offset:4
	s_branch .LBB40_24
.LBB40_35:
	s_or_b32 exec_lo, exec_lo, s0
.LBB40_36:
	s_delay_alu instid0(SALU_CYCLE_1)
	s_and_not1_b32 vcc_lo, exec_lo, s34
	s_cbranch_vccnz .LBB40_53
; %bb.37:
	s_delay_alu instid0(VALU_DEP_1) | instskip(NEXT) | instid1(VALU_DEP_2)
	v_add_co_u32 v2, vcc_lo, s10, v0
	v_add_co_ci_u32_e32 v3, vcc_lo, s11, v1, vcc_lo
	v_subrev_nc_u32_e32 v5, s27, v11
	s_mov_b32 s0, exec_lo
	global_load_b64 v[2:3], v[2:3], off
	s_waitcnt vmcnt(0)
	v_subrev_nc_u32_e32 v4, s27, v3
	v_add_nc_u32_e32 v2, v2, v5
	s_delay_alu instid0(VALU_DEP_1)
	v_cmpx_lt_i32_e64 v2, v4
	s_cbranch_execz .LBB40_52
; %bb.38:
	s_mov_b32 s4, 0
	s_branch .LBB40_40
.LBB40_39:                              ;   in Loop: Header=BB40_40 Depth=1
	s_or_b32 exec_lo, exec_lo, s5
	v_add_nc_u32_e32 v2, 8, v2
	s_delay_alu instid0(VALU_DEP_1) | instskip(SKIP_1) | instid1(SALU_CYCLE_1)
	v_cmp_ge_i32_e32 vcc_lo, v2, v4
	s_or_b32 s4, vcc_lo, s4
	s_and_not1_b32 exec_lo, exec_lo, s4
	s_cbranch_execz .LBB40_52
.LBB40_40:                              ; =>This Loop Header: Depth=1
                                        ;     Child Loop BB40_42 Depth 2
	v_ashrrev_i32_e32 v3, 31, v2
	s_mov_b32 s5, 0
	s_delay_alu instid0(VALU_DEP_1) | instskip(SKIP_1) | instid1(VALU_DEP_2)
	v_lshlrev_b64 v[11:12], 2, v[2:3]
	v_lshlrev_b64 v[13:14], 3, v[2:3]
	v_add_co_u32 v11, vcc_lo, s28, v11
	s_delay_alu instid0(VALU_DEP_3) | instskip(NEXT) | instid1(VALU_DEP_3)
	v_add_co_ci_u32_e32 v12, vcc_lo, s29, v12, vcc_lo
	v_add_co_u32 v13, vcc_lo, s30, v13
	s_delay_alu instid0(VALU_DEP_4)
	v_add_co_ci_u32_e32 v14, vcc_lo, s31, v14, vcc_lo
	global_load_b32 v3, v[11:12], off
	global_load_b64 v[12:13], v[13:14], off
	s_waitcnt vmcnt(1)
	v_subrev_nc_u32_e32 v3, s27, v3
	s_waitcnt vmcnt(0)
	v_mul_f32_e64 v5, v13, -s33
	v_mul_f32_e32 v11, s14, v13
	s_delay_alu instid0(VALU_DEP_3) | instskip(NEXT) | instid1(VALU_DEP_3)
	v_lshl_add_u32 v13, v3, 3, v3
	v_fmac_f32_e32 v5, s14, v12
	s_delay_alu instid0(VALU_DEP_2)
	v_dual_fmac_f32 v11, s33, v12 :: v_dual_and_b32 v12, 15, v13
	s_branch .LBB40_42
.LBB40_41:                              ;   in Loop: Header=BB40_42 Depth=2
	s_or_b32 exec_lo, exec_lo, s6
	s_xor_b32 s6, s7, -1
	s_delay_alu instid0(SALU_CYCLE_1) | instskip(NEXT) | instid1(SALU_CYCLE_1)
	s_and_b32 s6, exec_lo, s6
	s_or_b32 s5, s6, s5
	s_delay_alu instid0(SALU_CYCLE_1)
	s_and_not1_b32 exec_lo, exec_lo, s5
	s_cbranch_execz .LBB40_39
.LBB40_42:                              ;   Parent Loop BB40_40 Depth=1
                                        ; =>  This Inner Loop Header: Depth=2
	s_delay_alu instid0(VALU_DEP_1)
	v_lshl_add_u32 v13, v12, 2, v9
	s_mov_b32 s6, exec_lo
                                        ; implicit-def: $sgpr7
	ds_load_b32 v14, v13
	s_waitcnt lgkmcnt(0)
	v_cmpx_ne_u32_e64 v14, v3
	s_xor_b32 s6, exec_lo, s6
	s_cbranch_execz .LBB40_50
; %bb.43:                               ;   in Loop: Header=BB40_42 Depth=2
	s_mov_b32 s8, exec_lo
                                        ; implicit-def: $sgpr7
	v_cmpx_ne_u32_e64 s1, v14
	s_xor_b32 s8, exec_lo, s8
; %bb.44:                               ;   in Loop: Header=BB40_42 Depth=2
	v_add_nc_u32_e32 v12, 1, v12
	s_mov_b32 s7, -1
                                        ; implicit-def: $vgpr13
	s_delay_alu instid0(VALU_DEP_1)
	v_and_b32_e32 v12, 15, v12
; %bb.45:                               ;   in Loop: Header=BB40_42 Depth=2
	s_and_not1_saveexec_b32 s8, s8
	s_cbranch_execz .LBB40_49
; %bb.46:                               ;   in Loop: Header=BB40_42 Depth=2
	v_mov_b32_e32 v14, s1
	s_mov_b32 s9, -1
	s_mov_b32 s10, exec_lo
	ds_cmpstore_rtn_b32 v13, v13, v3, v14
	s_waitcnt lgkmcnt(0)
	v_cmpx_eq_u32_e64 s1, v13
	s_cbranch_execz .LBB40_48
; %bb.47:                               ;   in Loop: Header=BB40_42 Depth=2
	v_lshl_add_u32 v13, v12, 3, v10
	s_xor_b32 s9, exec_lo, -1
	ds_add_f32 v13, v5
	ds_add_f32 v13, v11 offset:4
.LBB40_48:                              ;   in Loop: Header=BB40_42 Depth=2
	s_or_b32 exec_lo, exec_lo, s10
	s_delay_alu instid0(SALU_CYCLE_1) | instskip(SKIP_1) | instid1(SALU_CYCLE_1)
	s_and_not1_b32 s7, s7, exec_lo
	s_and_b32 s9, s9, exec_lo
	s_or_b32 s7, s7, s9
.LBB40_49:                              ;   in Loop: Header=BB40_42 Depth=2
	s_or_b32 exec_lo, exec_lo, s8
	s_delay_alu instid0(SALU_CYCLE_1)
	s_and_b32 s7, s7, exec_lo
.LBB40_50:                              ;   in Loop: Header=BB40_42 Depth=2
	s_and_not1_saveexec_b32 s6, s6
	s_cbranch_execz .LBB40_41
; %bb.51:                               ;   in Loop: Header=BB40_42 Depth=2
	v_lshl_add_u32 v13, v12, 3, v10
	s_and_not1_b32 s7, s7, exec_lo
	ds_add_f32 v13, v5
	ds_add_f32 v13, v11 offset:4
	s_branch .LBB40_41
.LBB40_52:
	s_or_b32 exec_lo, exec_lo, s0
.LBB40_53:
	s_delay_alu instid0(VALU_DEP_1) | instskip(NEXT) | instid1(VALU_DEP_2)
	v_add_co_u32 v0, vcc_lo, s12, v0
	v_add_co_ci_u32_e32 v1, vcc_lo, s13, v1, vcc_lo
	s_waitcnt lgkmcnt(0)
	buffer_gl0_inv
	s_mov_b32 s0, 0
	global_load_b32 v0, v[0:1], off
	s_waitcnt vmcnt(0)
	v_subrev_nc_u32_e32 v0, s26, v0
	s_branch .LBB40_55
.LBB40_54:                              ;   in Loop: Header=BB40_55 Depth=1
	s_or_b32 exec_lo, exec_lo, s4
	v_add_co_u32 v8, s4, v8, 8
	s_delay_alu instid0(VALU_DEP_1) | instskip(SKIP_3) | instid1(SALU_CYCLE_1)
	s_xor_b32 s4, s4, -1
	v_add_nc_u32_e32 v7, 64, v7
	v_add_nc_u32_e32 v6, 32, v6
	s_and_b32 s4, exec_lo, s4
	s_or_b32 s0, s4, s0
	s_delay_alu instid0(SALU_CYCLE_1)
	s_and_not1_b32 exec_lo, exec_lo, s0
	s_cbranch_execz .LBB40_57
.LBB40_55:                              ; =>This Inner Loop Header: Depth=1
	ds_load_b32 v1, v6
	s_mov_b32 s4, exec_lo
	s_waitcnt lgkmcnt(0)
	v_cmpx_gt_i32_e64 s1, v1
	s_cbranch_execz .LBB40_54
; %bb.56:                               ;   in Loop: Header=BB40_55 Depth=1
	ds_load_b128 v[2:5], v9
	ds_load_b128 v[10:13], v9 offset:16
	ds_load_b128 v[14:17], v9 offset:32
	;; [unrolled: 1-line block ×3, first 2 shown]
	s_waitcnt lgkmcnt(3)
	v_cmp_gt_i32_e32 vcc_lo, v1, v2
	v_cndmask_b32_e64 v2, 0, 1, vcc_lo
	v_cmp_gt_i32_e32 vcc_lo, v1, v4
	v_cndmask_b32_e64 v4, 0, 1, vcc_lo
	v_cmp_gt_i32_e32 vcc_lo, v1, v3
	s_delay_alu instid0(VALU_DEP_4)
	v_add_co_ci_u32_e32 v2, vcc_lo, v0, v2, vcc_lo
	s_waitcnt lgkmcnt(2)
	v_cmp_gt_i32_e32 vcc_lo, v1, v10
	v_cndmask_b32_e64 v3, 0, 1, vcc_lo
	v_cmp_gt_i32_e32 vcc_lo, v1, v5
	v_add_co_ci_u32_e32 v2, vcc_lo, v2, v4, vcc_lo
	v_cmp_gt_i32_e32 vcc_lo, v1, v12
	v_cndmask_b32_e64 v4, 0, 1, vcc_lo
	v_cmp_gt_i32_e32 vcc_lo, v1, v11
	s_delay_alu instid0(VALU_DEP_4)
	v_add_co_ci_u32_e32 v2, vcc_lo, v2, v3, vcc_lo
	s_waitcnt lgkmcnt(1)
	v_cmp_gt_i32_e32 vcc_lo, v1, v14
	v_cndmask_b32_e64 v3, 0, 1, vcc_lo
	v_cmp_gt_i32_e32 vcc_lo, v1, v13
	v_add_co_ci_u32_e32 v2, vcc_lo, v2, v4, vcc_lo
	;; [unrolled: 10-line block ×3, first 2 shown]
	v_cmp_gt_i32_e32 vcc_lo, v1, v20
	v_cndmask_b32_e64 v4, 0, 1, vcc_lo
	v_cmp_gt_i32_e32 vcc_lo, v1, v19
	s_delay_alu instid0(VALU_DEP_4) | instskip(SKIP_1) | instid1(VALU_DEP_2)
	v_add_co_ci_u32_e32 v2, vcc_lo, v2, v3, vcc_lo
	v_cmp_gt_i32_e32 vcc_lo, v1, v21
	v_add_co_ci_u32_e32 v1, vcc_lo, v2, v4, vcc_lo
	ds_load_b64 v[3:4], v7
	v_ashrrev_i32_e32 v2, 31, v1
	s_delay_alu instid0(VALU_DEP_1) | instskip(NEXT) | instid1(VALU_DEP_1)
	v_lshlrev_b64 v[1:2], 3, v[1:2]
	v_add_co_u32 v1, vcc_lo, s2, v1
	s_delay_alu instid0(VALU_DEP_2)
	v_add_co_ci_u32_e32 v2, vcc_lo, s3, v2, vcc_lo
	s_waitcnt lgkmcnt(0)
	global_store_b64 v[1:2], v[3:4], off
	s_branch .LBB40_54
.LBB40_57:
	s_nop 0
	s_sendmsg sendmsg(MSG_DEALLOC_VGPRS)
	s_endpgm
	.section	.rodata,"a",@progbits
	.p2align	6, 0x0
	.amdhsa_kernel _ZN9rocsparseL38csrgemm_numeric_fill_wf_per_row_kernelILj256ELj8ELj16ELj137Eii21rocsparse_complex_numIfEEEvT4_S3_PKS3_S5_NS_24const_host_device_scalarIT5_EEPKT3_S5_PKS7_SB_S5_SD_S8_SB_S5_SD_SB_S5_PS7_21rocsparse_index_base_SF_SF_SF_bbb
		.amdhsa_group_segment_fixed_size 6144
		.amdhsa_private_segment_fixed_size 0
		.amdhsa_kernarg_size 156
		.amdhsa_user_sgpr_count 15
		.amdhsa_user_sgpr_dispatch_ptr 0
		.amdhsa_user_sgpr_queue_ptr 0
		.amdhsa_user_sgpr_kernarg_segment_ptr 1
		.amdhsa_user_sgpr_dispatch_id 0
		.amdhsa_user_sgpr_private_segment_size 0
		.amdhsa_wavefront_size32 1
		.amdhsa_uses_dynamic_stack 0
		.amdhsa_enable_private_segment 0
		.amdhsa_system_sgpr_workgroup_id_x 1
		.amdhsa_system_sgpr_workgroup_id_y 0
		.amdhsa_system_sgpr_workgroup_id_z 0
		.amdhsa_system_sgpr_workgroup_info 0
		.amdhsa_system_vgpr_workitem_id 0
		.amdhsa_next_free_vgpr 22
		.amdhsa_next_free_sgpr 42
		.amdhsa_reserve_vcc 1
		.amdhsa_float_round_mode_32 0
		.amdhsa_float_round_mode_16_64 0
		.amdhsa_float_denorm_mode_32 3
		.amdhsa_float_denorm_mode_16_64 3
		.amdhsa_dx10_clamp 1
		.amdhsa_ieee_mode 1
		.amdhsa_fp16_overflow 0
		.amdhsa_workgroup_processor_mode 1
		.amdhsa_memory_ordered 1
		.amdhsa_forward_progress 0
		.amdhsa_shared_vgpr_count 0
		.amdhsa_exception_fp_ieee_invalid_op 0
		.amdhsa_exception_fp_denorm_src 0
		.amdhsa_exception_fp_ieee_div_zero 0
		.amdhsa_exception_fp_ieee_overflow 0
		.amdhsa_exception_fp_ieee_underflow 0
		.amdhsa_exception_fp_ieee_inexact 0
		.amdhsa_exception_int_div_zero 0
	.end_amdhsa_kernel
	.section	.text._ZN9rocsparseL38csrgemm_numeric_fill_wf_per_row_kernelILj256ELj8ELj16ELj137Eii21rocsparse_complex_numIfEEEvT4_S3_PKS3_S5_NS_24const_host_device_scalarIT5_EEPKT3_S5_PKS7_SB_S5_SD_S8_SB_S5_SD_SB_S5_PS7_21rocsparse_index_base_SF_SF_SF_bbb,"axG",@progbits,_ZN9rocsparseL38csrgemm_numeric_fill_wf_per_row_kernelILj256ELj8ELj16ELj137Eii21rocsparse_complex_numIfEEEvT4_S3_PKS3_S5_NS_24const_host_device_scalarIT5_EEPKT3_S5_PKS7_SB_S5_SD_S8_SB_S5_SD_SB_S5_PS7_21rocsparse_index_base_SF_SF_SF_bbb,comdat
.Lfunc_end40:
	.size	_ZN9rocsparseL38csrgemm_numeric_fill_wf_per_row_kernelILj256ELj8ELj16ELj137Eii21rocsparse_complex_numIfEEEvT4_S3_PKS3_S5_NS_24const_host_device_scalarIT5_EEPKT3_S5_PKS7_SB_S5_SD_S8_SB_S5_SD_SB_S5_PS7_21rocsparse_index_base_SF_SF_SF_bbb, .Lfunc_end40-_ZN9rocsparseL38csrgemm_numeric_fill_wf_per_row_kernelILj256ELj8ELj16ELj137Eii21rocsparse_complex_numIfEEEvT4_S3_PKS3_S5_NS_24const_host_device_scalarIT5_EEPKT3_S5_PKS7_SB_S5_SD_S8_SB_S5_SD_SB_S5_PS7_21rocsparse_index_base_SF_SF_SF_bbb
                                        ; -- End function
	.section	.AMDGPU.csdata,"",@progbits
; Kernel info:
; codeLenInByte = 2176
; NumSgprs: 44
; NumVgprs: 22
; ScratchSize: 0
; MemoryBound: 0
; FloatMode: 240
; IeeeMode: 1
; LDSByteSize: 6144 bytes/workgroup (compile time only)
; SGPRBlocks: 5
; VGPRBlocks: 2
; NumSGPRsForWavesPerEU: 44
; NumVGPRsForWavesPerEU: 22
; Occupancy: 16
; WaveLimiterHint : 1
; COMPUTE_PGM_RSRC2:SCRATCH_EN: 0
; COMPUTE_PGM_RSRC2:USER_SGPR: 15
; COMPUTE_PGM_RSRC2:TRAP_HANDLER: 0
; COMPUTE_PGM_RSRC2:TGID_X_EN: 1
; COMPUTE_PGM_RSRC2:TGID_Y_EN: 0
; COMPUTE_PGM_RSRC2:TGID_Z_EN: 0
; COMPUTE_PGM_RSRC2:TIDIG_COMP_CNT: 0
	.section	.text._ZN9rocsparseL38csrgemm_numeric_fill_wf_per_row_kernelILj256ELj16ELj32ELj137Eii21rocsparse_complex_numIfEEEvT4_S3_PKS3_S5_NS_24const_host_device_scalarIT5_EEPKT3_S5_PKS7_SB_S5_SD_S8_SB_S5_SD_SB_S5_PS7_21rocsparse_index_base_SF_SF_SF_bbb,"axG",@progbits,_ZN9rocsparseL38csrgemm_numeric_fill_wf_per_row_kernelILj256ELj16ELj32ELj137Eii21rocsparse_complex_numIfEEEvT4_S3_PKS3_S5_NS_24const_host_device_scalarIT5_EEPKT3_S5_PKS7_SB_S5_SD_S8_SB_S5_SD_SB_S5_PS7_21rocsparse_index_base_SF_SF_SF_bbb,comdat
	.globl	_ZN9rocsparseL38csrgemm_numeric_fill_wf_per_row_kernelILj256ELj16ELj32ELj137Eii21rocsparse_complex_numIfEEEvT4_S3_PKS3_S5_NS_24const_host_device_scalarIT5_EEPKT3_S5_PKS7_SB_S5_SD_S8_SB_S5_SD_SB_S5_PS7_21rocsparse_index_base_SF_SF_SF_bbb ; -- Begin function _ZN9rocsparseL38csrgemm_numeric_fill_wf_per_row_kernelILj256ELj16ELj32ELj137Eii21rocsparse_complex_numIfEEEvT4_S3_PKS3_S5_NS_24const_host_device_scalarIT5_EEPKT3_S5_PKS7_SB_S5_SD_S8_SB_S5_SD_SB_S5_PS7_21rocsparse_index_base_SF_SF_SF_bbb
	.p2align	8
	.type	_ZN9rocsparseL38csrgemm_numeric_fill_wf_per_row_kernelILj256ELj16ELj32ELj137Eii21rocsparse_complex_numIfEEEvT4_S3_PKS3_S5_NS_24const_host_device_scalarIT5_EEPKT3_S5_PKS7_SB_S5_SD_S8_SB_S5_SD_SB_S5_PS7_21rocsparse_index_base_SF_SF_SF_bbb,@function
_ZN9rocsparseL38csrgemm_numeric_fill_wf_per_row_kernelILj256ELj16ELj32ELj137Eii21rocsparse_complex_numIfEEEvT4_S3_PKS3_S5_NS_24const_host_device_scalarIT5_EEPKT3_S5_PKS7_SB_S5_SD_S8_SB_S5_SD_SB_S5_PS7_21rocsparse_index_base_SF_SF_SF_bbb: ; @_ZN9rocsparseL38csrgemm_numeric_fill_wf_per_row_kernelILj256ELj16ELj32ELj137Eii21rocsparse_complex_numIfEEEvT4_S3_PKS3_S5_NS_24const_host_device_scalarIT5_EEPKT3_S5_PKS7_SB_S5_SD_S8_SB_S5_SD_SB_S5_PS7_21rocsparse_index_base_SF_SF_SF_bbb
; %bb.0:
	s_clause 0x7
	s_load_b32 s14, s[0:1], 0x98
	s_load_b64 s[12:13], s[0:1], 0x70
	s_load_b128 s[28:31], s[0:1], 0x60
	s_load_b256 s[4:11], s[0:1], 0x40
	s_load_b128 s[36:39], s[0:1], 0x8
	s_load_b256 s[16:23], s[0:1], 0x20
	s_load_b64 s[2:3], s[0:1], 0x80
	s_load_b128 s[24:27], s[0:1], 0x88
	s_mov_b32 s35, 0
	s_mov_b32 s40, 0
	s_waitcnt lgkmcnt(0)
	s_bitcmp1_b32 s14, 0
	s_cselect_b32 s41, -1, 0
	s_bitcmp1_b32 s14, 16
	s_cselect_b32 s33, -1, 0
	s_delay_alu instid0(SALU_CYCLE_1) | instskip(SKIP_2) | instid1(VALU_DEP_1)
	s_xor_b32 s33, s33, -1
	s_bitcmp0_b32 s14, 0
	v_cndmask_b32_e64 v1, 0, 1, s33
	v_cmp_ne_u32_e32 vcc_lo, 1, v1
	s_cbranch_scc1 .LBB41_5
; %bb.1:
	s_load_b64 s[34:35], s[0:1], 0x18
	s_and_b32 vcc_lo, exec_lo, vcc_lo
	s_waitcnt lgkmcnt(0)
	s_mov_b32 s40, s34
	s_cbranch_vccnz .LBB41_3
; %bb.2:
	s_load_b32 s40, s[34:35], 0x0
.LBB41_3:
	s_and_not1_b32 vcc_lo, exec_lo, s33
	s_cbranch_vccnz .LBB41_5
; %bb.4:
	s_load_b32 s35, s[34:35], 0x4
.LBB41_5:
	s_bitcmp1_b32 s14, 8
	s_mov_b32 s33, 0
	s_cselect_b32 s34, -1, 0
	s_bfe_u32 s14, s14, 0x10008
	s_delay_alu instid0(SALU_CYCLE_1)
	s_cmp_eq_u32 s14, 0
	s_mov_b32 s14, 0
	s_cbranch_scc1 .LBB41_11
; %bb.6:
	v_cmp_ne_u32_e32 vcc_lo, 1, v1
	s_mov_b32 s14, s8
	s_cbranch_vccnz .LBB41_8
; %bb.7:
	s_load_b32 s14, s[8:9], 0x0
.LBB41_8:
	v_cmp_ne_u32_e32 vcc_lo, 1, v1
	s_cbranch_vccnz .LBB41_10
; %bb.9:
	s_load_b32 s9, s[8:9], 0x4
.LBB41_10:
	s_waitcnt lgkmcnt(0)
	s_mov_b32 s33, s9
.LBB41_11:
	s_load_b64 s[0:1], s[0:1], 0x0
	v_and_b32_e32 v11, 15, v0
	v_lshrrev_b32_e32 v2, 4, v0
	v_mov_b32_e32 v0, 0
	s_mov_b32 s8, 0
	s_delay_alu instid0(VALU_DEP_3) | instskip(SKIP_2) | instid1(VALU_DEP_3)
	v_lshlrev_b32_e32 v4, 3, v11
	v_lshlrev_b32_e32 v3, 2, v11
	v_or_b32_e32 v8, -16, v11
	v_lshl_or_b32 v7, v2, 8, v4
	v_lshlrev_b32_e32 v1, 7, v2
	s_delay_alu instid0(VALU_DEP_2) | instskip(NEXT) | instid1(VALU_DEP_2)
	v_dual_mov_b32 v9, v8 :: v_dual_mov_b32 v4, v7
	v_or3_b32 v6, v1, v3, 0x1000
	v_mov_b32_e32 v1, v0
	s_waitcnt lgkmcnt(0)
	v_mov_b32_e32 v5, s1
	s_delay_alu instid0(VALU_DEP_3)
	v_mov_b32_e32 v3, v6
.LBB41_12:                              ; =>This Inner Loop Header: Depth=1
	v_add_co_u32 v9, s9, v9, 16
	s_delay_alu instid0(VALU_DEP_1)
	s_xor_b32 s9, s9, -1
	ds_store_b32 v3, v5
	ds_store_b64 v4, v[0:1]
	v_add_nc_u32_e32 v4, 0x80, v4
	v_add_nc_u32_e32 v3, 64, v3
	s_and_b32 s9, exec_lo, s9
	s_delay_alu instid0(SALU_CYCLE_1) | instskip(NEXT) | instid1(SALU_CYCLE_1)
	s_or_b32 s8, s9, s8
	s_and_not1_b32 exec_lo, exec_lo, s8
	s_cbranch_execnz .LBB41_12
; %bb.13:
	s_or_b32 exec_lo, exec_lo, s8
	s_lshl_b32 s8, s15, 4
	s_waitcnt lgkmcnt(0)
	buffer_gl0_inv
	v_and_or_b32 v0, 0xffffff0, s8, v2
	s_delay_alu instid0(VALU_DEP_1)
	v_cmp_gt_i32_e32 vcc_lo, s0, v0
	s_and_saveexec_b32 s0, vcc_lo
	s_cbranch_execz .LBB41_57
; %bb.14:
	s_cmp_eq_u64 s[38:39], 0
	s_cbranch_scc1 .LBB41_16
; %bb.15:
	s_load_b32 s0, s[36:37], 0x0
	s_waitcnt lgkmcnt(0)
	v_add_nc_u32_e32 v0, s0, v0
	s_delay_alu instid0(VALU_DEP_1) | instskip(NEXT) | instid1(VALU_DEP_1)
	v_ashrrev_i32_e32 v1, 31, v0
	v_lshlrev_b64 v[0:1], 2, v[0:1]
	s_delay_alu instid0(VALU_DEP_1) | instskip(NEXT) | instid1(VALU_DEP_2)
	v_add_co_u32 v0, vcc_lo, s38, v0
	v_add_co_ci_u32_e32 v1, vcc_lo, s39, v1, vcc_lo
	global_load_b32 v0, v[0:1], off
.LBB41_16:
	s_waitcnt vmcnt(0)
	v_ashrrev_i32_e32 v1, 31, v0
	v_lshl_or_b32 v9, v2, 7, 0x1000
	v_lshlrev_b32_e32 v10, 8, v2
	s_and_not1_b32 vcc_lo, exec_lo, s41
	s_delay_alu instid0(VALU_DEP_3)
	v_lshlrev_b64 v[0:1], 2, v[0:1]
	s_cbranch_vccnz .LBB41_36
; %bb.17:
	s_delay_alu instid0(VALU_DEP_1) | instskip(NEXT) | instid1(VALU_DEP_2)
	v_add_co_u32 v2, vcc_lo, s16, v0
	v_add_co_ci_u32_e32 v3, vcc_lo, s17, v1, vcc_lo
	v_subrev_nc_u32_e32 v4, s24, v11
	s_mov_b32 s0, exec_lo
	global_load_b64 v[2:3], v[2:3], off
	s_waitcnt vmcnt(0)
	v_subrev_nc_u32_e32 v12, s24, v3
	v_add_nc_u32_e32 v2, v2, v4
	s_delay_alu instid0(VALU_DEP_1)
	v_cmpx_lt_i32_e64 v2, v12
	s_cbranch_execz .LBB41_35
; %bb.18:
	s_mov_b32 s8, 0
	s_branch .LBB41_20
.LBB41_19:                              ;   in Loop: Header=BB41_20 Depth=1
	s_or_b32 exec_lo, exec_lo, s9
	v_add_nc_u32_e32 v2, 16, v2
	s_delay_alu instid0(VALU_DEP_1) | instskip(SKIP_1) | instid1(SALU_CYCLE_1)
	v_cmp_ge_i32_e32 vcc_lo, v2, v12
	s_or_b32 s8, vcc_lo, s8
	s_and_not1_b32 exec_lo, exec_lo, s8
	s_cbranch_execz .LBB41_35
.LBB41_20:                              ; =>This Loop Header: Depth=1
                                        ;     Child Loop BB41_23 Depth 2
                                        ;       Child Loop BB41_25 Depth 3
	v_ashrrev_i32_e32 v3, 31, v2
	s_mov_b32 s9, exec_lo
	s_delay_alu instid0(VALU_DEP_1) | instskip(NEXT) | instid1(VALU_DEP_1)
	v_lshlrev_b64 v[4:5], 2, v[2:3]
	v_add_co_u32 v4, vcc_lo, s18, v4
	s_delay_alu instid0(VALU_DEP_2) | instskip(SKIP_3) | instid1(VALU_DEP_1)
	v_add_co_ci_u32_e32 v5, vcc_lo, s19, v5, vcc_lo
	global_load_b32 v4, v[4:5], off
	s_waitcnt vmcnt(0)
	v_subrev_nc_u32_e32 v4, s24, v4
	v_ashrrev_i32_e32 v5, 31, v4
	s_delay_alu instid0(VALU_DEP_1) | instskip(NEXT) | instid1(VALU_DEP_1)
	v_lshlrev_b64 v[4:5], 2, v[4:5]
	v_add_co_u32 v4, vcc_lo, s22, v4
	s_delay_alu instid0(VALU_DEP_2)
	v_add_co_ci_u32_e32 v5, vcc_lo, s23, v5, vcc_lo
	global_load_b64 v[4:5], v[4:5], off
	s_waitcnt vmcnt(0)
	v_cmpx_lt_i32_e64 v4, v5
	s_cbranch_execz .LBB41_19
; %bb.21:                               ;   in Loop: Header=BB41_20 Depth=1
	v_lshlrev_b64 v[13:14], 3, v[2:3]
	v_subrev_nc_u32_e32 v5, s25, v5
	v_subrev_nc_u32_e32 v3, s25, v4
	s_mov_b32 s15, 0
	s_delay_alu instid0(VALU_DEP_3) | instskip(NEXT) | instid1(VALU_DEP_4)
	v_add_co_u32 v13, vcc_lo, s20, v13
	v_add_co_ci_u32_e32 v14, vcc_lo, s21, v14, vcc_lo
	global_load_b64 v[15:16], v[13:14], off
	s_waitcnt vmcnt(0)
	v_mul_f32_e64 v13, v16, -s35
	s_delay_alu instid0(VALU_DEP_1) | instskip(NEXT) | instid1(VALU_DEP_1)
	v_dual_mul_f32 v14, s40, v16 :: v_dual_fmac_f32 v13, s40, v15
	v_fmac_f32_e32 v14, s35, v15
	s_branch .LBB41_23
.LBB41_22:                              ;   in Loop: Header=BB41_23 Depth=2
	s_or_b32 exec_lo, exec_lo, s16
	v_add_nc_u32_e32 v3, 1, v3
	s_delay_alu instid0(VALU_DEP_1) | instskip(SKIP_1) | instid1(SALU_CYCLE_1)
	v_cmp_ge_i32_e32 vcc_lo, v3, v5
	s_or_b32 s15, vcc_lo, s15
	s_and_not1_b32 exec_lo, exec_lo, s15
	s_cbranch_execz .LBB41_19
.LBB41_23:                              ;   Parent Loop BB41_20 Depth=1
                                        ; =>  This Loop Header: Depth=2
                                        ;       Child Loop BB41_25 Depth 3
	v_ashrrev_i32_e32 v4, 31, v3
	s_mov_b32 s16, 0
	s_delay_alu instid0(VALU_DEP_1) | instskip(SKIP_1) | instid1(VALU_DEP_2)
	v_lshlrev_b64 v[15:16], 2, v[3:4]
	v_lshlrev_b64 v[17:18], 3, v[3:4]
	v_add_co_u32 v15, vcc_lo, s4, v15
	s_delay_alu instid0(VALU_DEP_3) | instskip(NEXT) | instid1(VALU_DEP_3)
	v_add_co_ci_u32_e32 v16, vcc_lo, s5, v16, vcc_lo
	v_add_co_u32 v17, vcc_lo, s6, v17
	s_delay_alu instid0(VALU_DEP_4)
	v_add_co_ci_u32_e32 v18, vcc_lo, s7, v18, vcc_lo
	global_load_b32 v4, v[15:16], off
	global_load_b64 v[17:18], v[17:18], off
	s_waitcnt vmcnt(1)
	v_subrev_nc_u32_e32 v4, s25, v4
	s_waitcnt vmcnt(0)
	v_mul_f32_e64 v15, v18, -v14
	v_mul_f32_e32 v16, v13, v18
	s_delay_alu instid0(VALU_DEP_3) | instskip(NEXT) | instid1(VALU_DEP_3)
	v_lshl_add_u32 v18, v4, 3, v4
	v_fmac_f32_e32 v15, v13, v17
	s_delay_alu instid0(VALU_DEP_2)
	v_dual_fmac_f32 v16, v14, v17 :: v_dual_and_b32 v17, 31, v18
	s_branch .LBB41_25
.LBB41_24:                              ;   in Loop: Header=BB41_25 Depth=3
	s_or_b32 exec_lo, exec_lo, s17
	s_xor_b32 s17, s36, -1
	s_delay_alu instid0(SALU_CYCLE_1) | instskip(NEXT) | instid1(SALU_CYCLE_1)
	s_and_b32 s17, exec_lo, s17
	s_or_b32 s16, s17, s16
	s_delay_alu instid0(SALU_CYCLE_1)
	s_and_not1_b32 exec_lo, exec_lo, s16
	s_cbranch_execz .LBB41_22
.LBB41_25:                              ;   Parent Loop BB41_20 Depth=1
                                        ;     Parent Loop BB41_23 Depth=2
                                        ; =>    This Inner Loop Header: Depth=3
	s_delay_alu instid0(VALU_DEP_1)
	v_lshl_add_u32 v18, v17, 2, v9
	s_mov_b32 s17, exec_lo
                                        ; implicit-def: $sgpr36
	ds_load_b32 v19, v18
	s_waitcnt lgkmcnt(0)
	v_cmpx_ne_u32_e64 v19, v4
	s_xor_b32 s17, exec_lo, s17
	s_cbranch_execz .LBB41_33
; %bb.26:                               ;   in Loop: Header=BB41_25 Depth=3
	s_mov_b32 s37, exec_lo
                                        ; implicit-def: $sgpr36
	v_cmpx_ne_u32_e64 s1, v19
	s_xor_b32 s37, exec_lo, s37
; %bb.27:                               ;   in Loop: Header=BB41_25 Depth=3
	v_add_nc_u32_e32 v17, 1, v17
	s_mov_b32 s36, -1
                                        ; implicit-def: $vgpr18
	s_delay_alu instid0(VALU_DEP_1)
	v_and_b32_e32 v17, 31, v17
; %bb.28:                               ;   in Loop: Header=BB41_25 Depth=3
	s_and_not1_saveexec_b32 s37, s37
	s_cbranch_execz .LBB41_32
; %bb.29:                               ;   in Loop: Header=BB41_25 Depth=3
	v_mov_b32_e32 v19, s1
	s_mov_b32 s38, -1
	s_mov_b32 s39, exec_lo
	ds_cmpstore_rtn_b32 v18, v18, v4, v19
	s_waitcnt lgkmcnt(0)
	v_cmpx_eq_u32_e64 s1, v18
	s_cbranch_execz .LBB41_31
; %bb.30:                               ;   in Loop: Header=BB41_25 Depth=3
	v_lshl_add_u32 v18, v17, 3, v10
	s_xor_b32 s38, exec_lo, -1
	ds_add_f32 v18, v15
	ds_add_f32 v18, v16 offset:4
.LBB41_31:                              ;   in Loop: Header=BB41_25 Depth=3
	s_or_b32 exec_lo, exec_lo, s39
	s_delay_alu instid0(SALU_CYCLE_1) | instskip(SKIP_1) | instid1(SALU_CYCLE_1)
	s_and_not1_b32 s36, s36, exec_lo
	s_and_b32 s38, s38, exec_lo
	s_or_b32 s36, s36, s38
.LBB41_32:                              ;   in Loop: Header=BB41_25 Depth=3
	s_or_b32 exec_lo, exec_lo, s37
	s_delay_alu instid0(SALU_CYCLE_1)
	s_and_b32 s36, s36, exec_lo
.LBB41_33:                              ;   in Loop: Header=BB41_25 Depth=3
	s_and_not1_saveexec_b32 s17, s17
	s_cbranch_execz .LBB41_24
; %bb.34:                               ;   in Loop: Header=BB41_25 Depth=3
	v_lshl_add_u32 v18, v17, 3, v10
	s_and_not1_b32 s36, s36, exec_lo
	ds_add_f32 v18, v15
	ds_add_f32 v18, v16 offset:4
	s_branch .LBB41_24
.LBB41_35:
	s_or_b32 exec_lo, exec_lo, s0
.LBB41_36:
	s_delay_alu instid0(SALU_CYCLE_1)
	s_and_not1_b32 vcc_lo, exec_lo, s34
	s_cbranch_vccnz .LBB41_53
; %bb.37:
	s_delay_alu instid0(VALU_DEP_1) | instskip(NEXT) | instid1(VALU_DEP_2)
	v_add_co_u32 v2, vcc_lo, s10, v0
	v_add_co_ci_u32_e32 v3, vcc_lo, s11, v1, vcc_lo
	v_subrev_nc_u32_e32 v5, s27, v11
	s_mov_b32 s0, exec_lo
	global_load_b64 v[2:3], v[2:3], off
	s_waitcnt vmcnt(0)
	v_subrev_nc_u32_e32 v4, s27, v3
	v_add_nc_u32_e32 v2, v2, v5
	s_delay_alu instid0(VALU_DEP_1)
	v_cmpx_lt_i32_e64 v2, v4
	s_cbranch_execz .LBB41_52
; %bb.38:
	s_mov_b32 s4, 0
	s_branch .LBB41_40
.LBB41_39:                              ;   in Loop: Header=BB41_40 Depth=1
	s_or_b32 exec_lo, exec_lo, s5
	v_add_nc_u32_e32 v2, 16, v2
	s_delay_alu instid0(VALU_DEP_1) | instskip(SKIP_1) | instid1(SALU_CYCLE_1)
	v_cmp_ge_i32_e32 vcc_lo, v2, v4
	s_or_b32 s4, vcc_lo, s4
	s_and_not1_b32 exec_lo, exec_lo, s4
	s_cbranch_execz .LBB41_52
.LBB41_40:                              ; =>This Loop Header: Depth=1
                                        ;     Child Loop BB41_42 Depth 2
	v_ashrrev_i32_e32 v3, 31, v2
	s_mov_b32 s5, 0
	s_delay_alu instid0(VALU_DEP_1) | instskip(SKIP_1) | instid1(VALU_DEP_2)
	v_lshlrev_b64 v[11:12], 2, v[2:3]
	v_lshlrev_b64 v[13:14], 3, v[2:3]
	v_add_co_u32 v11, vcc_lo, s28, v11
	s_delay_alu instid0(VALU_DEP_3) | instskip(NEXT) | instid1(VALU_DEP_3)
	v_add_co_ci_u32_e32 v12, vcc_lo, s29, v12, vcc_lo
	v_add_co_u32 v13, vcc_lo, s30, v13
	s_delay_alu instid0(VALU_DEP_4)
	v_add_co_ci_u32_e32 v14, vcc_lo, s31, v14, vcc_lo
	global_load_b32 v3, v[11:12], off
	global_load_b64 v[12:13], v[13:14], off
	s_waitcnt vmcnt(1)
	v_subrev_nc_u32_e32 v3, s27, v3
	s_waitcnt vmcnt(0)
	v_mul_f32_e64 v5, v13, -s33
	v_mul_f32_e32 v11, s14, v13
	s_delay_alu instid0(VALU_DEP_3) | instskip(NEXT) | instid1(VALU_DEP_3)
	v_lshl_add_u32 v13, v3, 3, v3
	v_fmac_f32_e32 v5, s14, v12
	s_delay_alu instid0(VALU_DEP_2)
	v_dual_fmac_f32 v11, s33, v12 :: v_dual_and_b32 v12, 31, v13
	s_branch .LBB41_42
.LBB41_41:                              ;   in Loop: Header=BB41_42 Depth=2
	s_or_b32 exec_lo, exec_lo, s6
	s_xor_b32 s6, s7, -1
	s_delay_alu instid0(SALU_CYCLE_1) | instskip(NEXT) | instid1(SALU_CYCLE_1)
	s_and_b32 s6, exec_lo, s6
	s_or_b32 s5, s6, s5
	s_delay_alu instid0(SALU_CYCLE_1)
	s_and_not1_b32 exec_lo, exec_lo, s5
	s_cbranch_execz .LBB41_39
.LBB41_42:                              ;   Parent Loop BB41_40 Depth=1
                                        ; =>  This Inner Loop Header: Depth=2
	s_delay_alu instid0(VALU_DEP_1)
	v_lshl_add_u32 v13, v12, 2, v9
	s_mov_b32 s6, exec_lo
                                        ; implicit-def: $sgpr7
	ds_load_b32 v14, v13
	s_waitcnt lgkmcnt(0)
	v_cmpx_ne_u32_e64 v14, v3
	s_xor_b32 s6, exec_lo, s6
	s_cbranch_execz .LBB41_50
; %bb.43:                               ;   in Loop: Header=BB41_42 Depth=2
	s_mov_b32 s8, exec_lo
                                        ; implicit-def: $sgpr7
	v_cmpx_ne_u32_e64 s1, v14
	s_xor_b32 s8, exec_lo, s8
; %bb.44:                               ;   in Loop: Header=BB41_42 Depth=2
	v_add_nc_u32_e32 v12, 1, v12
	s_mov_b32 s7, -1
                                        ; implicit-def: $vgpr13
	s_delay_alu instid0(VALU_DEP_1)
	v_and_b32_e32 v12, 31, v12
; %bb.45:                               ;   in Loop: Header=BB41_42 Depth=2
	s_and_not1_saveexec_b32 s8, s8
	s_cbranch_execz .LBB41_49
; %bb.46:                               ;   in Loop: Header=BB41_42 Depth=2
	v_mov_b32_e32 v14, s1
	s_mov_b32 s9, -1
	s_mov_b32 s10, exec_lo
	ds_cmpstore_rtn_b32 v13, v13, v3, v14
	s_waitcnt lgkmcnt(0)
	v_cmpx_eq_u32_e64 s1, v13
	s_cbranch_execz .LBB41_48
; %bb.47:                               ;   in Loop: Header=BB41_42 Depth=2
	v_lshl_add_u32 v13, v12, 3, v10
	s_xor_b32 s9, exec_lo, -1
	ds_add_f32 v13, v5
	ds_add_f32 v13, v11 offset:4
.LBB41_48:                              ;   in Loop: Header=BB41_42 Depth=2
	s_or_b32 exec_lo, exec_lo, s10
	s_delay_alu instid0(SALU_CYCLE_1) | instskip(SKIP_1) | instid1(SALU_CYCLE_1)
	s_and_not1_b32 s7, s7, exec_lo
	s_and_b32 s9, s9, exec_lo
	s_or_b32 s7, s7, s9
.LBB41_49:                              ;   in Loop: Header=BB41_42 Depth=2
	s_or_b32 exec_lo, exec_lo, s8
	s_delay_alu instid0(SALU_CYCLE_1)
	s_and_b32 s7, s7, exec_lo
.LBB41_50:                              ;   in Loop: Header=BB41_42 Depth=2
	s_and_not1_saveexec_b32 s6, s6
	s_cbranch_execz .LBB41_41
; %bb.51:                               ;   in Loop: Header=BB41_42 Depth=2
	v_lshl_add_u32 v13, v12, 3, v10
	s_and_not1_b32 s7, s7, exec_lo
	ds_add_f32 v13, v5
	ds_add_f32 v13, v11 offset:4
	s_branch .LBB41_41
.LBB41_52:
	s_or_b32 exec_lo, exec_lo, s0
.LBB41_53:
	s_delay_alu instid0(VALU_DEP_1) | instskip(NEXT) | instid1(VALU_DEP_2)
	v_add_co_u32 v0, vcc_lo, s12, v0
	v_add_co_ci_u32_e32 v1, vcc_lo, s13, v1, vcc_lo
	s_waitcnt lgkmcnt(0)
	buffer_gl0_inv
	s_mov_b32 s0, 0
	global_load_b32 v0, v[0:1], off
	s_waitcnt vmcnt(0)
	v_subrev_nc_u32_e32 v0, s26, v0
	s_branch .LBB41_55
.LBB41_54:                              ;   in Loop: Header=BB41_55 Depth=1
	s_or_b32 exec_lo, exec_lo, s4
	v_add_co_u32 v8, s4, v8, 16
	s_delay_alu instid0(VALU_DEP_1) | instskip(SKIP_3) | instid1(SALU_CYCLE_1)
	s_xor_b32 s4, s4, -1
	v_add_nc_u32_e32 v7, 0x80, v7
	v_add_nc_u32_e32 v6, 64, v6
	s_and_b32 s4, exec_lo, s4
	s_or_b32 s0, s4, s0
	s_delay_alu instid0(SALU_CYCLE_1)
	s_and_not1_b32 exec_lo, exec_lo, s0
	s_cbranch_execz .LBB41_57
.LBB41_55:                              ; =>This Inner Loop Header: Depth=1
	ds_load_b32 v1, v6
	s_mov_b32 s4, exec_lo
	s_waitcnt lgkmcnt(0)
	v_cmpx_gt_i32_e64 s1, v1
	s_cbranch_execz .LBB41_54
; %bb.56:                               ;   in Loop: Header=BB41_55 Depth=1
	ds_load_b128 v[2:5], v9
	ds_load_b128 v[10:13], v9 offset:16
	ds_load_b128 v[14:17], v9 offset:32
	;; [unrolled: 1-line block ×7, first 2 shown]
	s_waitcnt lgkmcnt(7)
	v_cmp_gt_i32_e32 vcc_lo, v1, v2
	v_cndmask_b32_e64 v2, 0, 1, vcc_lo
	v_cmp_gt_i32_e32 vcc_lo, v1, v4
	v_cndmask_b32_e64 v4, 0, 1, vcc_lo
	v_cmp_gt_i32_e32 vcc_lo, v1, v3
	s_delay_alu instid0(VALU_DEP_4)
	v_add_co_ci_u32_e32 v2, vcc_lo, v0, v2, vcc_lo
	s_waitcnt lgkmcnt(6)
	v_cmp_gt_i32_e32 vcc_lo, v1, v10
	v_cndmask_b32_e64 v3, 0, 1, vcc_lo
	v_cmp_gt_i32_e32 vcc_lo, v1, v5
	v_add_co_ci_u32_e32 v2, vcc_lo, v2, v4, vcc_lo
	v_cmp_gt_i32_e32 vcc_lo, v1, v12
	v_cndmask_b32_e64 v4, 0, 1, vcc_lo
	v_cmp_gt_i32_e32 vcc_lo, v1, v11
	s_delay_alu instid0(VALU_DEP_4)
	v_add_co_ci_u32_e32 v2, vcc_lo, v2, v3, vcc_lo
	s_waitcnt lgkmcnt(5)
	v_cmp_gt_i32_e32 vcc_lo, v1, v14
	v_cndmask_b32_e64 v3, 0, 1, vcc_lo
	v_cmp_gt_i32_e32 vcc_lo, v1, v13
	v_add_co_ci_u32_e32 v2, vcc_lo, v2, v4, vcc_lo
	;; [unrolled: 10-line block ×7, first 2 shown]
	v_cmp_gt_i32_e32 vcc_lo, v1, v36
	v_cndmask_b32_e64 v4, 0, 1, vcc_lo
	v_cmp_gt_i32_e32 vcc_lo, v1, v35
	s_delay_alu instid0(VALU_DEP_4) | instskip(SKIP_1) | instid1(VALU_DEP_2)
	v_add_co_ci_u32_e32 v2, vcc_lo, v2, v3, vcc_lo
	v_cmp_gt_i32_e32 vcc_lo, v1, v37
	v_add_co_ci_u32_e32 v1, vcc_lo, v2, v4, vcc_lo
	ds_load_b64 v[3:4], v7
	v_ashrrev_i32_e32 v2, 31, v1
	s_delay_alu instid0(VALU_DEP_1) | instskip(NEXT) | instid1(VALU_DEP_1)
	v_lshlrev_b64 v[1:2], 3, v[1:2]
	v_add_co_u32 v1, vcc_lo, s2, v1
	s_delay_alu instid0(VALU_DEP_2)
	v_add_co_ci_u32_e32 v2, vcc_lo, s3, v2, vcc_lo
	s_waitcnt lgkmcnt(0)
	global_store_b64 v[1:2], v[3:4], off
	s_branch .LBB41_54
.LBB41_57:
	s_nop 0
	s_sendmsg sendmsg(MSG_DEALLOC_VGPRS)
	s_endpgm
	.section	.rodata,"a",@progbits
	.p2align	6, 0x0
	.amdhsa_kernel _ZN9rocsparseL38csrgemm_numeric_fill_wf_per_row_kernelILj256ELj16ELj32ELj137Eii21rocsparse_complex_numIfEEEvT4_S3_PKS3_S5_NS_24const_host_device_scalarIT5_EEPKT3_S5_PKS7_SB_S5_SD_S8_SB_S5_SD_SB_S5_PS7_21rocsparse_index_base_SF_SF_SF_bbb
		.amdhsa_group_segment_fixed_size 6144
		.amdhsa_private_segment_fixed_size 0
		.amdhsa_kernarg_size 156
		.amdhsa_user_sgpr_count 15
		.amdhsa_user_sgpr_dispatch_ptr 0
		.amdhsa_user_sgpr_queue_ptr 0
		.amdhsa_user_sgpr_kernarg_segment_ptr 1
		.amdhsa_user_sgpr_dispatch_id 0
		.amdhsa_user_sgpr_private_segment_size 0
		.amdhsa_wavefront_size32 1
		.amdhsa_uses_dynamic_stack 0
		.amdhsa_enable_private_segment 0
		.amdhsa_system_sgpr_workgroup_id_x 1
		.amdhsa_system_sgpr_workgroup_id_y 0
		.amdhsa_system_sgpr_workgroup_id_z 0
		.amdhsa_system_sgpr_workgroup_info 0
		.amdhsa_system_vgpr_workitem_id 0
		.amdhsa_next_free_vgpr 38
		.amdhsa_next_free_sgpr 42
		.amdhsa_reserve_vcc 1
		.amdhsa_float_round_mode_32 0
		.amdhsa_float_round_mode_16_64 0
		.amdhsa_float_denorm_mode_32 3
		.amdhsa_float_denorm_mode_16_64 3
		.amdhsa_dx10_clamp 1
		.amdhsa_ieee_mode 1
		.amdhsa_fp16_overflow 0
		.amdhsa_workgroup_processor_mode 1
		.amdhsa_memory_ordered 1
		.amdhsa_forward_progress 0
		.amdhsa_shared_vgpr_count 0
		.amdhsa_exception_fp_ieee_invalid_op 0
		.amdhsa_exception_fp_denorm_src 0
		.amdhsa_exception_fp_ieee_div_zero 0
		.amdhsa_exception_fp_ieee_overflow 0
		.amdhsa_exception_fp_ieee_underflow 0
		.amdhsa_exception_fp_ieee_inexact 0
		.amdhsa_exception_int_div_zero 0
	.end_amdhsa_kernel
	.section	.text._ZN9rocsparseL38csrgemm_numeric_fill_wf_per_row_kernelILj256ELj16ELj32ELj137Eii21rocsparse_complex_numIfEEEvT4_S3_PKS3_S5_NS_24const_host_device_scalarIT5_EEPKT3_S5_PKS7_SB_S5_SD_S8_SB_S5_SD_SB_S5_PS7_21rocsparse_index_base_SF_SF_SF_bbb,"axG",@progbits,_ZN9rocsparseL38csrgemm_numeric_fill_wf_per_row_kernelILj256ELj16ELj32ELj137Eii21rocsparse_complex_numIfEEEvT4_S3_PKS3_S5_NS_24const_host_device_scalarIT5_EEPKT3_S5_PKS7_SB_S5_SD_S8_SB_S5_SD_SB_S5_PS7_21rocsparse_index_base_SF_SF_SF_bbb,comdat
.Lfunc_end41:
	.size	_ZN9rocsparseL38csrgemm_numeric_fill_wf_per_row_kernelILj256ELj16ELj32ELj137Eii21rocsparse_complex_numIfEEEvT4_S3_PKS3_S5_NS_24const_host_device_scalarIT5_EEPKT3_S5_PKS7_SB_S5_SD_S8_SB_S5_SD_SB_S5_PS7_21rocsparse_index_base_SF_SF_SF_bbb, .Lfunc_end41-_ZN9rocsparseL38csrgemm_numeric_fill_wf_per_row_kernelILj256ELj16ELj32ELj137Eii21rocsparse_complex_numIfEEEvT4_S3_PKS3_S5_NS_24const_host_device_scalarIT5_EEPKT3_S5_PKS7_SB_S5_SD_S8_SB_S5_SD_SB_S5_PS7_21rocsparse_index_base_SF_SF_SF_bbb
                                        ; -- End function
	.section	.AMDGPU.csdata,"",@progbits
; Kernel info:
; codeLenInByte = 2408
; NumSgprs: 44
; NumVgprs: 38
; ScratchSize: 0
; MemoryBound: 0
; FloatMode: 240
; IeeeMode: 1
; LDSByteSize: 6144 bytes/workgroup (compile time only)
; SGPRBlocks: 5
; VGPRBlocks: 4
; NumSGPRsForWavesPerEU: 44
; NumVGPRsForWavesPerEU: 38
; Occupancy: 16
; WaveLimiterHint : 1
; COMPUTE_PGM_RSRC2:SCRATCH_EN: 0
; COMPUTE_PGM_RSRC2:USER_SGPR: 15
; COMPUTE_PGM_RSRC2:TRAP_HANDLER: 0
; COMPUTE_PGM_RSRC2:TGID_X_EN: 1
; COMPUTE_PGM_RSRC2:TGID_Y_EN: 0
; COMPUTE_PGM_RSRC2:TGID_Z_EN: 0
; COMPUTE_PGM_RSRC2:TIDIG_COMP_CNT: 0
	.section	.text._ZN9rocsparseL41csrgemm_numeric_fill_block_per_row_kernelILj128ELj16ELj256ELj137ELj32Eii21rocsparse_complex_numIfEEEvT5_PKS3_S5_NS_24const_host_device_scalarIT6_EEPKT4_S5_PKS7_SB_S5_SD_S8_SB_S5_SD_SB_S5_PS7_21rocsparse_index_base_SF_SF_SF_bbb,"axG",@progbits,_ZN9rocsparseL41csrgemm_numeric_fill_block_per_row_kernelILj128ELj16ELj256ELj137ELj32Eii21rocsparse_complex_numIfEEEvT5_PKS3_S5_NS_24const_host_device_scalarIT6_EEPKT4_S5_PKS7_SB_S5_SD_S8_SB_S5_SD_SB_S5_PS7_21rocsparse_index_base_SF_SF_SF_bbb,comdat
	.globl	_ZN9rocsparseL41csrgemm_numeric_fill_block_per_row_kernelILj128ELj16ELj256ELj137ELj32Eii21rocsparse_complex_numIfEEEvT5_PKS3_S5_NS_24const_host_device_scalarIT6_EEPKT4_S5_PKS7_SB_S5_SD_S8_SB_S5_SD_SB_S5_PS7_21rocsparse_index_base_SF_SF_SF_bbb ; -- Begin function _ZN9rocsparseL41csrgemm_numeric_fill_block_per_row_kernelILj128ELj16ELj256ELj137ELj32Eii21rocsparse_complex_numIfEEEvT5_PKS3_S5_NS_24const_host_device_scalarIT6_EEPKT4_S5_PKS7_SB_S5_SD_S8_SB_S5_SD_SB_S5_PS7_21rocsparse_index_base_SF_SF_SF_bbb
	.p2align	8
	.type	_ZN9rocsparseL41csrgemm_numeric_fill_block_per_row_kernelILj128ELj16ELj256ELj137ELj32Eii21rocsparse_complex_numIfEEEvT5_PKS3_S5_NS_24const_host_device_scalarIT6_EEPKT4_S5_PKS7_SB_S5_SD_S8_SB_S5_SD_SB_S5_PS7_21rocsparse_index_base_SF_SF_SF_bbb,@function
_ZN9rocsparseL41csrgemm_numeric_fill_block_per_row_kernelILj128ELj16ELj256ELj137ELj32Eii21rocsparse_complex_numIfEEEvT5_PKS3_S5_NS_24const_host_device_scalarIT6_EEPKT4_S5_PKS7_SB_S5_SD_S8_SB_S5_SD_SB_S5_PS7_21rocsparse_index_base_SF_SF_SF_bbb: ; @_ZN9rocsparseL41csrgemm_numeric_fill_block_per_row_kernelILj128ELj16ELj256ELj137ELj32Eii21rocsparse_complex_numIfEEEvT5_PKS3_S5_NS_24const_host_device_scalarIT6_EEPKT4_S5_PKS7_SB_S5_SD_S8_SB_S5_SD_SB_S5_PS7_21rocsparse_index_base_SF_SF_SF_bbb
; %bb.0:
	s_clause 0x7
	s_load_b32 s14, s[0:1], 0x98
	s_load_b64 s[34:35], s[0:1], 0x70
	s_load_b128 s[28:31], s[0:1], 0x60
	s_load_b256 s[4:11], s[0:1], 0x40
	s_load_b128 s[36:39], s[0:1], 0x8
	s_load_b256 s[16:23], s[0:1], 0x20
	s_load_b64 s[12:13], s[0:1], 0x80
	s_load_b128 s[24:27], s[0:1], 0x88
	s_mov_b32 s3, 0
	s_mov_b32 s40, 0
	s_waitcnt lgkmcnt(0)
	s_bitcmp1_b32 s14, 0
	s_cselect_b32 s42, -1, 0
	s_bitcmp1_b32 s14, 16
	s_cselect_b32 s2, -1, 0
	s_delay_alu instid0(SALU_CYCLE_1) | instskip(SKIP_2) | instid1(VALU_DEP_1)
	s_xor_b32 s33, s2, -1
	s_bitcmp0_b32 s14, 0
	v_cndmask_b32_e64 v1, 0, 1, s33
	v_cmp_ne_u32_e32 vcc_lo, 1, v1
	s_cbranch_scc1 .LBB42_5
; %bb.1:
	s_load_b64 s[2:3], s[0:1], 0x18
	s_and_b32 vcc_lo, exec_lo, vcc_lo
	s_waitcnt lgkmcnt(0)
	s_mov_b32 s40, s2
	s_cbranch_vccnz .LBB42_3
; %bb.2:
	s_load_b32 s40, s[2:3], 0x0
.LBB42_3:
	s_and_not1_b32 vcc_lo, exec_lo, s33
	s_cbranch_vccnz .LBB42_5
; %bb.4:
	s_load_b32 s3, s[2:3], 0x4
.LBB42_5:
	s_bitcmp1_b32 s14, 8
	s_mov_b32 s33, 0
	s_cselect_b32 s41, -1, 0
	s_bfe_u32 s2, s14, 0x10008
	s_delay_alu instid0(SALU_CYCLE_1)
	s_cmp_eq_u32 s2, 0
	s_mov_b32 s2, 0
	s_cbranch_scc1 .LBB42_11
; %bb.6:
	v_cmp_ne_u32_e32 vcc_lo, 1, v1
	s_mov_b32 s2, s8
	s_cbranch_vccnz .LBB42_8
; %bb.7:
	s_load_b32 s2, s[8:9], 0x0
.LBB42_8:
	v_cmp_ne_u32_e32 vcc_lo, 1, v1
	s_cbranch_vccnz .LBB42_10
; %bb.9:
	s_load_b32 s9, s[8:9], 0x4
.LBB42_10:
	s_waitcnt lgkmcnt(0)
	s_mov_b32 s33, s9
.LBB42_11:
	s_load_b32 s14, s[0:1], 0x0
	v_cmp_gt_u32_e64 s0, 0x100, v0
	v_lshlrev_b32_e32 v7, 3, v0
	v_or_b32_e32 v5, 0xffffff80, v0
	v_lshl_add_u32 v6, v0, 2, 0
	s_delay_alu instid0(VALU_DEP_4)
	s_and_saveexec_b32 s1, s0
	s_cbranch_execz .LBB42_14
; %bb.12:
	v_add3_u32 v1, v7, 0, 0x400
	v_or_b32_e32 v2, 0xffffff80, v0
	v_lshl_add_u32 v3, v0, 2, 0
	s_waitcnt lgkmcnt(0)
	v_mov_b32_e32 v4, s14
	v_mov_b32_e32 v8, 0
	s_mov_b32 s8, 0
.LBB42_13:                              ; =>This Inner Loop Header: Depth=1
	v_add_co_u32 v2, s9, 0x80, v2
	s_delay_alu instid0(VALU_DEP_1)
	s_xor_b32 s9, s9, -1
	ds_store_b32 v3, v4
	ds_store_2addr_b32 v1, v8, v8 offset1:1
	v_add_nc_u32_e32 v1, 0x400, v1
	v_add_nc_u32_e32 v3, 0x200, v3
	s_and_b32 s9, exec_lo, s9
	s_delay_alu instid0(SALU_CYCLE_1) | instskip(NEXT) | instid1(SALU_CYCLE_1)
	s_or_b32 s8, s9, s8
	s_and_not1_b32 exec_lo, exec_lo, s8
	s_cbranch_execnz .LBB42_13
.LBB42_14:
	s_or_b32 exec_lo, exec_lo, s1
	s_waitcnt lgkmcnt(0)
	s_barrier
	buffer_gl0_inv
	s_load_b32 s1, s[36:37], 0x0
	s_mov_b32 s9, 0
	s_waitcnt lgkmcnt(0)
	s_add_i32 s8, s1, s15
	s_delay_alu instid0(SALU_CYCLE_1) | instskip(NEXT) | instid1(SALU_CYCLE_1)
	s_lshl_b64 s[8:9], s[8:9], 2
	s_add_u32 s8, s38, s8
	s_addc_u32 s9, s39, s9
	s_and_b32 vcc_lo, exec_lo, s42
	s_load_b32 s8, s[8:9], 0x0
	s_cbranch_vccz .LBB42_34
; %bb.15:
	s_waitcnt lgkmcnt(0)
	s_ashr_i32 s9, s8, 31
	v_lshrrev_b32_e32 v1, 4, v0
	s_lshl_b64 s[36:37], s[8:9], 2
	s_mov_b32 s9, exec_lo
	s_add_u32 s16, s16, s36
	s_addc_u32 s17, s17, s37
	v_subrev_nc_u32_e32 v1, s24, v1
	s_load_b64 s[16:17], s[16:17], 0x0
	s_waitcnt lgkmcnt(0)
	s_delay_alu instid0(VALU_DEP_1)
	v_add_nc_u32_e32 v1, s16, v1
	s_sub_i32 s1, s17, s24
	s_delay_alu instid0(VALU_DEP_1) | instid1(SALU_CYCLE_1)
	v_cmpx_gt_i32_e64 s1, v1
	s_cbranch_execz .LBB42_33
; %bb.16:
	v_and_b32_e32 v2, 15, v0
	s_mov_b32 s15, 0
	s_delay_alu instid0(VALU_DEP_1)
	v_subrev_nc_u32_e32 v8, s25, v2
	s_branch .LBB42_18
.LBB42_17:                              ;   in Loop: Header=BB42_18 Depth=1
	s_or_b32 exec_lo, exec_lo, s16
	v_add_nc_u32_e32 v1, 8, v1
	s_delay_alu instid0(VALU_DEP_1) | instskip(SKIP_1) | instid1(SALU_CYCLE_1)
	v_cmp_le_i32_e32 vcc_lo, s1, v1
	s_or_b32 s15, vcc_lo, s15
	s_and_not1_b32 exec_lo, exec_lo, s15
	s_cbranch_execz .LBB42_33
.LBB42_18:                              ; =>This Loop Header: Depth=1
                                        ;     Child Loop BB42_21 Depth 2
                                        ;       Child Loop BB42_23 Depth 3
	v_ashrrev_i32_e32 v2, 31, v1
	s_mov_b32 s16, exec_lo
	s_delay_alu instid0(VALU_DEP_1) | instskip(NEXT) | instid1(VALU_DEP_1)
	v_lshlrev_b64 v[3:4], 2, v[1:2]
	v_add_co_u32 v3, vcc_lo, s18, v3
	s_delay_alu instid0(VALU_DEP_2) | instskip(SKIP_3) | instid1(VALU_DEP_1)
	v_add_co_ci_u32_e32 v4, vcc_lo, s19, v4, vcc_lo
	global_load_b32 v3, v[3:4], off
	s_waitcnt vmcnt(0)
	v_subrev_nc_u32_e32 v3, s24, v3
	v_ashrrev_i32_e32 v4, 31, v3
	s_delay_alu instid0(VALU_DEP_1) | instskip(NEXT) | instid1(VALU_DEP_1)
	v_lshlrev_b64 v[3:4], 2, v[3:4]
	v_add_co_u32 v3, vcc_lo, s22, v3
	s_delay_alu instid0(VALU_DEP_2) | instskip(SKIP_4) | instid1(VALU_DEP_1)
	v_add_co_ci_u32_e32 v4, vcc_lo, s23, v4, vcc_lo
	global_load_b64 v[3:4], v[3:4], off
	s_waitcnt vmcnt(0)
	v_subrev_nc_u32_e32 v9, s25, v4
	v_add_nc_u32_e32 v3, v3, v8
	v_cmpx_lt_i32_e64 v3, v9
	s_cbranch_execz .LBB42_17
; %bb.19:                               ;   in Loop: Header=BB42_18 Depth=1
	v_lshlrev_b64 v[10:11], 3, v[1:2]
	s_mov_b32 s17, 0
	s_delay_alu instid0(VALU_DEP_1) | instskip(NEXT) | instid1(VALU_DEP_2)
	v_add_co_u32 v10, vcc_lo, s20, v10
	v_add_co_ci_u32_e32 v11, vcc_lo, s21, v11, vcc_lo
	global_load_b64 v[11:12], v[10:11], off
	s_waitcnt vmcnt(0)
	v_mul_f32_e64 v2, v12, -s3
	v_mul_f32_e32 v10, s40, v12
	s_delay_alu instid0(VALU_DEP_2) | instskip(NEXT) | instid1(VALU_DEP_2)
	v_fmac_f32_e32 v2, s40, v11
	v_fmac_f32_e32 v10, s3, v11
	s_branch .LBB42_21
.LBB42_20:                              ;   in Loop: Header=BB42_21 Depth=2
	s_or_b32 exec_lo, exec_lo, s36
	v_add_nc_u32_e32 v3, 16, v3
	s_delay_alu instid0(VALU_DEP_1) | instskip(SKIP_1) | instid1(SALU_CYCLE_1)
	v_cmp_ge_i32_e32 vcc_lo, v3, v9
	s_or_b32 s17, vcc_lo, s17
	s_and_not1_b32 exec_lo, exec_lo, s17
	s_cbranch_execz .LBB42_17
.LBB42_21:                              ;   Parent Loop BB42_18 Depth=1
                                        ; =>  This Loop Header: Depth=2
                                        ;       Child Loop BB42_23 Depth 3
	v_ashrrev_i32_e32 v4, 31, v3
	s_mov_b32 s36, 0
	s_delay_alu instid0(VALU_DEP_1) | instskip(SKIP_1) | instid1(VALU_DEP_2)
	v_lshlrev_b64 v[11:12], 2, v[3:4]
	v_lshlrev_b64 v[13:14], 3, v[3:4]
	v_add_co_u32 v11, vcc_lo, s4, v11
	s_delay_alu instid0(VALU_DEP_3)
	v_add_co_ci_u32_e32 v12, vcc_lo, s5, v12, vcc_lo
	global_load_b32 v4, v[11:12], off
	v_add_co_u32 v11, vcc_lo, s6, v13
	v_add_co_ci_u32_e32 v12, vcc_lo, s7, v14, vcc_lo
	global_load_b64 v[13:14], v[11:12], off
	s_waitcnt vmcnt(1)
	v_subrev_nc_u32_e32 v4, s25, v4
	s_delay_alu instid0(VALU_DEP_1) | instskip(SKIP_3) | instid1(VALU_DEP_2)
	v_mul_lo_u32 v15, 0x89, v4
	s_waitcnt vmcnt(0)
	v_mul_f32_e64 v11, v14, -v10
	v_mul_f32_e32 v12, v2, v14
	v_fmac_f32_e32 v11, v2, v13
	s_delay_alu instid0(VALU_DEP_2)
	v_dual_fmac_f32 v12, v10, v13 :: v_dual_and_b32 v13, 0xff, v15
	s_branch .LBB42_23
.LBB42_22:                              ;   in Loop: Header=BB42_23 Depth=3
	s_or_b32 exec_lo, exec_lo, s37
	s_xor_b32 s37, s38, -1
	s_delay_alu instid0(SALU_CYCLE_1) | instskip(NEXT) | instid1(SALU_CYCLE_1)
	s_and_b32 s37, exec_lo, s37
	s_or_b32 s36, s37, s36
	s_delay_alu instid0(SALU_CYCLE_1)
	s_and_not1_b32 exec_lo, exec_lo, s36
	s_cbranch_execz .LBB42_20
.LBB42_23:                              ;   Parent Loop BB42_18 Depth=1
                                        ;     Parent Loop BB42_21 Depth=2
                                        ; =>    This Inner Loop Header: Depth=3
	s_delay_alu instid0(VALU_DEP_1)
	v_lshl_add_u32 v14, v13, 2, 0
	s_mov_b32 s37, exec_lo
                                        ; implicit-def: $sgpr38
	ds_load_b32 v15, v14
	s_waitcnt lgkmcnt(0)
	v_cmpx_ne_u32_e64 v15, v4
	s_xor_b32 s37, exec_lo, s37
	s_cbranch_execz .LBB42_31
; %bb.24:                               ;   in Loop: Header=BB42_23 Depth=3
	s_mov_b32 s39, exec_lo
                                        ; implicit-def: $sgpr38
	v_cmpx_ne_u32_e64 s14, v15
	s_xor_b32 s39, exec_lo, s39
; %bb.25:                               ;   in Loop: Header=BB42_23 Depth=3
	v_add_nc_u32_e32 v13, 1, v13
	s_mov_b32 s38, -1
                                        ; implicit-def: $vgpr14
	s_delay_alu instid0(VALU_DEP_1)
	v_and_b32_e32 v13, 0xff, v13
; %bb.26:                               ;   in Loop: Header=BB42_23 Depth=3
	s_and_not1_saveexec_b32 s39, s39
	s_cbranch_execz .LBB42_30
; %bb.27:                               ;   in Loop: Header=BB42_23 Depth=3
	v_mov_b32_e32 v15, s14
	s_mov_b32 s42, -1
	s_mov_b32 s43, exec_lo
	ds_cmpstore_rtn_b32 v15, v14, v4, v15
	s_waitcnt lgkmcnt(0)
	v_cmpx_eq_u32_e64 s14, v15
	s_cbranch_execz .LBB42_29
; %bb.28:                               ;   in Loop: Header=BB42_23 Depth=3
	v_lshl_add_u32 v14, v13, 2, v14
	s_xor_b32 s42, exec_lo, -1
	ds_add_f32 v14, v11 offset:1024
	ds_add_f32 v14, v12 offset:1028
.LBB42_29:                              ;   in Loop: Header=BB42_23 Depth=3
	s_or_b32 exec_lo, exec_lo, s43
	s_delay_alu instid0(SALU_CYCLE_1) | instskip(SKIP_1) | instid1(SALU_CYCLE_1)
	s_and_not1_b32 s38, s38, exec_lo
	s_and_b32 s42, s42, exec_lo
	s_or_b32 s38, s38, s42
.LBB42_30:                              ;   in Loop: Header=BB42_23 Depth=3
	s_or_b32 exec_lo, exec_lo, s39
	s_delay_alu instid0(SALU_CYCLE_1)
	s_and_b32 s38, s38, exec_lo
                                        ; implicit-def: $vgpr14
.LBB42_31:                              ;   in Loop: Header=BB42_23 Depth=3
	s_and_not1_saveexec_b32 s37, s37
	s_cbranch_execz .LBB42_22
; %bb.32:                               ;   in Loop: Header=BB42_23 Depth=3
	v_lshl_add_u32 v14, v13, 2, v14
	s_and_not1_b32 s38, s38, exec_lo
	ds_add_f32 v14, v11 offset:1024
	ds_add_f32 v14, v12 offset:1028
	s_branch .LBB42_22
.LBB42_33:
	s_or_b32 exec_lo, exec_lo, s9
.LBB42_34:
	s_delay_alu instid0(SALU_CYCLE_1)
	s_and_not1_b32 vcc_lo, exec_lo, s41
	s_cbranch_vccnz .LBB42_51
; %bb.35:
	s_waitcnt lgkmcnt(0)
	s_ashr_i32 s9, s8, 31
	v_subrev_nc_u32_e32 v1, s27, v0
	s_lshl_b64 s[4:5], s[8:9], 2
	s_mov_b32 s3, exec_lo
	s_add_u32 s4, s10, s4
	s_addc_u32 s5, s11, s5
	s_load_b64 s[4:5], s[4:5], 0x0
	s_waitcnt lgkmcnt(0)
	v_add_nc_u32_e32 v1, s4, v1
	s_sub_i32 s1, s5, s27
	s_delay_alu instid0(VALU_DEP_1) | instid1(SALU_CYCLE_1)
	v_cmpx_gt_i32_e64 s1, v1
	s_cbranch_execz .LBB42_50
; %bb.36:
	s_mov_b32 s4, 0
	s_branch .LBB42_38
.LBB42_37:                              ;   in Loop: Header=BB42_38 Depth=1
	s_or_b32 exec_lo, exec_lo, s5
	v_add_nc_u32_e32 v1, 0x80, v1
	s_delay_alu instid0(VALU_DEP_1) | instskip(SKIP_1) | instid1(SALU_CYCLE_1)
	v_cmp_le_i32_e32 vcc_lo, s1, v1
	s_or_b32 s4, vcc_lo, s4
	s_and_not1_b32 exec_lo, exec_lo, s4
	s_cbranch_execz .LBB42_50
.LBB42_38:                              ; =>This Loop Header: Depth=1
                                        ;     Child Loop BB42_40 Depth 2
	v_ashrrev_i32_e32 v2, 31, v1
	s_mov_b32 s5, 0
	s_delay_alu instid0(VALU_DEP_1) | instskip(SKIP_1) | instid1(VALU_DEP_2)
	v_lshlrev_b64 v[3:4], 2, v[1:2]
	v_lshlrev_b64 v[8:9], 3, v[1:2]
	v_add_co_u32 v3, vcc_lo, s28, v3
	s_delay_alu instid0(VALU_DEP_3) | instskip(NEXT) | instid1(VALU_DEP_3)
	v_add_co_ci_u32_e32 v4, vcc_lo, s29, v4, vcc_lo
	v_add_co_u32 v2, vcc_lo, s30, v8
	global_load_b32 v4, v[3:4], off
	v_add_co_ci_u32_e32 v3, vcc_lo, s31, v9, vcc_lo
	global_load_b64 v[8:9], v[2:3], off
	s_waitcnt vmcnt(1)
	v_subrev_nc_u32_e32 v2, s27, v4
	s_delay_alu instid0(VALU_DEP_1) | instskip(SKIP_2) | instid1(VALU_DEP_1)
	v_mul_lo_u32 v10, 0x89, v2
	s_waitcnt vmcnt(0)
	v_mul_f32_e64 v3, v9, -s33
	v_dual_mul_f32 v4, s2, v9 :: v_dual_fmac_f32 v3, s2, v8
	s_delay_alu instid0(VALU_DEP_1) | instskip(NEXT) | instid1(VALU_DEP_4)
	v_fmac_f32_e32 v4, s33, v8
	v_and_b32_e32 v8, 0xff, v10
	s_branch .LBB42_40
.LBB42_39:                              ;   in Loop: Header=BB42_40 Depth=2
	s_or_b32 exec_lo, exec_lo, s6
	s_xor_b32 s6, s7, -1
	s_delay_alu instid0(SALU_CYCLE_1) | instskip(NEXT) | instid1(SALU_CYCLE_1)
	s_and_b32 s6, exec_lo, s6
	s_or_b32 s5, s6, s5
	s_delay_alu instid0(SALU_CYCLE_1)
	s_and_not1_b32 exec_lo, exec_lo, s5
	s_cbranch_execz .LBB42_37
.LBB42_40:                              ;   Parent Loop BB42_38 Depth=1
                                        ; =>  This Inner Loop Header: Depth=2
	s_delay_alu instid0(VALU_DEP_1)
	v_lshl_add_u32 v9, v8, 2, 0
	s_mov_b32 s6, exec_lo
                                        ; implicit-def: $sgpr7
	ds_load_b32 v10, v9
	s_waitcnt lgkmcnt(0)
	v_cmpx_ne_u32_e64 v10, v2
	s_xor_b32 s6, exec_lo, s6
	s_cbranch_execz .LBB42_48
; %bb.41:                               ;   in Loop: Header=BB42_40 Depth=2
	s_mov_b32 s9, exec_lo
                                        ; implicit-def: $sgpr7
	v_cmpx_ne_u32_e64 s14, v10
	s_xor_b32 s9, exec_lo, s9
; %bb.42:                               ;   in Loop: Header=BB42_40 Depth=2
	v_add_nc_u32_e32 v8, 1, v8
	s_mov_b32 s7, -1
                                        ; implicit-def: $vgpr9
	s_delay_alu instid0(VALU_DEP_1)
	v_and_b32_e32 v8, 0xff, v8
; %bb.43:                               ;   in Loop: Header=BB42_40 Depth=2
	s_and_not1_saveexec_b32 s9, s9
	s_cbranch_execz .LBB42_47
; %bb.44:                               ;   in Loop: Header=BB42_40 Depth=2
	v_mov_b32_e32 v10, s14
	s_mov_b32 s10, -1
	s_mov_b32 s11, exec_lo
	ds_cmpstore_rtn_b32 v10, v9, v2, v10
	s_waitcnt lgkmcnt(0)
	v_cmpx_eq_u32_e64 s14, v10
	s_cbranch_execz .LBB42_46
; %bb.45:                               ;   in Loop: Header=BB42_40 Depth=2
	v_lshl_add_u32 v9, v8, 2, v9
	s_xor_b32 s10, exec_lo, -1
	ds_add_f32 v9, v3 offset:1024
	ds_add_f32 v9, v4 offset:1028
.LBB42_46:                              ;   in Loop: Header=BB42_40 Depth=2
	s_or_b32 exec_lo, exec_lo, s11
	s_delay_alu instid0(SALU_CYCLE_1) | instskip(SKIP_1) | instid1(SALU_CYCLE_1)
	s_and_not1_b32 s7, s7, exec_lo
	s_and_b32 s10, s10, exec_lo
	s_or_b32 s7, s7, s10
.LBB42_47:                              ;   in Loop: Header=BB42_40 Depth=2
	s_or_b32 exec_lo, exec_lo, s9
	s_delay_alu instid0(SALU_CYCLE_1)
	s_and_b32 s7, s7, exec_lo
                                        ; implicit-def: $vgpr9
.LBB42_48:                              ;   in Loop: Header=BB42_40 Depth=2
	s_and_not1_saveexec_b32 s6, s6
	s_cbranch_execz .LBB42_39
; %bb.49:                               ;   in Loop: Header=BB42_40 Depth=2
	v_lshl_add_u32 v9, v8, 2, v9
	s_and_not1_b32 s7, s7, exec_lo
	ds_add_f32 v9, v3 offset:1024
	ds_add_f32 v9, v4 offset:1028
	s_branch .LBB42_39
.LBB42_50:
	s_or_b32 exec_lo, exec_lo, s3
.LBB42_51:
	s_waitcnt lgkmcnt(0)
	s_barrier
	buffer_gl0_inv
	s_and_saveexec_b32 s4, s0
	s_cbranch_execz .LBB42_64
; %bb.52:
	v_mbcnt_lo_u32_b32 v1, -1, 0
	v_lshrrev_b32_e32 v2, 3, v0
	v_cmp_eq_u32_e32 vcc_lo, 0x7f, v0
	v_cmp_lt_u32_e64 s0, 31, v0
	v_cmp_lt_u32_e64 s1, 63, v0
	v_xor_b32_e32 v1, 63, v1
	v_dual_mov_b32 v8, 0 :: v_dual_and_b32 v3, 12, v2
	v_cmp_lt_u32_e64 s2, 0x5f, v0
	v_add3_u32 v4, v7, 0, 0x400
	s_delay_alu instid0(VALU_DEP_4) | instskip(NEXT) | instid1(VALU_DEP_4)
	v_lshrrev_b64 v[1:2], v1, -1
	v_add_nc_u32_e32 v7, 0, v3
	v_mov_b32_e32 v9, 0
	s_mov_b32 s5, 0
	s_branch .LBB42_54
.LBB42_53:                              ;   in Loop: Header=BB42_54 Depth=1
	s_or_b32 exec_lo, exec_lo, s3
	s_waitcnt lgkmcnt(0)
	s_barrier
	buffer_gl0_inv
	ds_load_b32 v2, v8 offset:3084
	v_add_co_u32 v5, s3, 0x80, v5
	s_delay_alu instid0(VALU_DEP_1) | instskip(SKIP_3) | instid1(SALU_CYCLE_1)
	s_xor_b32 s3, s3, -1
	v_add_nc_u32_e32 v4, 0x400, v4
	v_add_nc_u32_e32 v6, 0x200, v6
	s_and_b32 s3, exec_lo, s3
	s_or_b32 s5, s3, s5
	s_waitcnt lgkmcnt(0)
	v_add_nc_u32_e32 v9, v2, v9
	s_and_not1_b32 exec_lo, exec_lo, s5
	s_cbranch_execz .LBB42_64
.LBB42_54:                              ; =>This Inner Loop Header: Depth=1
	ds_load_b32 v10, v6
	ds_load_2addr_b32 v[2:3], v4 offset1:1
	s_waitcnt lgkmcnt(0)
	s_barrier
	buffer_gl0_inv
	v_cmp_gt_i32_e64 s3, s14, v10
	s_delay_alu instid0(VALU_DEP_1) | instskip(NEXT) | instid1(SALU_CYCLE_1)
	s_bcnt1_i32_b32 s6, s3
	v_dual_mov_b32 v12, s6 :: v_dual_and_b32 v11, s3, v1
	s_delay_alu instid0(VALU_DEP_1)
	v_bcnt_u32_b32 v11, v11, 0
	ds_store_b32 v7, v12 offset:3072
	s_waitcnt lgkmcnt(0)
	s_barrier
	buffer_gl0_inv
	s_and_saveexec_b32 s6, s0
	s_cbranch_execnz .LBB42_59
; %bb.55:                               ;   in Loop: Header=BB42_54 Depth=1
	s_or_b32 exec_lo, exec_lo, s6
	s_and_saveexec_b32 s6, s1
	s_cbranch_execnz .LBB42_60
.LBB42_56:                              ;   in Loop: Header=BB42_54 Depth=1
	s_or_b32 exec_lo, exec_lo, s6
	s_and_saveexec_b32 s6, s2
	s_cbranch_execnz .LBB42_61
.LBB42_57:                              ;   in Loop: Header=BB42_54 Depth=1
	s_or_b32 exec_lo, exec_lo, s6
	s_and_saveexec_b32 s6, s3
	s_cbranch_execnz .LBB42_62
.LBB42_58:                              ;   in Loop: Header=BB42_54 Depth=1
	s_or_b32 exec_lo, exec_lo, s6
	s_and_saveexec_b32 s3, vcc_lo
	s_cbranch_execz .LBB42_53
	s_branch .LBB42_63
.LBB42_59:                              ;   in Loop: Header=BB42_54 Depth=1
	ds_load_b32 v12, v8 offset:3072
	s_waitcnt lgkmcnt(0)
	v_add_nc_u32_e32 v11, v12, v11
	s_or_b32 exec_lo, exec_lo, s6
	s_and_saveexec_b32 s6, s1
	s_cbranch_execz .LBB42_56
.LBB42_60:                              ;   in Loop: Header=BB42_54 Depth=1
	ds_load_b32 v12, v8 offset:3076
	s_waitcnt lgkmcnt(0)
	v_add_nc_u32_e32 v11, v12, v11
	s_or_b32 exec_lo, exec_lo, s6
	s_and_saveexec_b32 s6, s2
	s_cbranch_execz .LBB42_57
.LBB42_61:                              ;   in Loop: Header=BB42_54 Depth=1
	ds_load_b32 v12, v8 offset:3080
	s_waitcnt lgkmcnt(0)
	v_add_nc_u32_e32 v11, v12, v11
	s_or_b32 exec_lo, exec_lo, s6
	s_and_saveexec_b32 s6, s3
	s_cbranch_execz .LBB42_58
.LBB42_62:                              ;   in Loop: Header=BB42_54 Depth=1
	s_delay_alu instid0(VALU_DEP_1) | instskip(NEXT) | instid1(VALU_DEP_1)
	v_add3_u32 v12, v9, -1, v11
	v_lshlrev_b32_e32 v13, 3, v12
	v_lshl_add_u32 v12, v12, 2, 0
	s_delay_alu instid0(VALU_DEP_2)
	v_add3_u32 v13, 0, v13, 0x400
	ds_store_b32 v12, v10
	ds_store_2addr_b32 v13, v2, v3 offset1:1
	s_or_b32 exec_lo, exec_lo, s6
	s_and_saveexec_b32 s3, vcc_lo
	s_cbranch_execz .LBB42_53
.LBB42_63:                              ;   in Loop: Header=BB42_54 Depth=1
	ds_store_b32 v8, v11 offset:3084
	s_branch .LBB42_53
.LBB42_64:
	s_or_b32 exec_lo, exec_lo, s4
	s_ashr_i32 s9, s8, 31
	s_mov_b32 s3, exec_lo
	s_lshl_b64 s[0:1], s[8:9], 2
	s_delay_alu instid0(SALU_CYCLE_1) | instskip(SKIP_4) | instid1(SALU_CYCLE_1)
	s_add_u32 s0, s34, s0
	s_addc_u32 s1, s35, s1
	s_load_b64 s[0:1], s[0:1], 0x0
	s_waitcnt lgkmcnt(0)
	s_sub_i32 s2, s1, s0
	v_cmpx_gt_i32_e64 s2, v0
	s_cbranch_execz .LBB42_74
; %bb.65:
	s_sub_i32 s3, s0, s26
	s_sub_i32 s0, s0, s1
	s_and_b32 s1, s2, 7
	s_cmp_lt_u32 s0, -7
	s_mov_b32 s7, 0
	s_cselect_b32 s4, -1, 0
	s_and_b32 s5, s2, -8
	s_cmp_lg_u32 s1, 0
	s_cselect_b32 s6, -1, 0
	s_branch .LBB42_67
.LBB42_66:                              ;   in Loop: Header=BB42_67 Depth=1
	s_waitcnt lgkmcnt(1)
	s_delay_alu instid0(VALU_DEP_1) | instskip(SKIP_1) | instid1(VALU_DEP_2)
	v_ashrrev_i32_e32 v4, 31, v3
	v_add_nc_u32_e32 v0, 0x80, v0
	v_lshlrev_b64 v[3:4], 3, v[3:4]
	s_delay_alu instid0(VALU_DEP_2) | instskip(SKIP_1) | instid1(VALU_DEP_2)
	v_cmp_le_i32_e32 vcc_lo, s2, v0
	s_or_b32 s7, vcc_lo, s7
	v_add_co_u32 v3, s0, s12, v3
	s_delay_alu instid0(VALU_DEP_1)
	v_add_co_ci_u32_e64 v4, s0, s13, v4, s0
	s_waitcnt lgkmcnt(0)
	global_store_b64 v[3:4], v[1:2], off
	s_and_not1_b32 exec_lo, exec_lo, s7
	s_cbranch_execz .LBB42_74
.LBB42_67:                              ; =>This Loop Header: Depth=1
                                        ;     Child Loop BB42_69 Depth 2
                                        ;     Child Loop BB42_73 Depth 2
	v_lshlrev_b32_e32 v1, 2, v0
	s_and_not1_b32 vcc_lo, exec_lo, s4
	s_mov_b32 s0, 0
	s_delay_alu instid0(VALU_DEP_1) | instskip(NEXT) | instid1(VALU_DEP_1)
	v_dual_mov_b32 v3, s3 :: v_dual_add_nc_u32 v2, 0, v1
	v_add3_u32 v1, v2, v1, 0x400
	ds_load_b32 v4, v2
	ds_load_2addr_b32 v[1:2], v1 offset1:1
	s_cbranch_vccnz .LBB42_71
; %bb.68:                               ;   in Loop: Header=BB42_67 Depth=1
	v_mov_b32_e32 v3, s3
	s_mov_b32 s8, 0
	s_set_inst_prefetch_distance 0x1
	.p2align	6
.LBB42_69:                              ;   Parent Loop BB42_67 Depth=1
                                        ; =>  This Inner Loop Header: Depth=2
	v_mov_b32_e32 v11, s8
	s_add_i32 s0, s0, 8
	s_add_i32 s8, s8, 32
	s_cmp_eq_u32 s5, s0
	ds_load_2addr_b32 v[5:6], v11 offset1:1
	ds_load_2addr_b32 v[7:8], v11 offset0:2 offset1:3
	ds_load_2addr_b32 v[9:10], v11 offset0:4 offset1:5
	ds_load_2addr_b32 v[11:12], v11 offset0:6 offset1:7
	s_waitcnt lgkmcnt(3)
	v_cmp_gt_i32_e32 vcc_lo, v4, v5
	v_cndmask_b32_e64 v5, 0, 1, vcc_lo
	s_waitcnt lgkmcnt(2)
	v_cmp_gt_i32_e32 vcc_lo, v4, v7
	v_cndmask_b32_e64 v7, 0, 1, vcc_lo
	v_cmp_gt_i32_e32 vcc_lo, v4, v6
	v_add_co_ci_u32_e32 v3, vcc_lo, v3, v5, vcc_lo
	s_waitcnt lgkmcnt(1)
	v_cmp_gt_i32_e32 vcc_lo, v4, v9
	v_cndmask_b32_e64 v5, 0, 1, vcc_lo
	v_cmp_gt_i32_e32 vcc_lo, v4, v8
	v_add_co_ci_u32_e32 v3, vcc_lo, v3, v7, vcc_lo
	s_waitcnt lgkmcnt(0)
	v_cmp_gt_i32_e32 vcc_lo, v4, v11
	v_cndmask_b32_e64 v6, 0, 1, vcc_lo
	v_cmp_gt_i32_e32 vcc_lo, v4, v10
	v_add_co_ci_u32_e32 v3, vcc_lo, v3, v5, vcc_lo
	v_cmp_gt_i32_e32 vcc_lo, v4, v12
	s_delay_alu instid0(VALU_DEP_2)
	v_add_co_ci_u32_e32 v3, vcc_lo, v3, v6, vcc_lo
	s_cbranch_scc0 .LBB42_69
; %bb.70:                               ;   in Loop: Header=BB42_67 Depth=1
	s_set_inst_prefetch_distance 0x2
	s_mov_b32 s0, s5
.LBB42_71:                              ;   in Loop: Header=BB42_67 Depth=1
	s_and_not1_b32 vcc_lo, exec_lo, s6
	s_cbranch_vccnz .LBB42_66
; %bb.72:                               ;   in Loop: Header=BB42_67 Depth=1
	s_lshl_b32 s0, s0, 2
	s_mov_b32 s8, s1
	s_add_i32 s0, s0, 0
.LBB42_73:                              ;   Parent Loop BB42_67 Depth=1
                                        ; =>  This Inner Loop Header: Depth=2
	s_delay_alu instid0(SALU_CYCLE_1)
	v_mov_b32_e32 v5, s0
	s_add_i32 s8, s8, -1
	s_add_i32 s0, s0, 4
	s_cmp_lg_u32 s8, 0
	ds_load_b32 v5, v5
	s_waitcnt lgkmcnt(0)
	v_cmp_gt_i32_e32 vcc_lo, v4, v5
	v_add_co_ci_u32_e32 v3, vcc_lo, 0, v3, vcc_lo
	s_cbranch_scc1 .LBB42_73
	s_branch .LBB42_66
.LBB42_74:
	s_nop 0
	s_sendmsg sendmsg(MSG_DEALLOC_VGPRS)
	s_endpgm
	.section	.rodata,"a",@progbits
	.p2align	6, 0x0
	.amdhsa_kernel _ZN9rocsparseL41csrgemm_numeric_fill_block_per_row_kernelILj128ELj16ELj256ELj137ELj32Eii21rocsparse_complex_numIfEEEvT5_PKS3_S5_NS_24const_host_device_scalarIT6_EEPKT4_S5_PKS7_SB_S5_SD_S8_SB_S5_SD_SB_S5_PS7_21rocsparse_index_base_SF_SF_SF_bbb
		.amdhsa_group_segment_fixed_size 0
		.amdhsa_private_segment_fixed_size 0
		.amdhsa_kernarg_size 156
		.amdhsa_user_sgpr_count 15
		.amdhsa_user_sgpr_dispatch_ptr 0
		.amdhsa_user_sgpr_queue_ptr 0
		.amdhsa_user_sgpr_kernarg_segment_ptr 1
		.amdhsa_user_sgpr_dispatch_id 0
		.amdhsa_user_sgpr_private_segment_size 0
		.amdhsa_wavefront_size32 1
		.amdhsa_uses_dynamic_stack 0
		.amdhsa_enable_private_segment 0
		.amdhsa_system_sgpr_workgroup_id_x 1
		.amdhsa_system_sgpr_workgroup_id_y 0
		.amdhsa_system_sgpr_workgroup_id_z 0
		.amdhsa_system_sgpr_workgroup_info 0
		.amdhsa_system_vgpr_workitem_id 0
		.amdhsa_next_free_vgpr 16
		.amdhsa_next_free_sgpr 44
		.amdhsa_reserve_vcc 1
		.amdhsa_float_round_mode_32 0
		.amdhsa_float_round_mode_16_64 0
		.amdhsa_float_denorm_mode_32 3
		.amdhsa_float_denorm_mode_16_64 3
		.amdhsa_dx10_clamp 1
		.amdhsa_ieee_mode 1
		.amdhsa_fp16_overflow 0
		.amdhsa_workgroup_processor_mode 1
		.amdhsa_memory_ordered 1
		.amdhsa_forward_progress 0
		.amdhsa_shared_vgpr_count 0
		.amdhsa_exception_fp_ieee_invalid_op 0
		.amdhsa_exception_fp_denorm_src 0
		.amdhsa_exception_fp_ieee_div_zero 0
		.amdhsa_exception_fp_ieee_overflow 0
		.amdhsa_exception_fp_ieee_underflow 0
		.amdhsa_exception_fp_ieee_inexact 0
		.amdhsa_exception_int_div_zero 0
	.end_amdhsa_kernel
	.section	.text._ZN9rocsparseL41csrgemm_numeric_fill_block_per_row_kernelILj128ELj16ELj256ELj137ELj32Eii21rocsparse_complex_numIfEEEvT5_PKS3_S5_NS_24const_host_device_scalarIT6_EEPKT4_S5_PKS7_SB_S5_SD_S8_SB_S5_SD_SB_S5_PS7_21rocsparse_index_base_SF_SF_SF_bbb,"axG",@progbits,_ZN9rocsparseL41csrgemm_numeric_fill_block_per_row_kernelILj128ELj16ELj256ELj137ELj32Eii21rocsparse_complex_numIfEEEvT5_PKS3_S5_NS_24const_host_device_scalarIT6_EEPKT4_S5_PKS7_SB_S5_SD_S8_SB_S5_SD_SB_S5_PS7_21rocsparse_index_base_SF_SF_SF_bbb,comdat
.Lfunc_end42:
	.size	_ZN9rocsparseL41csrgemm_numeric_fill_block_per_row_kernelILj128ELj16ELj256ELj137ELj32Eii21rocsparse_complex_numIfEEEvT5_PKS3_S5_NS_24const_host_device_scalarIT6_EEPKT4_S5_PKS7_SB_S5_SD_S8_SB_S5_SD_SB_S5_PS7_21rocsparse_index_base_SF_SF_SF_bbb, .Lfunc_end42-_ZN9rocsparseL41csrgemm_numeric_fill_block_per_row_kernelILj128ELj16ELj256ELj137ELj32Eii21rocsparse_complex_numIfEEEvT5_PKS3_S5_NS_24const_host_device_scalarIT6_EEPKT4_S5_PKS7_SB_S5_SD_S8_SB_S5_SD_SB_S5_PS7_21rocsparse_index_base_SF_SF_SF_bbb
                                        ; -- End function
	.section	.AMDGPU.csdata,"",@progbits
; Kernel info:
; codeLenInByte = 2744
; NumSgprs: 46
; NumVgprs: 16
; ScratchSize: 0
; MemoryBound: 0
; FloatMode: 240
; IeeeMode: 1
; LDSByteSize: 0 bytes/workgroup (compile time only)
; SGPRBlocks: 5
; VGPRBlocks: 1
; NumSGPRsForWavesPerEU: 46
; NumVGPRsForWavesPerEU: 16
; Occupancy: 16
; WaveLimiterHint : 1
; COMPUTE_PGM_RSRC2:SCRATCH_EN: 0
; COMPUTE_PGM_RSRC2:USER_SGPR: 15
; COMPUTE_PGM_RSRC2:TRAP_HANDLER: 0
; COMPUTE_PGM_RSRC2:TGID_X_EN: 1
; COMPUTE_PGM_RSRC2:TGID_Y_EN: 0
; COMPUTE_PGM_RSRC2:TGID_Z_EN: 0
; COMPUTE_PGM_RSRC2:TIDIG_COMP_CNT: 0
	.section	.text._ZN9rocsparseL41csrgemm_numeric_fill_block_per_row_kernelILj128ELj16ELj256ELj137ELj64Eii21rocsparse_complex_numIfEEEvT5_PKS3_S5_NS_24const_host_device_scalarIT6_EEPKT4_S5_PKS7_SB_S5_SD_S8_SB_S5_SD_SB_S5_PS7_21rocsparse_index_base_SF_SF_SF_bbb,"axG",@progbits,_ZN9rocsparseL41csrgemm_numeric_fill_block_per_row_kernelILj128ELj16ELj256ELj137ELj64Eii21rocsparse_complex_numIfEEEvT5_PKS3_S5_NS_24const_host_device_scalarIT6_EEPKT4_S5_PKS7_SB_S5_SD_S8_SB_S5_SD_SB_S5_PS7_21rocsparse_index_base_SF_SF_SF_bbb,comdat
	.globl	_ZN9rocsparseL41csrgemm_numeric_fill_block_per_row_kernelILj128ELj16ELj256ELj137ELj64Eii21rocsparse_complex_numIfEEEvT5_PKS3_S5_NS_24const_host_device_scalarIT6_EEPKT4_S5_PKS7_SB_S5_SD_S8_SB_S5_SD_SB_S5_PS7_21rocsparse_index_base_SF_SF_SF_bbb ; -- Begin function _ZN9rocsparseL41csrgemm_numeric_fill_block_per_row_kernelILj128ELj16ELj256ELj137ELj64Eii21rocsparse_complex_numIfEEEvT5_PKS3_S5_NS_24const_host_device_scalarIT6_EEPKT4_S5_PKS7_SB_S5_SD_S8_SB_S5_SD_SB_S5_PS7_21rocsparse_index_base_SF_SF_SF_bbb
	.p2align	8
	.type	_ZN9rocsparseL41csrgemm_numeric_fill_block_per_row_kernelILj128ELj16ELj256ELj137ELj64Eii21rocsparse_complex_numIfEEEvT5_PKS3_S5_NS_24const_host_device_scalarIT6_EEPKT4_S5_PKS7_SB_S5_SD_S8_SB_S5_SD_SB_S5_PS7_21rocsparse_index_base_SF_SF_SF_bbb,@function
_ZN9rocsparseL41csrgemm_numeric_fill_block_per_row_kernelILj128ELj16ELj256ELj137ELj64Eii21rocsparse_complex_numIfEEEvT5_PKS3_S5_NS_24const_host_device_scalarIT6_EEPKT4_S5_PKS7_SB_S5_SD_S8_SB_S5_SD_SB_S5_PS7_21rocsparse_index_base_SF_SF_SF_bbb: ; @_ZN9rocsparseL41csrgemm_numeric_fill_block_per_row_kernelILj128ELj16ELj256ELj137ELj64Eii21rocsparse_complex_numIfEEEvT5_PKS3_S5_NS_24const_host_device_scalarIT6_EEPKT4_S5_PKS7_SB_S5_SD_S8_SB_S5_SD_SB_S5_PS7_21rocsparse_index_base_SF_SF_SF_bbb
; %bb.0:
	s_clause 0x7
	s_load_b32 s14, s[0:1], 0x98
	s_load_b64 s[12:13], s[0:1], 0x70
	s_load_b128 s[28:31], s[0:1], 0x60
	s_load_b256 s[4:11], s[0:1], 0x40
	s_load_b128 s[36:39], s[0:1], 0x8
	s_load_b256 s[16:23], s[0:1], 0x20
	s_load_b64 s[2:3], s[0:1], 0x80
	s_load_b128 s[24:27], s[0:1], 0x88
	s_mov_b32 s35, 0
	s_mov_b32 s40, 0
	s_waitcnt lgkmcnt(0)
	s_bitcmp1_b32 s14, 0
	s_cselect_b32 s42, -1, 0
	s_bitcmp1_b32 s14, 16
	s_cselect_b32 s33, -1, 0
	s_delay_alu instid0(SALU_CYCLE_1) | instskip(SKIP_2) | instid1(VALU_DEP_1)
	s_xor_b32 s33, s33, -1
	s_bitcmp0_b32 s14, 0
	v_cndmask_b32_e64 v1, 0, 1, s33
	v_cmp_ne_u32_e32 vcc_lo, 1, v1
	s_cbranch_scc1 .LBB43_5
; %bb.1:
	s_load_b64 s[34:35], s[0:1], 0x18
	s_and_b32 vcc_lo, exec_lo, vcc_lo
	s_waitcnt lgkmcnt(0)
	s_mov_b32 s40, s34
	s_cbranch_vccnz .LBB43_3
; %bb.2:
	s_load_b32 s40, s[34:35], 0x0
.LBB43_3:
	s_and_not1_b32 vcc_lo, exec_lo, s33
	s_cbranch_vccnz .LBB43_5
; %bb.4:
	s_load_b32 s35, s[34:35], 0x4
.LBB43_5:
	s_bitcmp1_b32 s14, 8
	s_mov_b32 s34, 0
	s_cselect_b32 s41, -1, 0
	s_bfe_u32 s14, s14, 0x10008
	s_mov_b32 s33, 0
	s_cmp_eq_u32 s14, 0
	s_cbranch_scc1 .LBB43_11
; %bb.6:
	v_cmp_ne_u32_e32 vcc_lo, 1, v1
	s_mov_b32 s33, s8
	s_cbranch_vccnz .LBB43_8
; %bb.7:
	s_load_b32 s33, s[8:9], 0x0
.LBB43_8:
	v_cmp_ne_u32_e32 vcc_lo, 1, v1
	s_cbranch_vccnz .LBB43_10
; %bb.9:
	s_load_b32 s9, s[8:9], 0x4
.LBB43_10:
	s_waitcnt lgkmcnt(0)
	s_mov_b32 s34, s9
.LBB43_11:
	s_load_b32 s14, s[0:1], 0x0
	v_cmp_gt_u32_e64 s0, 0x100, v0
	v_lshlrev_b32_e32 v7, 3, v0
	v_or_b32_e32 v5, 0xffffff80, v0
	v_lshl_add_u32 v6, v0, 2, 0
	s_delay_alu instid0(VALU_DEP_4)
	s_and_saveexec_b32 s1, s0
	s_cbranch_execz .LBB43_14
; %bb.12:
	v_add3_u32 v1, v7, 0, 0x400
	v_or_b32_e32 v2, 0xffffff80, v0
	v_lshl_add_u32 v3, v0, 2, 0
	s_waitcnt lgkmcnt(0)
	v_mov_b32_e32 v4, s14
	v_mov_b32_e32 v8, 0
	s_mov_b32 s8, 0
.LBB43_13:                              ; =>This Inner Loop Header: Depth=1
	v_add_co_u32 v2, s9, 0x80, v2
	s_delay_alu instid0(VALU_DEP_1)
	s_xor_b32 s9, s9, -1
	ds_store_b32 v3, v4
	ds_store_2addr_b32 v1, v8, v8 offset1:1
	v_add_nc_u32_e32 v1, 0x400, v1
	v_add_nc_u32_e32 v3, 0x200, v3
	s_and_b32 s9, exec_lo, s9
	s_delay_alu instid0(SALU_CYCLE_1) | instskip(NEXT) | instid1(SALU_CYCLE_1)
	s_or_b32 s8, s9, s8
	s_and_not1_b32 exec_lo, exec_lo, s8
	s_cbranch_execnz .LBB43_13
.LBB43_14:
	s_or_b32 exec_lo, exec_lo, s1
	s_waitcnt lgkmcnt(0)
	s_barrier
	buffer_gl0_inv
	s_load_b32 s1, s[36:37], 0x0
	s_mov_b32 s9, 0
	v_lshrrev_b32_e32 v8, 4, v0
	s_waitcnt lgkmcnt(0)
	s_add_i32 s8, s1, s15
	s_delay_alu instid0(SALU_CYCLE_1) | instskip(NEXT) | instid1(SALU_CYCLE_1)
	s_lshl_b64 s[8:9], s[8:9], 2
	s_add_u32 s8, s38, s8
	s_addc_u32 s9, s39, s9
	s_and_b32 vcc_lo, exec_lo, s42
	s_load_b32 s8, s[8:9], 0x0
	s_cbranch_vccz .LBB43_34
; %bb.15:
	s_waitcnt lgkmcnt(0)
	s_ashr_i32 s9, s8, 31
	v_subrev_nc_u32_e32 v1, s24, v8
	s_lshl_b64 s[36:37], s[8:9], 2
	s_mov_b32 s9, exec_lo
	s_add_u32 s16, s16, s36
	s_addc_u32 s17, s17, s37
	s_load_b64 s[16:17], s[16:17], 0x0
	s_waitcnt lgkmcnt(0)
	v_add_nc_u32_e32 v1, s16, v1
	s_sub_i32 s1, s17, s24
	s_delay_alu instid0(VALU_DEP_1) | instid1(SALU_CYCLE_1)
	v_cmpx_gt_i32_e64 s1, v1
	s_cbranch_execz .LBB43_33
; %bb.16:
	v_and_b32_e32 v2, 15, v0
	s_mov_b32 s15, 0
	s_delay_alu instid0(VALU_DEP_1)
	v_subrev_nc_u32_e32 v9, s25, v2
	s_branch .LBB43_18
.LBB43_17:                              ;   in Loop: Header=BB43_18 Depth=1
	s_or_b32 exec_lo, exec_lo, s16
	v_add_nc_u32_e32 v1, 8, v1
	s_delay_alu instid0(VALU_DEP_1) | instskip(SKIP_1) | instid1(SALU_CYCLE_1)
	v_cmp_le_i32_e32 vcc_lo, s1, v1
	s_or_b32 s15, vcc_lo, s15
	s_and_not1_b32 exec_lo, exec_lo, s15
	s_cbranch_execz .LBB43_33
.LBB43_18:                              ; =>This Loop Header: Depth=1
                                        ;     Child Loop BB43_21 Depth 2
                                        ;       Child Loop BB43_23 Depth 3
	v_ashrrev_i32_e32 v2, 31, v1
	s_mov_b32 s16, exec_lo
	s_delay_alu instid0(VALU_DEP_1) | instskip(NEXT) | instid1(VALU_DEP_1)
	v_lshlrev_b64 v[3:4], 2, v[1:2]
	v_add_co_u32 v3, vcc_lo, s18, v3
	s_delay_alu instid0(VALU_DEP_2) | instskip(SKIP_3) | instid1(VALU_DEP_1)
	v_add_co_ci_u32_e32 v4, vcc_lo, s19, v4, vcc_lo
	global_load_b32 v3, v[3:4], off
	s_waitcnt vmcnt(0)
	v_subrev_nc_u32_e32 v3, s24, v3
	v_ashrrev_i32_e32 v4, 31, v3
	s_delay_alu instid0(VALU_DEP_1) | instskip(NEXT) | instid1(VALU_DEP_1)
	v_lshlrev_b64 v[3:4], 2, v[3:4]
	v_add_co_u32 v3, vcc_lo, s22, v3
	s_delay_alu instid0(VALU_DEP_2) | instskip(SKIP_4) | instid1(VALU_DEP_1)
	v_add_co_ci_u32_e32 v4, vcc_lo, s23, v4, vcc_lo
	global_load_b64 v[3:4], v[3:4], off
	s_waitcnt vmcnt(0)
	v_subrev_nc_u32_e32 v10, s25, v4
	v_add_nc_u32_e32 v3, v3, v9
	v_cmpx_lt_i32_e64 v3, v10
	s_cbranch_execz .LBB43_17
; %bb.19:                               ;   in Loop: Header=BB43_18 Depth=1
	v_lshlrev_b64 v[11:12], 3, v[1:2]
	s_mov_b32 s17, 0
	s_delay_alu instid0(VALU_DEP_1) | instskip(NEXT) | instid1(VALU_DEP_2)
	v_add_co_u32 v11, vcc_lo, s20, v11
	v_add_co_ci_u32_e32 v12, vcc_lo, s21, v12, vcc_lo
	global_load_b64 v[12:13], v[11:12], off
	s_waitcnt vmcnt(0)
	v_mul_f32_e64 v2, v13, -s35
	s_delay_alu instid0(VALU_DEP_1) | instskip(NEXT) | instid1(VALU_DEP_1)
	v_dual_mul_f32 v11, s40, v13 :: v_dual_fmac_f32 v2, s40, v12
	v_fmac_f32_e32 v11, s35, v12
	s_branch .LBB43_21
.LBB43_20:                              ;   in Loop: Header=BB43_21 Depth=2
	s_or_b32 exec_lo, exec_lo, s36
	v_add_nc_u32_e32 v3, 16, v3
	s_delay_alu instid0(VALU_DEP_1) | instskip(SKIP_1) | instid1(SALU_CYCLE_1)
	v_cmp_ge_i32_e32 vcc_lo, v3, v10
	s_or_b32 s17, vcc_lo, s17
	s_and_not1_b32 exec_lo, exec_lo, s17
	s_cbranch_execz .LBB43_17
.LBB43_21:                              ;   Parent Loop BB43_18 Depth=1
                                        ; =>  This Loop Header: Depth=2
                                        ;       Child Loop BB43_23 Depth 3
	v_ashrrev_i32_e32 v4, 31, v3
	s_mov_b32 s36, 0
	s_delay_alu instid0(VALU_DEP_1) | instskip(SKIP_1) | instid1(VALU_DEP_2)
	v_lshlrev_b64 v[12:13], 2, v[3:4]
	v_lshlrev_b64 v[14:15], 3, v[3:4]
	v_add_co_u32 v12, vcc_lo, s4, v12
	s_delay_alu instid0(VALU_DEP_3)
	v_add_co_ci_u32_e32 v13, vcc_lo, s5, v13, vcc_lo
	global_load_b32 v4, v[12:13], off
	v_add_co_u32 v12, vcc_lo, s6, v14
	v_add_co_ci_u32_e32 v13, vcc_lo, s7, v15, vcc_lo
	global_load_b64 v[14:15], v[12:13], off
	s_waitcnt vmcnt(1)
	v_subrev_nc_u32_e32 v4, s25, v4
	s_delay_alu instid0(VALU_DEP_1) | instskip(SKIP_3) | instid1(VALU_DEP_2)
	v_mul_lo_u32 v16, 0x89, v4
	s_waitcnt vmcnt(0)
	v_mul_f32_e64 v12, v15, -v11
	v_mul_f32_e32 v13, v2, v15
	v_fmac_f32_e32 v12, v2, v14
	s_delay_alu instid0(VALU_DEP_2)
	v_dual_fmac_f32 v13, v11, v14 :: v_dual_and_b32 v14, 0xff, v16
	s_branch .LBB43_23
.LBB43_22:                              ;   in Loop: Header=BB43_23 Depth=3
	s_or_b32 exec_lo, exec_lo, s37
	s_xor_b32 s37, s38, -1
	s_delay_alu instid0(SALU_CYCLE_1) | instskip(NEXT) | instid1(SALU_CYCLE_1)
	s_and_b32 s37, exec_lo, s37
	s_or_b32 s36, s37, s36
	s_delay_alu instid0(SALU_CYCLE_1)
	s_and_not1_b32 exec_lo, exec_lo, s36
	s_cbranch_execz .LBB43_20
.LBB43_23:                              ;   Parent Loop BB43_18 Depth=1
                                        ;     Parent Loop BB43_21 Depth=2
                                        ; =>    This Inner Loop Header: Depth=3
	s_delay_alu instid0(VALU_DEP_1)
	v_lshl_add_u32 v15, v14, 2, 0
	s_mov_b32 s37, exec_lo
                                        ; implicit-def: $sgpr38
	ds_load_b32 v16, v15
	s_waitcnt lgkmcnt(0)
	v_cmpx_ne_u32_e64 v16, v4
	s_xor_b32 s37, exec_lo, s37
	s_cbranch_execz .LBB43_31
; %bb.24:                               ;   in Loop: Header=BB43_23 Depth=3
	s_mov_b32 s39, exec_lo
                                        ; implicit-def: $sgpr38
	v_cmpx_ne_u32_e64 s14, v16
	s_xor_b32 s39, exec_lo, s39
; %bb.25:                               ;   in Loop: Header=BB43_23 Depth=3
	v_add_nc_u32_e32 v14, 1, v14
	s_mov_b32 s38, -1
                                        ; implicit-def: $vgpr15
	s_delay_alu instid0(VALU_DEP_1)
	v_and_b32_e32 v14, 0xff, v14
; %bb.26:                               ;   in Loop: Header=BB43_23 Depth=3
	s_and_not1_saveexec_b32 s39, s39
	s_cbranch_execz .LBB43_30
; %bb.27:                               ;   in Loop: Header=BB43_23 Depth=3
	v_mov_b32_e32 v16, s14
	s_mov_b32 s42, -1
	s_mov_b32 s43, exec_lo
	ds_cmpstore_rtn_b32 v16, v15, v4, v16
	s_waitcnt lgkmcnt(0)
	v_cmpx_eq_u32_e64 s14, v16
	s_cbranch_execz .LBB43_29
; %bb.28:                               ;   in Loop: Header=BB43_23 Depth=3
	v_lshl_add_u32 v15, v14, 2, v15
	s_xor_b32 s42, exec_lo, -1
	ds_add_f32 v15, v12 offset:1024
	ds_add_f32 v15, v13 offset:1028
.LBB43_29:                              ;   in Loop: Header=BB43_23 Depth=3
	s_or_b32 exec_lo, exec_lo, s43
	s_delay_alu instid0(SALU_CYCLE_1) | instskip(SKIP_1) | instid1(SALU_CYCLE_1)
	s_and_not1_b32 s38, s38, exec_lo
	s_and_b32 s42, s42, exec_lo
	s_or_b32 s38, s38, s42
.LBB43_30:                              ;   in Loop: Header=BB43_23 Depth=3
	s_or_b32 exec_lo, exec_lo, s39
	s_delay_alu instid0(SALU_CYCLE_1)
	s_and_b32 s38, s38, exec_lo
                                        ; implicit-def: $vgpr15
.LBB43_31:                              ;   in Loop: Header=BB43_23 Depth=3
	s_and_not1_saveexec_b32 s37, s37
	s_cbranch_execz .LBB43_22
; %bb.32:                               ;   in Loop: Header=BB43_23 Depth=3
	v_lshl_add_u32 v15, v14, 2, v15
	s_and_not1_b32 s38, s38, exec_lo
	ds_add_f32 v15, v12 offset:1024
	ds_add_f32 v15, v13 offset:1028
	s_branch .LBB43_22
.LBB43_33:
	s_or_b32 exec_lo, exec_lo, s9
.LBB43_34:
	s_delay_alu instid0(SALU_CYCLE_1)
	s_and_not1_b32 vcc_lo, exec_lo, s41
	s_cbranch_vccnz .LBB43_51
; %bb.35:
	s_waitcnt lgkmcnt(0)
	s_ashr_i32 s9, s8, 31
	v_subrev_nc_u32_e32 v1, s27, v0
	s_lshl_b64 s[4:5], s[8:9], 2
	s_delay_alu instid0(SALU_CYCLE_1)
	s_add_u32 s4, s10, s4
	s_addc_u32 s5, s11, s5
	s_load_b64 s[4:5], s[4:5], 0x0
	s_waitcnt lgkmcnt(0)
	v_add_nc_u32_e32 v1, s4, v1
	s_sub_i32 s1, s5, s27
	s_mov_b32 s4, exec_lo
	s_delay_alu instid0(VALU_DEP_1)
	v_cmpx_gt_i32_e64 s1, v1
	s_cbranch_execz .LBB43_50
; %bb.36:
	s_mov_b32 s5, 0
	s_branch .LBB43_38
.LBB43_37:                              ;   in Loop: Header=BB43_38 Depth=1
	s_or_b32 exec_lo, exec_lo, s6
	v_add_nc_u32_e32 v1, 0x80, v1
	s_delay_alu instid0(VALU_DEP_1) | instskip(SKIP_1) | instid1(SALU_CYCLE_1)
	v_cmp_le_i32_e32 vcc_lo, s1, v1
	s_or_b32 s5, vcc_lo, s5
	s_and_not1_b32 exec_lo, exec_lo, s5
	s_cbranch_execz .LBB43_50
.LBB43_38:                              ; =>This Loop Header: Depth=1
                                        ;     Child Loop BB43_40 Depth 2
	v_ashrrev_i32_e32 v2, 31, v1
	s_mov_b32 s6, 0
	s_delay_alu instid0(VALU_DEP_1) | instskip(SKIP_1) | instid1(VALU_DEP_2)
	v_lshlrev_b64 v[3:4], 2, v[1:2]
	v_lshlrev_b64 v[9:10], 3, v[1:2]
	v_add_co_u32 v3, vcc_lo, s28, v3
	s_delay_alu instid0(VALU_DEP_3) | instskip(NEXT) | instid1(VALU_DEP_3)
	v_add_co_ci_u32_e32 v4, vcc_lo, s29, v4, vcc_lo
	v_add_co_u32 v2, vcc_lo, s30, v9
	global_load_b32 v4, v[3:4], off
	v_add_co_ci_u32_e32 v3, vcc_lo, s31, v10, vcc_lo
	global_load_b64 v[9:10], v[2:3], off
	s_waitcnt vmcnt(1)
	v_subrev_nc_u32_e32 v2, s27, v4
	s_delay_alu instid0(VALU_DEP_1) | instskip(SKIP_2) | instid1(VALU_DEP_1)
	v_mul_lo_u32 v11, 0x89, v2
	s_waitcnt vmcnt(0)
	v_mul_f32_e64 v3, v10, -s34
	v_dual_mul_f32 v4, s33, v10 :: v_dual_fmac_f32 v3, s33, v9
	s_delay_alu instid0(VALU_DEP_1)
	v_dual_fmac_f32 v4, s34, v9 :: v_dual_and_b32 v9, 0xff, v11
	s_branch .LBB43_40
.LBB43_39:                              ;   in Loop: Header=BB43_40 Depth=2
	s_or_b32 exec_lo, exec_lo, s7
	s_xor_b32 s7, s9, -1
	s_delay_alu instid0(SALU_CYCLE_1) | instskip(NEXT) | instid1(SALU_CYCLE_1)
	s_and_b32 s7, exec_lo, s7
	s_or_b32 s6, s7, s6
	s_delay_alu instid0(SALU_CYCLE_1)
	s_and_not1_b32 exec_lo, exec_lo, s6
	s_cbranch_execz .LBB43_37
.LBB43_40:                              ;   Parent Loop BB43_38 Depth=1
                                        ; =>  This Inner Loop Header: Depth=2
	s_delay_alu instid0(VALU_DEP_1)
	v_lshl_add_u32 v10, v9, 2, 0
	s_mov_b32 s7, exec_lo
                                        ; implicit-def: $sgpr9
	ds_load_b32 v11, v10
	s_waitcnt lgkmcnt(0)
	v_cmpx_ne_u32_e64 v11, v2
	s_xor_b32 s7, exec_lo, s7
	s_cbranch_execz .LBB43_48
; %bb.41:                               ;   in Loop: Header=BB43_40 Depth=2
	s_mov_b32 s10, exec_lo
                                        ; implicit-def: $sgpr9
	v_cmpx_ne_u32_e64 s14, v11
	s_xor_b32 s10, exec_lo, s10
; %bb.42:                               ;   in Loop: Header=BB43_40 Depth=2
	v_add_nc_u32_e32 v9, 1, v9
	s_mov_b32 s9, -1
                                        ; implicit-def: $vgpr10
	s_delay_alu instid0(VALU_DEP_1)
	v_and_b32_e32 v9, 0xff, v9
; %bb.43:                               ;   in Loop: Header=BB43_40 Depth=2
	s_and_not1_saveexec_b32 s10, s10
	s_cbranch_execz .LBB43_47
; %bb.44:                               ;   in Loop: Header=BB43_40 Depth=2
	v_mov_b32_e32 v11, s14
	s_mov_b32 s11, -1
	s_mov_b32 s15, exec_lo
	ds_cmpstore_rtn_b32 v11, v10, v2, v11
	s_waitcnt lgkmcnt(0)
	v_cmpx_eq_u32_e64 s14, v11
	s_cbranch_execz .LBB43_46
; %bb.45:                               ;   in Loop: Header=BB43_40 Depth=2
	v_lshl_add_u32 v10, v9, 2, v10
	s_xor_b32 s11, exec_lo, -1
	ds_add_f32 v10, v3 offset:1024
	ds_add_f32 v10, v4 offset:1028
.LBB43_46:                              ;   in Loop: Header=BB43_40 Depth=2
	s_or_b32 exec_lo, exec_lo, s15
	s_delay_alu instid0(SALU_CYCLE_1) | instskip(SKIP_1) | instid1(SALU_CYCLE_1)
	s_and_not1_b32 s9, s9, exec_lo
	s_and_b32 s11, s11, exec_lo
	s_or_b32 s9, s9, s11
.LBB43_47:                              ;   in Loop: Header=BB43_40 Depth=2
	s_or_b32 exec_lo, exec_lo, s10
	s_delay_alu instid0(SALU_CYCLE_1)
	s_and_b32 s9, s9, exec_lo
                                        ; implicit-def: $vgpr10
.LBB43_48:                              ;   in Loop: Header=BB43_40 Depth=2
	s_and_not1_saveexec_b32 s7, s7
	s_cbranch_execz .LBB43_39
; %bb.49:                               ;   in Loop: Header=BB43_40 Depth=2
	v_lshl_add_u32 v10, v9, 2, v10
	s_and_not1_b32 s9, s9, exec_lo
	ds_add_f32 v10, v3 offset:1024
	ds_add_f32 v10, v4 offset:1028
	s_branch .LBB43_39
.LBB43_50:
	s_or_b32 exec_lo, exec_lo, s4
.LBB43_51:
	s_waitcnt lgkmcnt(0)
	s_barrier
	buffer_gl0_inv
	s_and_saveexec_b32 s4, s0
	s_cbranch_execz .LBB43_60
; %bb.52:
	v_mbcnt_lo_u32_b32 v1, -1, 0
	v_dual_mov_b32 v9, 0 :: v_dual_and_b32 v2, 4, v8
	v_add3_u32 v4, v7, 0, 0x400
	v_cmp_lt_u32_e32 vcc_lo, 63, v0
	s_delay_alu instid0(VALU_DEP_4) | instskip(NEXT) | instid1(VALU_DEP_4)
	v_xor_b32_e32 v1, 63, v1
	v_dual_mov_b32 v8, 0 :: v_dual_add_nc_u32 v7, 0, v2
	v_cmp_eq_u32_e64 s0, 0x7f, v0
	s_mov_b32 s5, 0
	s_delay_alu instid0(VALU_DEP_3)
	v_lshrrev_b64 v[1:2], v1, -1
	s_branch .LBB43_54
.LBB43_53:                              ;   in Loop: Header=BB43_54 Depth=1
	s_or_b32 exec_lo, exec_lo, s1
	s_waitcnt lgkmcnt(0)
	s_barrier
	buffer_gl0_inv
	ds_load_b32 v2, v8 offset:3076
	v_add_co_u32 v5, s1, 0x80, v5
	s_delay_alu instid0(VALU_DEP_1) | instskip(SKIP_3) | instid1(SALU_CYCLE_1)
	s_xor_b32 s1, s1, -1
	v_add_nc_u32_e32 v4, 0x400, v4
	v_add_nc_u32_e32 v6, 0x200, v6
	s_and_b32 s1, exec_lo, s1
	s_or_b32 s5, s1, s5
	s_waitcnt lgkmcnt(0)
	v_add_nc_u32_e32 v9, v2, v9
	s_and_not1_b32 exec_lo, exec_lo, s5
	s_cbranch_execz .LBB43_60
.LBB43_54:                              ; =>This Inner Loop Header: Depth=1
	ds_load_b32 v10, v6
	ds_load_2addr_b32 v[2:3], v4 offset1:1
	s_waitcnt lgkmcnt(0)
	s_barrier
	buffer_gl0_inv
	v_cmp_gt_i32_e64 s1, s14, v10
	s_delay_alu instid0(VALU_DEP_1) | instskip(NEXT) | instid1(SALU_CYCLE_1)
	s_bcnt1_i32_b32 s6, s1
	v_dual_mov_b32 v12, s6 :: v_dual_and_b32 v11, s1, v1
	s_delay_alu instid0(VALU_DEP_1)
	v_bcnt_u32_b32 v11, v11, 0
	ds_store_b32 v7, v12 offset:3072
	s_waitcnt lgkmcnt(0)
	s_barrier
	buffer_gl0_inv
	s_and_saveexec_b32 s6, vcc_lo
	s_cbranch_execnz .LBB43_57
; %bb.55:                               ;   in Loop: Header=BB43_54 Depth=1
	s_or_b32 exec_lo, exec_lo, s6
	s_and_saveexec_b32 s6, s1
	s_cbranch_execnz .LBB43_58
.LBB43_56:                              ;   in Loop: Header=BB43_54 Depth=1
	s_or_b32 exec_lo, exec_lo, s6
	s_and_saveexec_b32 s1, s0
	s_cbranch_execz .LBB43_53
	s_branch .LBB43_59
.LBB43_57:                              ;   in Loop: Header=BB43_54 Depth=1
	ds_load_b32 v12, v8 offset:3072
	s_waitcnt lgkmcnt(0)
	v_add_nc_u32_e32 v11, v12, v11
	s_or_b32 exec_lo, exec_lo, s6
	s_and_saveexec_b32 s6, s1
	s_cbranch_execz .LBB43_56
.LBB43_58:                              ;   in Loop: Header=BB43_54 Depth=1
	s_delay_alu instid0(VALU_DEP_1) | instskip(NEXT) | instid1(VALU_DEP_1)
	v_add3_u32 v12, v9, -1, v11
	v_lshlrev_b32_e32 v13, 3, v12
	v_lshl_add_u32 v12, v12, 2, 0
	s_delay_alu instid0(VALU_DEP_2)
	v_add3_u32 v13, 0, v13, 0x400
	ds_store_b32 v12, v10
	ds_store_2addr_b32 v13, v2, v3 offset1:1
	s_or_b32 exec_lo, exec_lo, s6
	s_and_saveexec_b32 s1, s0
	s_cbranch_execz .LBB43_53
.LBB43_59:                              ;   in Loop: Header=BB43_54 Depth=1
	ds_store_b32 v8, v11 offset:3076
	s_branch .LBB43_53
.LBB43_60:
	s_or_b32 exec_lo, exec_lo, s4
	s_ashr_i32 s9, s8, 31
	s_mov_b32 s5, exec_lo
	s_lshl_b64 s[0:1], s[8:9], 2
	s_delay_alu instid0(SALU_CYCLE_1) | instskip(SKIP_4) | instid1(SALU_CYCLE_1)
	s_add_u32 s0, s12, s0
	s_addc_u32 s1, s13, s1
	s_load_b64 s[0:1], s[0:1], 0x0
	s_waitcnt lgkmcnt(0)
	s_sub_i32 s4, s1, s0
	v_cmpx_gt_i32_e64 s4, v0
	s_cbranch_execz .LBB43_70
; %bb.61:
	s_sub_i32 s5, s0, s26
	s_sub_i32 s0, s0, s1
	s_and_b32 s1, s4, 7
	s_cmp_lt_u32 s0, -7
	s_mov_b32 s9, 0
	s_cselect_b32 s6, -1, 0
	s_and_b32 s7, s4, -8
	s_cmp_lg_u32 s1, 0
	s_cselect_b32 s8, -1, 0
	s_branch .LBB43_63
.LBB43_62:                              ;   in Loop: Header=BB43_63 Depth=1
	s_waitcnt lgkmcnt(1)
	s_delay_alu instid0(VALU_DEP_1) | instskip(SKIP_1) | instid1(VALU_DEP_2)
	v_ashrrev_i32_e32 v4, 31, v3
	v_add_nc_u32_e32 v0, 0x80, v0
	v_lshlrev_b64 v[3:4], 3, v[3:4]
	s_delay_alu instid0(VALU_DEP_2) | instskip(SKIP_1) | instid1(VALU_DEP_2)
	v_cmp_le_i32_e32 vcc_lo, s4, v0
	s_or_b32 s9, vcc_lo, s9
	v_add_co_u32 v3, s0, s2, v3
	s_delay_alu instid0(VALU_DEP_1)
	v_add_co_ci_u32_e64 v4, s0, s3, v4, s0
	s_waitcnt lgkmcnt(0)
	global_store_b64 v[3:4], v[1:2], off
	s_and_not1_b32 exec_lo, exec_lo, s9
	s_cbranch_execz .LBB43_70
.LBB43_63:                              ; =>This Loop Header: Depth=1
                                        ;     Child Loop BB43_65 Depth 2
                                        ;     Child Loop BB43_69 Depth 2
	v_lshlrev_b32_e32 v1, 2, v0
	s_and_not1_b32 vcc_lo, exec_lo, s6
	s_mov_b32 s0, 0
	s_delay_alu instid0(VALU_DEP_1) | instskip(NEXT) | instid1(VALU_DEP_1)
	v_dual_mov_b32 v3, s5 :: v_dual_add_nc_u32 v2, 0, v1
	v_add3_u32 v1, v2, v1, 0x400
	ds_load_b32 v4, v2
	ds_load_2addr_b32 v[1:2], v1 offset1:1
	s_cbranch_vccnz .LBB43_67
; %bb.64:                               ;   in Loop: Header=BB43_63 Depth=1
	v_mov_b32_e32 v3, s5
	s_mov_b32 s10, 0
	s_set_inst_prefetch_distance 0x1
	.p2align	6
.LBB43_65:                              ;   Parent Loop BB43_63 Depth=1
                                        ; =>  This Inner Loop Header: Depth=2
	v_mov_b32_e32 v11, s10
	s_add_i32 s0, s0, 8
	s_add_i32 s10, s10, 32
	s_cmp_eq_u32 s7, s0
	ds_load_2addr_b32 v[5:6], v11 offset1:1
	ds_load_2addr_b32 v[7:8], v11 offset0:2 offset1:3
	ds_load_2addr_b32 v[9:10], v11 offset0:4 offset1:5
	;; [unrolled: 1-line block ×3, first 2 shown]
	s_waitcnt lgkmcnt(3)
	v_cmp_gt_i32_e32 vcc_lo, v4, v5
	v_cndmask_b32_e64 v5, 0, 1, vcc_lo
	s_waitcnt lgkmcnt(2)
	v_cmp_gt_i32_e32 vcc_lo, v4, v7
	v_cndmask_b32_e64 v7, 0, 1, vcc_lo
	v_cmp_gt_i32_e32 vcc_lo, v4, v6
	v_add_co_ci_u32_e32 v3, vcc_lo, v3, v5, vcc_lo
	s_waitcnt lgkmcnt(1)
	v_cmp_gt_i32_e32 vcc_lo, v4, v9
	v_cndmask_b32_e64 v5, 0, 1, vcc_lo
	v_cmp_gt_i32_e32 vcc_lo, v4, v8
	v_add_co_ci_u32_e32 v3, vcc_lo, v3, v7, vcc_lo
	;; [unrolled: 5-line block ×3, first 2 shown]
	v_cmp_gt_i32_e32 vcc_lo, v4, v12
	s_delay_alu instid0(VALU_DEP_2)
	v_add_co_ci_u32_e32 v3, vcc_lo, v3, v6, vcc_lo
	s_cbranch_scc0 .LBB43_65
; %bb.66:                               ;   in Loop: Header=BB43_63 Depth=1
	s_set_inst_prefetch_distance 0x2
	s_mov_b32 s0, s7
.LBB43_67:                              ;   in Loop: Header=BB43_63 Depth=1
	s_and_not1_b32 vcc_lo, exec_lo, s8
	s_cbranch_vccnz .LBB43_62
; %bb.68:                               ;   in Loop: Header=BB43_63 Depth=1
	s_lshl_b32 s0, s0, 2
	s_mov_b32 s10, s1
	s_add_i32 s0, s0, 0
.LBB43_69:                              ;   Parent Loop BB43_63 Depth=1
                                        ; =>  This Inner Loop Header: Depth=2
	s_delay_alu instid0(SALU_CYCLE_1)
	v_mov_b32_e32 v5, s0
	s_add_i32 s10, s10, -1
	s_add_i32 s0, s0, 4
	s_cmp_lg_u32 s10, 0
	ds_load_b32 v5, v5
	s_waitcnt lgkmcnt(0)
	v_cmp_gt_i32_e32 vcc_lo, v4, v5
	v_add_co_ci_u32_e32 v3, vcc_lo, 0, v3, vcc_lo
	s_cbranch_scc1 .LBB43_69
	s_branch .LBB43_62
.LBB43_70:
	s_nop 0
	s_sendmsg sendmsg(MSG_DEALLOC_VGPRS)
	s_endpgm
	.section	.rodata,"a",@progbits
	.p2align	6, 0x0
	.amdhsa_kernel _ZN9rocsparseL41csrgemm_numeric_fill_block_per_row_kernelILj128ELj16ELj256ELj137ELj64Eii21rocsparse_complex_numIfEEEvT5_PKS3_S5_NS_24const_host_device_scalarIT6_EEPKT4_S5_PKS7_SB_S5_SD_S8_SB_S5_SD_SB_S5_PS7_21rocsparse_index_base_SF_SF_SF_bbb
		.amdhsa_group_segment_fixed_size 0
		.amdhsa_private_segment_fixed_size 0
		.amdhsa_kernarg_size 156
		.amdhsa_user_sgpr_count 15
		.amdhsa_user_sgpr_dispatch_ptr 0
		.amdhsa_user_sgpr_queue_ptr 0
		.amdhsa_user_sgpr_kernarg_segment_ptr 1
		.amdhsa_user_sgpr_dispatch_id 0
		.amdhsa_user_sgpr_private_segment_size 0
		.amdhsa_wavefront_size32 1
		.amdhsa_uses_dynamic_stack 0
		.amdhsa_enable_private_segment 0
		.amdhsa_system_sgpr_workgroup_id_x 1
		.amdhsa_system_sgpr_workgroup_id_y 0
		.amdhsa_system_sgpr_workgroup_id_z 0
		.amdhsa_system_sgpr_workgroup_info 0
		.amdhsa_system_vgpr_workitem_id 0
		.amdhsa_next_free_vgpr 17
		.amdhsa_next_free_sgpr 44
		.amdhsa_reserve_vcc 1
		.amdhsa_float_round_mode_32 0
		.amdhsa_float_round_mode_16_64 0
		.amdhsa_float_denorm_mode_32 3
		.amdhsa_float_denorm_mode_16_64 3
		.amdhsa_dx10_clamp 1
		.amdhsa_ieee_mode 1
		.amdhsa_fp16_overflow 0
		.amdhsa_workgroup_processor_mode 1
		.amdhsa_memory_ordered 1
		.amdhsa_forward_progress 0
		.amdhsa_shared_vgpr_count 0
		.amdhsa_exception_fp_ieee_invalid_op 0
		.amdhsa_exception_fp_denorm_src 0
		.amdhsa_exception_fp_ieee_div_zero 0
		.amdhsa_exception_fp_ieee_overflow 0
		.amdhsa_exception_fp_ieee_underflow 0
		.amdhsa_exception_fp_ieee_inexact 0
		.amdhsa_exception_int_div_zero 0
	.end_amdhsa_kernel
	.section	.text._ZN9rocsparseL41csrgemm_numeric_fill_block_per_row_kernelILj128ELj16ELj256ELj137ELj64Eii21rocsparse_complex_numIfEEEvT5_PKS3_S5_NS_24const_host_device_scalarIT6_EEPKT4_S5_PKS7_SB_S5_SD_S8_SB_S5_SD_SB_S5_PS7_21rocsparse_index_base_SF_SF_SF_bbb,"axG",@progbits,_ZN9rocsparseL41csrgemm_numeric_fill_block_per_row_kernelILj128ELj16ELj256ELj137ELj64Eii21rocsparse_complex_numIfEEEvT5_PKS3_S5_NS_24const_host_device_scalarIT6_EEPKT4_S5_PKS7_SB_S5_SD_S8_SB_S5_SD_SB_S5_PS7_21rocsparse_index_base_SF_SF_SF_bbb,comdat
.Lfunc_end43:
	.size	_ZN9rocsparseL41csrgemm_numeric_fill_block_per_row_kernelILj128ELj16ELj256ELj137ELj64Eii21rocsparse_complex_numIfEEEvT5_PKS3_S5_NS_24const_host_device_scalarIT6_EEPKT4_S5_PKS7_SB_S5_SD_S8_SB_S5_SD_SB_S5_PS7_21rocsparse_index_base_SF_SF_SF_bbb, .Lfunc_end43-_ZN9rocsparseL41csrgemm_numeric_fill_block_per_row_kernelILj128ELj16ELj256ELj137ELj64Eii21rocsparse_complex_numIfEEEvT5_PKS3_S5_NS_24const_host_device_scalarIT6_EEPKT4_S5_PKS7_SB_S5_SD_S8_SB_S5_SD_SB_S5_PS7_21rocsparse_index_base_SF_SF_SF_bbb
                                        ; -- End function
	.section	.AMDGPU.csdata,"",@progbits
; Kernel info:
; codeLenInByte = 2640
; NumSgprs: 46
; NumVgprs: 17
; ScratchSize: 0
; MemoryBound: 0
; FloatMode: 240
; IeeeMode: 1
; LDSByteSize: 0 bytes/workgroup (compile time only)
; SGPRBlocks: 5
; VGPRBlocks: 2
; NumSGPRsForWavesPerEU: 46
; NumVGPRsForWavesPerEU: 17
; Occupancy: 16
; WaveLimiterHint : 1
; COMPUTE_PGM_RSRC2:SCRATCH_EN: 0
; COMPUTE_PGM_RSRC2:USER_SGPR: 15
; COMPUTE_PGM_RSRC2:TRAP_HANDLER: 0
; COMPUTE_PGM_RSRC2:TGID_X_EN: 1
; COMPUTE_PGM_RSRC2:TGID_Y_EN: 0
; COMPUTE_PGM_RSRC2:TGID_Z_EN: 0
; COMPUTE_PGM_RSRC2:TIDIG_COMP_CNT: 0
	.section	.text._ZN9rocsparseL41csrgemm_numeric_fill_block_per_row_kernelILj256ELj32ELj512ELj137ELj32Eii21rocsparse_complex_numIfEEEvT5_PKS3_S5_NS_24const_host_device_scalarIT6_EEPKT4_S5_PKS7_SB_S5_SD_S8_SB_S5_SD_SB_S5_PS7_21rocsparse_index_base_SF_SF_SF_bbb,"axG",@progbits,_ZN9rocsparseL41csrgemm_numeric_fill_block_per_row_kernelILj256ELj32ELj512ELj137ELj32Eii21rocsparse_complex_numIfEEEvT5_PKS3_S5_NS_24const_host_device_scalarIT6_EEPKT4_S5_PKS7_SB_S5_SD_S8_SB_S5_SD_SB_S5_PS7_21rocsparse_index_base_SF_SF_SF_bbb,comdat
	.globl	_ZN9rocsparseL41csrgemm_numeric_fill_block_per_row_kernelILj256ELj32ELj512ELj137ELj32Eii21rocsparse_complex_numIfEEEvT5_PKS3_S5_NS_24const_host_device_scalarIT6_EEPKT4_S5_PKS7_SB_S5_SD_S8_SB_S5_SD_SB_S5_PS7_21rocsparse_index_base_SF_SF_SF_bbb ; -- Begin function _ZN9rocsparseL41csrgemm_numeric_fill_block_per_row_kernelILj256ELj32ELj512ELj137ELj32Eii21rocsparse_complex_numIfEEEvT5_PKS3_S5_NS_24const_host_device_scalarIT6_EEPKT4_S5_PKS7_SB_S5_SD_S8_SB_S5_SD_SB_S5_PS7_21rocsparse_index_base_SF_SF_SF_bbb
	.p2align	8
	.type	_ZN9rocsparseL41csrgemm_numeric_fill_block_per_row_kernelILj256ELj32ELj512ELj137ELj32Eii21rocsparse_complex_numIfEEEvT5_PKS3_S5_NS_24const_host_device_scalarIT6_EEPKT4_S5_PKS7_SB_S5_SD_S8_SB_S5_SD_SB_S5_PS7_21rocsparse_index_base_SF_SF_SF_bbb,@function
_ZN9rocsparseL41csrgemm_numeric_fill_block_per_row_kernelILj256ELj32ELj512ELj137ELj32Eii21rocsparse_complex_numIfEEEvT5_PKS3_S5_NS_24const_host_device_scalarIT6_EEPKT4_S5_PKS7_SB_S5_SD_S8_SB_S5_SD_SB_S5_PS7_21rocsparse_index_base_SF_SF_SF_bbb: ; @_ZN9rocsparseL41csrgemm_numeric_fill_block_per_row_kernelILj256ELj32ELj512ELj137ELj32Eii21rocsparse_complex_numIfEEEvT5_PKS3_S5_NS_24const_host_device_scalarIT6_EEPKT4_S5_PKS7_SB_S5_SD_S8_SB_S5_SD_SB_S5_PS7_21rocsparse_index_base_SF_SF_SF_bbb
; %bb.0:
	s_clause 0x7
	s_load_b32 s14, s[0:1], 0x98
	s_load_b64 s[34:35], s[0:1], 0x70
	s_load_b128 s[28:31], s[0:1], 0x60
	s_load_b256 s[4:11], s[0:1], 0x40
	s_load_b128 s[36:39], s[0:1], 0x8
	s_load_b256 s[16:23], s[0:1], 0x20
	s_load_b64 s[12:13], s[0:1], 0x80
	s_load_b128 s[24:27], s[0:1], 0x88
	s_mov_b32 s3, 0
	s_mov_b32 s40, 0
	s_waitcnt lgkmcnt(0)
	s_bitcmp1_b32 s14, 0
	s_cselect_b32 s42, -1, 0
	s_bitcmp1_b32 s14, 16
	s_cselect_b32 s2, -1, 0
	s_delay_alu instid0(SALU_CYCLE_1) | instskip(SKIP_2) | instid1(VALU_DEP_1)
	s_xor_b32 s33, s2, -1
	s_bitcmp0_b32 s14, 0
	v_cndmask_b32_e64 v1, 0, 1, s33
	v_cmp_ne_u32_e32 vcc_lo, 1, v1
	s_cbranch_scc1 .LBB44_5
; %bb.1:
	s_load_b64 s[2:3], s[0:1], 0x18
	s_and_b32 vcc_lo, exec_lo, vcc_lo
	s_waitcnt lgkmcnt(0)
	s_mov_b32 s40, s2
	s_cbranch_vccnz .LBB44_3
; %bb.2:
	s_load_b32 s40, s[2:3], 0x0
.LBB44_3:
	s_and_not1_b32 vcc_lo, exec_lo, s33
	s_cbranch_vccnz .LBB44_5
; %bb.4:
	s_load_b32 s3, s[2:3], 0x4
.LBB44_5:
	s_bitcmp1_b32 s14, 8
	s_mov_b32 s33, 0
	s_cselect_b32 s41, -1, 0
	s_bfe_u32 s2, s14, 0x10008
	s_delay_alu instid0(SALU_CYCLE_1)
	s_cmp_eq_u32 s2, 0
	s_mov_b32 s2, 0
	s_cbranch_scc1 .LBB44_11
; %bb.6:
	v_cmp_ne_u32_e32 vcc_lo, 1, v1
	s_mov_b32 s2, s8
	s_cbranch_vccnz .LBB44_8
; %bb.7:
	s_load_b32 s2, s[8:9], 0x0
.LBB44_8:
	v_cmp_ne_u32_e32 vcc_lo, 1, v1
	s_cbranch_vccnz .LBB44_10
; %bb.9:
	s_load_b32 s9, s[8:9], 0x4
.LBB44_10:
	s_waitcnt lgkmcnt(0)
	s_mov_b32 s33, s9
.LBB44_11:
	s_load_b32 s14, s[0:1], 0x0
	v_cmp_gt_u32_e64 s0, 0x200, v0
	v_lshlrev_b32_e32 v7, 3, v0
	v_or_b32_e32 v5, 0xffffff00, v0
	v_lshl_add_u32 v6, v0, 2, 0
	s_delay_alu instid0(VALU_DEP_4)
	s_and_saveexec_b32 s1, s0
	s_cbranch_execz .LBB44_14
; %bb.12:
	v_add3_u32 v1, v7, 0, 0x800
	v_or_b32_e32 v2, 0xffffff00, v0
	v_lshl_add_u32 v3, v0, 2, 0
	s_waitcnt lgkmcnt(0)
	v_mov_b32_e32 v4, s14
	v_mov_b32_e32 v8, 0
	s_mov_b32 s8, 0
.LBB44_13:                              ; =>This Inner Loop Header: Depth=1
	v_add_co_u32 v2, s9, 0x100, v2
	s_delay_alu instid0(VALU_DEP_1)
	s_xor_b32 s9, s9, -1
	ds_store_b32 v3, v4
	ds_store_2addr_b32 v1, v8, v8 offset1:1
	v_add_nc_u32_e32 v1, 0x800, v1
	v_add_nc_u32_e32 v3, 0x400, v3
	s_and_b32 s9, exec_lo, s9
	s_delay_alu instid0(SALU_CYCLE_1) | instskip(NEXT) | instid1(SALU_CYCLE_1)
	s_or_b32 s8, s9, s8
	s_and_not1_b32 exec_lo, exec_lo, s8
	s_cbranch_execnz .LBB44_13
.LBB44_14:
	s_or_b32 exec_lo, exec_lo, s1
	s_waitcnt lgkmcnt(0)
	s_barrier
	buffer_gl0_inv
	s_load_b32 s1, s[36:37], 0x0
	s_mov_b32 s9, 0
	v_lshrrev_b32_e32 v8, 5, v0
	s_waitcnt lgkmcnt(0)
	s_add_i32 s8, s1, s15
	s_delay_alu instid0(SALU_CYCLE_1) | instskip(NEXT) | instid1(SALU_CYCLE_1)
	s_lshl_b64 s[8:9], s[8:9], 2
	s_add_u32 s8, s38, s8
	s_addc_u32 s9, s39, s9
	s_and_b32 vcc_lo, exec_lo, s42
	s_load_b32 s8, s[8:9], 0x0
	s_cbranch_vccz .LBB44_34
; %bb.15:
	s_waitcnt lgkmcnt(0)
	s_ashr_i32 s9, s8, 31
	v_subrev_nc_u32_e32 v1, s24, v8
	s_lshl_b64 s[36:37], s[8:9], 2
	s_mov_b32 s9, exec_lo
	s_add_u32 s16, s16, s36
	s_addc_u32 s17, s17, s37
	s_load_b64 s[16:17], s[16:17], 0x0
	s_waitcnt lgkmcnt(0)
	v_add_nc_u32_e32 v1, s16, v1
	s_sub_i32 s1, s17, s24
	s_delay_alu instid0(VALU_DEP_1) | instid1(SALU_CYCLE_1)
	v_cmpx_gt_i32_e64 s1, v1
	s_cbranch_execz .LBB44_33
; %bb.16:
	v_and_b32_e32 v2, 31, v0
	s_mov_b32 s15, 0
	s_delay_alu instid0(VALU_DEP_1)
	v_subrev_nc_u32_e32 v9, s25, v2
	s_branch .LBB44_18
.LBB44_17:                              ;   in Loop: Header=BB44_18 Depth=1
	s_or_b32 exec_lo, exec_lo, s16
	v_add_nc_u32_e32 v1, 8, v1
	s_delay_alu instid0(VALU_DEP_1) | instskip(SKIP_1) | instid1(SALU_CYCLE_1)
	v_cmp_le_i32_e32 vcc_lo, s1, v1
	s_or_b32 s15, vcc_lo, s15
	s_and_not1_b32 exec_lo, exec_lo, s15
	s_cbranch_execz .LBB44_33
.LBB44_18:                              ; =>This Loop Header: Depth=1
                                        ;     Child Loop BB44_21 Depth 2
                                        ;       Child Loop BB44_23 Depth 3
	v_ashrrev_i32_e32 v2, 31, v1
	s_mov_b32 s16, exec_lo
	s_delay_alu instid0(VALU_DEP_1) | instskip(NEXT) | instid1(VALU_DEP_1)
	v_lshlrev_b64 v[3:4], 2, v[1:2]
	v_add_co_u32 v3, vcc_lo, s18, v3
	s_delay_alu instid0(VALU_DEP_2) | instskip(SKIP_3) | instid1(VALU_DEP_1)
	v_add_co_ci_u32_e32 v4, vcc_lo, s19, v4, vcc_lo
	global_load_b32 v3, v[3:4], off
	s_waitcnt vmcnt(0)
	v_subrev_nc_u32_e32 v3, s24, v3
	v_ashrrev_i32_e32 v4, 31, v3
	s_delay_alu instid0(VALU_DEP_1) | instskip(NEXT) | instid1(VALU_DEP_1)
	v_lshlrev_b64 v[3:4], 2, v[3:4]
	v_add_co_u32 v3, vcc_lo, s22, v3
	s_delay_alu instid0(VALU_DEP_2) | instskip(SKIP_4) | instid1(VALU_DEP_1)
	v_add_co_ci_u32_e32 v4, vcc_lo, s23, v4, vcc_lo
	global_load_b64 v[3:4], v[3:4], off
	s_waitcnt vmcnt(0)
	v_subrev_nc_u32_e32 v10, s25, v4
	v_add_nc_u32_e32 v3, v3, v9
	v_cmpx_lt_i32_e64 v3, v10
	s_cbranch_execz .LBB44_17
; %bb.19:                               ;   in Loop: Header=BB44_18 Depth=1
	v_lshlrev_b64 v[11:12], 3, v[1:2]
	s_mov_b32 s17, 0
	s_delay_alu instid0(VALU_DEP_1) | instskip(NEXT) | instid1(VALU_DEP_2)
	v_add_co_u32 v11, vcc_lo, s20, v11
	v_add_co_ci_u32_e32 v12, vcc_lo, s21, v12, vcc_lo
	global_load_b64 v[12:13], v[11:12], off
	s_waitcnt vmcnt(0)
	v_mul_f32_e64 v2, v13, -s3
	s_delay_alu instid0(VALU_DEP_1) | instskip(NEXT) | instid1(VALU_DEP_1)
	v_dual_mul_f32 v11, s40, v13 :: v_dual_fmac_f32 v2, s40, v12
	v_fmac_f32_e32 v11, s3, v12
	s_branch .LBB44_21
.LBB44_20:                              ;   in Loop: Header=BB44_21 Depth=2
	s_or_b32 exec_lo, exec_lo, s36
	v_add_nc_u32_e32 v3, 32, v3
	s_delay_alu instid0(VALU_DEP_1) | instskip(SKIP_1) | instid1(SALU_CYCLE_1)
	v_cmp_ge_i32_e32 vcc_lo, v3, v10
	s_or_b32 s17, vcc_lo, s17
	s_and_not1_b32 exec_lo, exec_lo, s17
	s_cbranch_execz .LBB44_17
.LBB44_21:                              ;   Parent Loop BB44_18 Depth=1
                                        ; =>  This Loop Header: Depth=2
                                        ;       Child Loop BB44_23 Depth 3
	v_ashrrev_i32_e32 v4, 31, v3
	s_mov_b32 s36, 0
	s_delay_alu instid0(VALU_DEP_1) | instskip(SKIP_1) | instid1(VALU_DEP_2)
	v_lshlrev_b64 v[12:13], 2, v[3:4]
	v_lshlrev_b64 v[14:15], 3, v[3:4]
	v_add_co_u32 v12, vcc_lo, s4, v12
	s_delay_alu instid0(VALU_DEP_3)
	v_add_co_ci_u32_e32 v13, vcc_lo, s5, v13, vcc_lo
	global_load_b32 v4, v[12:13], off
	v_add_co_u32 v12, vcc_lo, s6, v14
	v_add_co_ci_u32_e32 v13, vcc_lo, s7, v15, vcc_lo
	global_load_b64 v[14:15], v[12:13], off
	s_waitcnt vmcnt(1)
	v_subrev_nc_u32_e32 v4, s25, v4
	s_delay_alu instid0(VALU_DEP_1) | instskip(SKIP_3) | instid1(VALU_DEP_2)
	v_mul_lo_u32 v16, 0x89, v4
	s_waitcnt vmcnt(0)
	v_mul_f32_e64 v12, v15, -v11
	v_mul_f32_e32 v13, v2, v15
	v_fmac_f32_e32 v12, v2, v14
	s_delay_alu instid0(VALU_DEP_2)
	v_dual_fmac_f32 v13, v11, v14 :: v_dual_and_b32 v14, 0x1ff, v16
	s_branch .LBB44_23
.LBB44_22:                              ;   in Loop: Header=BB44_23 Depth=3
	s_or_b32 exec_lo, exec_lo, s37
	s_xor_b32 s37, s38, -1
	s_delay_alu instid0(SALU_CYCLE_1) | instskip(NEXT) | instid1(SALU_CYCLE_1)
	s_and_b32 s37, exec_lo, s37
	s_or_b32 s36, s37, s36
	s_delay_alu instid0(SALU_CYCLE_1)
	s_and_not1_b32 exec_lo, exec_lo, s36
	s_cbranch_execz .LBB44_20
.LBB44_23:                              ;   Parent Loop BB44_18 Depth=1
                                        ;     Parent Loop BB44_21 Depth=2
                                        ; =>    This Inner Loop Header: Depth=3
	s_delay_alu instid0(VALU_DEP_1)
	v_lshl_add_u32 v15, v14, 2, 0
	s_mov_b32 s37, exec_lo
                                        ; implicit-def: $sgpr38
	ds_load_b32 v16, v15
	s_waitcnt lgkmcnt(0)
	v_cmpx_ne_u32_e64 v16, v4
	s_xor_b32 s37, exec_lo, s37
	s_cbranch_execz .LBB44_31
; %bb.24:                               ;   in Loop: Header=BB44_23 Depth=3
	s_mov_b32 s39, exec_lo
                                        ; implicit-def: $sgpr38
	v_cmpx_ne_u32_e64 s14, v16
	s_xor_b32 s39, exec_lo, s39
; %bb.25:                               ;   in Loop: Header=BB44_23 Depth=3
	v_add_nc_u32_e32 v14, 1, v14
	s_mov_b32 s38, -1
                                        ; implicit-def: $vgpr15
	s_delay_alu instid0(VALU_DEP_1)
	v_and_b32_e32 v14, 0x1ff, v14
; %bb.26:                               ;   in Loop: Header=BB44_23 Depth=3
	s_and_not1_saveexec_b32 s39, s39
	s_cbranch_execz .LBB44_30
; %bb.27:                               ;   in Loop: Header=BB44_23 Depth=3
	v_mov_b32_e32 v16, s14
	s_mov_b32 s42, -1
	s_mov_b32 s43, exec_lo
	ds_cmpstore_rtn_b32 v16, v15, v4, v16
	s_waitcnt lgkmcnt(0)
	v_cmpx_eq_u32_e64 s14, v16
	s_cbranch_execz .LBB44_29
; %bb.28:                               ;   in Loop: Header=BB44_23 Depth=3
	v_lshl_add_u32 v15, v14, 2, v15
	s_xor_b32 s42, exec_lo, -1
	ds_add_f32 v15, v12 offset:2048
	ds_add_f32 v15, v13 offset:2052
.LBB44_29:                              ;   in Loop: Header=BB44_23 Depth=3
	s_or_b32 exec_lo, exec_lo, s43
	s_delay_alu instid0(SALU_CYCLE_1) | instskip(SKIP_1) | instid1(SALU_CYCLE_1)
	s_and_not1_b32 s38, s38, exec_lo
	s_and_b32 s42, s42, exec_lo
	s_or_b32 s38, s38, s42
.LBB44_30:                              ;   in Loop: Header=BB44_23 Depth=3
	s_or_b32 exec_lo, exec_lo, s39
	s_delay_alu instid0(SALU_CYCLE_1)
	s_and_b32 s38, s38, exec_lo
                                        ; implicit-def: $vgpr15
.LBB44_31:                              ;   in Loop: Header=BB44_23 Depth=3
	s_and_not1_saveexec_b32 s37, s37
	s_cbranch_execz .LBB44_22
; %bb.32:                               ;   in Loop: Header=BB44_23 Depth=3
	v_lshl_add_u32 v15, v14, 2, v15
	s_and_not1_b32 s38, s38, exec_lo
	ds_add_f32 v15, v12 offset:2048
	ds_add_f32 v15, v13 offset:2052
	s_branch .LBB44_22
.LBB44_33:
	s_or_b32 exec_lo, exec_lo, s9
.LBB44_34:
	s_delay_alu instid0(SALU_CYCLE_1)
	s_and_not1_b32 vcc_lo, exec_lo, s41
	s_cbranch_vccnz .LBB44_51
; %bb.35:
	s_waitcnt lgkmcnt(0)
	s_ashr_i32 s9, s8, 31
	v_subrev_nc_u32_e32 v1, s27, v0
	s_lshl_b64 s[4:5], s[8:9], 2
	s_mov_b32 s3, exec_lo
	s_add_u32 s4, s10, s4
	s_addc_u32 s5, s11, s5
	s_load_b64 s[4:5], s[4:5], 0x0
	s_waitcnt lgkmcnt(0)
	v_add_nc_u32_e32 v1, s4, v1
	s_sub_i32 s1, s5, s27
	s_delay_alu instid0(VALU_DEP_1) | instid1(SALU_CYCLE_1)
	v_cmpx_gt_i32_e64 s1, v1
	s_cbranch_execz .LBB44_50
; %bb.36:
	s_mov_b32 s4, 0
	s_branch .LBB44_38
.LBB44_37:                              ;   in Loop: Header=BB44_38 Depth=1
	s_or_b32 exec_lo, exec_lo, s5
	v_add_nc_u32_e32 v1, 0x100, v1
	s_delay_alu instid0(VALU_DEP_1) | instskip(SKIP_1) | instid1(SALU_CYCLE_1)
	v_cmp_le_i32_e32 vcc_lo, s1, v1
	s_or_b32 s4, vcc_lo, s4
	s_and_not1_b32 exec_lo, exec_lo, s4
	s_cbranch_execz .LBB44_50
.LBB44_38:                              ; =>This Loop Header: Depth=1
                                        ;     Child Loop BB44_40 Depth 2
	v_ashrrev_i32_e32 v2, 31, v1
	s_mov_b32 s5, 0
	s_delay_alu instid0(VALU_DEP_1) | instskip(SKIP_1) | instid1(VALU_DEP_2)
	v_lshlrev_b64 v[3:4], 2, v[1:2]
	v_lshlrev_b64 v[9:10], 3, v[1:2]
	v_add_co_u32 v3, vcc_lo, s28, v3
	s_delay_alu instid0(VALU_DEP_3) | instskip(NEXT) | instid1(VALU_DEP_3)
	v_add_co_ci_u32_e32 v4, vcc_lo, s29, v4, vcc_lo
	v_add_co_u32 v2, vcc_lo, s30, v9
	global_load_b32 v4, v[3:4], off
	v_add_co_ci_u32_e32 v3, vcc_lo, s31, v10, vcc_lo
	global_load_b64 v[9:10], v[2:3], off
	s_waitcnt vmcnt(1)
	v_subrev_nc_u32_e32 v2, s27, v4
	s_delay_alu instid0(VALU_DEP_1) | instskip(SKIP_2) | instid1(VALU_DEP_1)
	v_mul_lo_u32 v11, 0x89, v2
	s_waitcnt vmcnt(0)
	v_mul_f32_e64 v3, v10, -s33
	v_dual_mul_f32 v4, s2, v10 :: v_dual_fmac_f32 v3, s2, v9
	s_delay_alu instid0(VALU_DEP_1)
	v_dual_fmac_f32 v4, s33, v9 :: v_dual_and_b32 v9, 0x1ff, v11
	s_branch .LBB44_40
.LBB44_39:                              ;   in Loop: Header=BB44_40 Depth=2
	s_or_b32 exec_lo, exec_lo, s6
	s_xor_b32 s6, s7, -1
	s_delay_alu instid0(SALU_CYCLE_1) | instskip(NEXT) | instid1(SALU_CYCLE_1)
	s_and_b32 s6, exec_lo, s6
	s_or_b32 s5, s6, s5
	s_delay_alu instid0(SALU_CYCLE_1)
	s_and_not1_b32 exec_lo, exec_lo, s5
	s_cbranch_execz .LBB44_37
.LBB44_40:                              ;   Parent Loop BB44_38 Depth=1
                                        ; =>  This Inner Loop Header: Depth=2
	s_delay_alu instid0(VALU_DEP_1)
	v_lshl_add_u32 v10, v9, 2, 0
	s_mov_b32 s6, exec_lo
                                        ; implicit-def: $sgpr7
	ds_load_b32 v11, v10
	s_waitcnt lgkmcnt(0)
	v_cmpx_ne_u32_e64 v11, v2
	s_xor_b32 s6, exec_lo, s6
	s_cbranch_execz .LBB44_48
; %bb.41:                               ;   in Loop: Header=BB44_40 Depth=2
	s_mov_b32 s9, exec_lo
                                        ; implicit-def: $sgpr7
	v_cmpx_ne_u32_e64 s14, v11
	s_xor_b32 s9, exec_lo, s9
; %bb.42:                               ;   in Loop: Header=BB44_40 Depth=2
	v_add_nc_u32_e32 v9, 1, v9
	s_mov_b32 s7, -1
                                        ; implicit-def: $vgpr10
	s_delay_alu instid0(VALU_DEP_1)
	v_and_b32_e32 v9, 0x1ff, v9
; %bb.43:                               ;   in Loop: Header=BB44_40 Depth=2
	s_and_not1_saveexec_b32 s9, s9
	s_cbranch_execz .LBB44_47
; %bb.44:                               ;   in Loop: Header=BB44_40 Depth=2
	v_mov_b32_e32 v11, s14
	s_mov_b32 s10, -1
	s_mov_b32 s11, exec_lo
	ds_cmpstore_rtn_b32 v11, v10, v2, v11
	s_waitcnt lgkmcnt(0)
	v_cmpx_eq_u32_e64 s14, v11
	s_cbranch_execz .LBB44_46
; %bb.45:                               ;   in Loop: Header=BB44_40 Depth=2
	v_lshl_add_u32 v10, v9, 2, v10
	s_xor_b32 s10, exec_lo, -1
	ds_add_f32 v10, v3 offset:2048
	ds_add_f32 v10, v4 offset:2052
.LBB44_46:                              ;   in Loop: Header=BB44_40 Depth=2
	s_or_b32 exec_lo, exec_lo, s11
	s_delay_alu instid0(SALU_CYCLE_1) | instskip(SKIP_1) | instid1(SALU_CYCLE_1)
	s_and_not1_b32 s7, s7, exec_lo
	s_and_b32 s10, s10, exec_lo
	s_or_b32 s7, s7, s10
.LBB44_47:                              ;   in Loop: Header=BB44_40 Depth=2
	s_or_b32 exec_lo, exec_lo, s9
	s_delay_alu instid0(SALU_CYCLE_1)
	s_and_b32 s7, s7, exec_lo
                                        ; implicit-def: $vgpr10
.LBB44_48:                              ;   in Loop: Header=BB44_40 Depth=2
	s_and_not1_saveexec_b32 s6, s6
	s_cbranch_execz .LBB44_39
; %bb.49:                               ;   in Loop: Header=BB44_40 Depth=2
	v_lshl_add_u32 v10, v9, 2, v10
	s_and_not1_b32 s7, s7, exec_lo
	ds_add_f32 v10, v3 offset:2048
	ds_add_f32 v10, v4 offset:2052
	s_branch .LBB44_39
.LBB44_50:
	s_or_b32 exec_lo, exec_lo, s3
.LBB44_51:
	s_waitcnt lgkmcnt(0)
	s_barrier
	buffer_gl0_inv
	s_and_saveexec_b32 s9, s0
	s_cbranch_execz .LBB44_72
; %bb.52:
	v_mbcnt_lo_u32_b32 v1, -1, 0
	v_lshl_add_u32 v4, v8, 2, 0
	v_cmp_eq_u32_e32 vcc_lo, 0xff, v0
	v_cmp_lt_u32_e64 s0, 31, v0
	v_cmp_lt_u32_e64 s1, 63, v0
	v_xor_b32_e32 v1, 63, v1
	v_cmp_lt_u32_e64 s2, 0x5f, v0
	v_cmp_lt_u32_e64 s3, 0x7f, v0
	v_cmp_lt_u32_e64 s4, 0x9f, v0
	v_cmp_lt_u32_e64 s5, 0xbf, v0
	v_lshrrev_b64 v[1:2], v1, -1
	v_cmp_lt_u32_e64 s6, 0xdf, v0
	v_add3_u32 v7, v7, 0, 0x800
	v_dual_mov_b32 v8, 0 :: v_dual_mov_b32 v9, 0
	s_mov_b32 s10, 0
	s_branch .LBB44_54
.LBB44_53:                              ;   in Loop: Header=BB44_54 Depth=1
	s_or_b32 exec_lo, exec_lo, s7
	s_waitcnt lgkmcnt(0)
	s_barrier
	buffer_gl0_inv
	ds_load_b32 v2, v8 offset:6172
	v_add_co_u32 v5, s7, 0x100, v5
	s_delay_alu instid0(VALU_DEP_1) | instskip(SKIP_3) | instid1(SALU_CYCLE_1)
	s_xor_b32 s7, s7, -1
	v_add_nc_u32_e32 v7, 0x800, v7
	v_add_nc_u32_e32 v6, 0x400, v6
	s_and_b32 s7, exec_lo, s7
	s_or_b32 s10, s7, s10
	s_waitcnt lgkmcnt(0)
	v_add_nc_u32_e32 v9, v2, v9
	s_and_not1_b32 exec_lo, exec_lo, s10
	s_cbranch_execz .LBB44_72
.LBB44_54:                              ; =>This Inner Loop Header: Depth=1
	ds_load_b32 v10, v6
	ds_load_2addr_b32 v[2:3], v7 offset1:1
	s_waitcnt lgkmcnt(0)
	s_barrier
	buffer_gl0_inv
	v_cmp_gt_i32_e64 s7, s14, v10
	s_delay_alu instid0(VALU_DEP_1) | instskip(NEXT) | instid1(SALU_CYCLE_1)
	s_bcnt1_i32_b32 s11, s7
	v_dual_mov_b32 v12, s11 :: v_dual_and_b32 v11, s7, v1
	s_delay_alu instid0(VALU_DEP_1)
	v_bcnt_u32_b32 v11, v11, 0
	ds_store_b32 v4, v12 offset:6144
	s_waitcnt lgkmcnt(0)
	s_barrier
	buffer_gl0_inv
	s_and_saveexec_b32 s11, s0
	s_cbranch_execnz .LBB44_63
; %bb.55:                               ;   in Loop: Header=BB44_54 Depth=1
	s_or_b32 exec_lo, exec_lo, s11
	s_and_saveexec_b32 s11, s1
	s_cbranch_execnz .LBB44_64
.LBB44_56:                              ;   in Loop: Header=BB44_54 Depth=1
	s_or_b32 exec_lo, exec_lo, s11
	s_and_saveexec_b32 s11, s2
	s_cbranch_execnz .LBB44_65
.LBB44_57:                              ;   in Loop: Header=BB44_54 Depth=1
	s_or_b32 exec_lo, exec_lo, s11
	s_and_saveexec_b32 s11, s3
	s_cbranch_execnz .LBB44_66
.LBB44_58:                              ;   in Loop: Header=BB44_54 Depth=1
	s_or_b32 exec_lo, exec_lo, s11
	s_and_saveexec_b32 s11, s4
	s_cbranch_execnz .LBB44_67
.LBB44_59:                              ;   in Loop: Header=BB44_54 Depth=1
	s_or_b32 exec_lo, exec_lo, s11
	s_and_saveexec_b32 s11, s5
	s_cbranch_execnz .LBB44_68
.LBB44_60:                              ;   in Loop: Header=BB44_54 Depth=1
	s_or_b32 exec_lo, exec_lo, s11
	s_and_saveexec_b32 s11, s6
	s_cbranch_execnz .LBB44_69
.LBB44_61:                              ;   in Loop: Header=BB44_54 Depth=1
	s_or_b32 exec_lo, exec_lo, s11
	s_and_saveexec_b32 s11, s7
	s_cbranch_execnz .LBB44_70
.LBB44_62:                              ;   in Loop: Header=BB44_54 Depth=1
	s_or_b32 exec_lo, exec_lo, s11
	s_and_saveexec_b32 s7, vcc_lo
	s_cbranch_execz .LBB44_53
	s_branch .LBB44_71
.LBB44_63:                              ;   in Loop: Header=BB44_54 Depth=1
	ds_load_b32 v12, v8 offset:6144
	s_waitcnt lgkmcnt(0)
	v_add_nc_u32_e32 v11, v12, v11
	s_or_b32 exec_lo, exec_lo, s11
	s_and_saveexec_b32 s11, s1
	s_cbranch_execz .LBB44_56
.LBB44_64:                              ;   in Loop: Header=BB44_54 Depth=1
	ds_load_b32 v12, v8 offset:6148
	s_waitcnt lgkmcnt(0)
	v_add_nc_u32_e32 v11, v12, v11
	s_or_b32 exec_lo, exec_lo, s11
	s_and_saveexec_b32 s11, s2
	s_cbranch_execz .LBB44_57
.LBB44_65:                              ;   in Loop: Header=BB44_54 Depth=1
	ds_load_b32 v12, v8 offset:6152
	s_waitcnt lgkmcnt(0)
	v_add_nc_u32_e32 v11, v12, v11
	s_or_b32 exec_lo, exec_lo, s11
	s_and_saveexec_b32 s11, s3
	s_cbranch_execz .LBB44_58
.LBB44_66:                              ;   in Loop: Header=BB44_54 Depth=1
	ds_load_b32 v12, v8 offset:6156
	s_waitcnt lgkmcnt(0)
	v_add_nc_u32_e32 v11, v12, v11
	s_or_b32 exec_lo, exec_lo, s11
	s_and_saveexec_b32 s11, s4
	s_cbranch_execz .LBB44_59
.LBB44_67:                              ;   in Loop: Header=BB44_54 Depth=1
	ds_load_b32 v12, v8 offset:6160
	s_waitcnt lgkmcnt(0)
	v_add_nc_u32_e32 v11, v12, v11
	s_or_b32 exec_lo, exec_lo, s11
	s_and_saveexec_b32 s11, s5
	s_cbranch_execz .LBB44_60
.LBB44_68:                              ;   in Loop: Header=BB44_54 Depth=1
	ds_load_b32 v12, v8 offset:6164
	s_waitcnt lgkmcnt(0)
	v_add_nc_u32_e32 v11, v12, v11
	s_or_b32 exec_lo, exec_lo, s11
	s_and_saveexec_b32 s11, s6
	s_cbranch_execz .LBB44_61
.LBB44_69:                              ;   in Loop: Header=BB44_54 Depth=1
	ds_load_b32 v12, v8 offset:6168
	s_waitcnt lgkmcnt(0)
	v_add_nc_u32_e32 v11, v12, v11
	s_or_b32 exec_lo, exec_lo, s11
	s_and_saveexec_b32 s11, s7
	s_cbranch_execz .LBB44_62
.LBB44_70:                              ;   in Loop: Header=BB44_54 Depth=1
	s_delay_alu instid0(VALU_DEP_1) | instskip(NEXT) | instid1(VALU_DEP_1)
	v_add3_u32 v12, v9, -1, v11
	v_lshlrev_b32_e32 v13, 3, v12
	v_lshl_add_u32 v12, v12, 2, 0
	s_delay_alu instid0(VALU_DEP_2)
	v_add3_u32 v13, 0, v13, 0x800
	ds_store_b32 v12, v10
	ds_store_2addr_b32 v13, v2, v3 offset1:1
	s_or_b32 exec_lo, exec_lo, s11
	s_and_saveexec_b32 s7, vcc_lo
	s_cbranch_execz .LBB44_53
.LBB44_71:                              ;   in Loop: Header=BB44_54 Depth=1
	ds_store_b32 v8, v11 offset:6172
	s_branch .LBB44_53
.LBB44_72:
	s_or_b32 exec_lo, exec_lo, s9
	s_ashr_i32 s9, s8, 31
	s_mov_b32 s3, exec_lo
	s_lshl_b64 s[0:1], s[8:9], 2
	s_delay_alu instid0(SALU_CYCLE_1) | instskip(SKIP_4) | instid1(SALU_CYCLE_1)
	s_add_u32 s0, s34, s0
	s_addc_u32 s1, s35, s1
	s_load_b64 s[0:1], s[0:1], 0x0
	s_waitcnt lgkmcnt(0)
	s_sub_i32 s2, s1, s0
	v_cmpx_gt_i32_e64 s2, v0
	s_cbranch_execz .LBB44_82
; %bb.73:
	s_sub_i32 s3, s0, s26
	s_sub_i32 s0, s0, s1
	s_and_b32 s1, s2, 7
	s_cmp_lt_u32 s0, -7
	s_mov_b32 s7, 0
	s_cselect_b32 s4, -1, 0
	s_and_b32 s5, s2, -8
	s_cmp_lg_u32 s1, 0
	s_cselect_b32 s6, -1, 0
	s_branch .LBB44_75
.LBB44_74:                              ;   in Loop: Header=BB44_75 Depth=1
	s_waitcnt lgkmcnt(1)
	s_delay_alu instid0(VALU_DEP_1) | instskip(SKIP_1) | instid1(VALU_DEP_2)
	v_ashrrev_i32_e32 v4, 31, v3
	v_add_nc_u32_e32 v0, 0x100, v0
	v_lshlrev_b64 v[3:4], 3, v[3:4]
	s_delay_alu instid0(VALU_DEP_2) | instskip(SKIP_1) | instid1(VALU_DEP_2)
	v_cmp_le_i32_e32 vcc_lo, s2, v0
	s_or_b32 s7, vcc_lo, s7
	v_add_co_u32 v3, s0, s12, v3
	s_delay_alu instid0(VALU_DEP_1)
	v_add_co_ci_u32_e64 v4, s0, s13, v4, s0
	s_waitcnt lgkmcnt(0)
	global_store_b64 v[3:4], v[1:2], off
	s_and_not1_b32 exec_lo, exec_lo, s7
	s_cbranch_execz .LBB44_82
.LBB44_75:                              ; =>This Loop Header: Depth=1
                                        ;     Child Loop BB44_77 Depth 2
                                        ;     Child Loop BB44_81 Depth 2
	v_lshlrev_b32_e32 v1, 2, v0
	s_and_not1_b32 vcc_lo, exec_lo, s4
	s_mov_b32 s0, 0
	s_delay_alu instid0(VALU_DEP_1) | instskip(NEXT) | instid1(VALU_DEP_1)
	v_dual_mov_b32 v3, s3 :: v_dual_add_nc_u32 v2, 0, v1
	v_add3_u32 v1, v2, v1, 0x800
	ds_load_b32 v4, v2
	ds_load_2addr_b32 v[1:2], v1 offset1:1
	s_cbranch_vccnz .LBB44_79
; %bb.76:                               ;   in Loop: Header=BB44_75 Depth=1
	v_mov_b32_e32 v3, s3
	s_mov_b32 s8, 0
	s_set_inst_prefetch_distance 0x1
	.p2align	6
.LBB44_77:                              ;   Parent Loop BB44_75 Depth=1
                                        ; =>  This Inner Loop Header: Depth=2
	v_mov_b32_e32 v11, s8
	s_add_i32 s0, s0, 8
	s_add_i32 s8, s8, 32
	s_cmp_eq_u32 s5, s0
	ds_load_2addr_b32 v[5:6], v11 offset1:1
	ds_load_2addr_b32 v[7:8], v11 offset0:2 offset1:3
	ds_load_2addr_b32 v[9:10], v11 offset0:4 offset1:5
	;; [unrolled: 1-line block ×3, first 2 shown]
	s_waitcnt lgkmcnt(3)
	v_cmp_gt_i32_e32 vcc_lo, v4, v5
	v_cndmask_b32_e64 v5, 0, 1, vcc_lo
	s_waitcnt lgkmcnt(2)
	v_cmp_gt_i32_e32 vcc_lo, v4, v7
	v_cndmask_b32_e64 v7, 0, 1, vcc_lo
	v_cmp_gt_i32_e32 vcc_lo, v4, v6
	v_add_co_ci_u32_e32 v3, vcc_lo, v3, v5, vcc_lo
	s_waitcnt lgkmcnt(1)
	v_cmp_gt_i32_e32 vcc_lo, v4, v9
	v_cndmask_b32_e64 v5, 0, 1, vcc_lo
	v_cmp_gt_i32_e32 vcc_lo, v4, v8
	v_add_co_ci_u32_e32 v3, vcc_lo, v3, v7, vcc_lo
	;; [unrolled: 5-line block ×3, first 2 shown]
	v_cmp_gt_i32_e32 vcc_lo, v4, v12
	s_delay_alu instid0(VALU_DEP_2)
	v_add_co_ci_u32_e32 v3, vcc_lo, v3, v6, vcc_lo
	s_cbranch_scc0 .LBB44_77
; %bb.78:                               ;   in Loop: Header=BB44_75 Depth=1
	s_set_inst_prefetch_distance 0x2
	s_mov_b32 s0, s5
.LBB44_79:                              ;   in Loop: Header=BB44_75 Depth=1
	s_and_not1_b32 vcc_lo, exec_lo, s6
	s_cbranch_vccnz .LBB44_74
; %bb.80:                               ;   in Loop: Header=BB44_75 Depth=1
	s_lshl_b32 s0, s0, 2
	s_mov_b32 s8, s1
	s_add_i32 s0, s0, 0
.LBB44_81:                              ;   Parent Loop BB44_75 Depth=1
                                        ; =>  This Inner Loop Header: Depth=2
	s_delay_alu instid0(SALU_CYCLE_1)
	v_mov_b32_e32 v5, s0
	s_add_i32 s8, s8, -1
	s_add_i32 s0, s0, 4
	s_cmp_lg_u32 s8, 0
	ds_load_b32 v5, v5
	s_waitcnt lgkmcnt(0)
	v_cmp_gt_i32_e32 vcc_lo, v4, v5
	v_add_co_ci_u32_e32 v3, vcc_lo, 0, v3, vcc_lo
	s_cbranch_scc1 .LBB44_81
	s_branch .LBB44_74
.LBB44_82:
	s_nop 0
	s_sendmsg sendmsg(MSG_DEALLOC_VGPRS)
	s_endpgm
	.section	.rodata,"a",@progbits
	.p2align	6, 0x0
	.amdhsa_kernel _ZN9rocsparseL41csrgemm_numeric_fill_block_per_row_kernelILj256ELj32ELj512ELj137ELj32Eii21rocsparse_complex_numIfEEEvT5_PKS3_S5_NS_24const_host_device_scalarIT6_EEPKT4_S5_PKS7_SB_S5_SD_S8_SB_S5_SD_SB_S5_PS7_21rocsparse_index_base_SF_SF_SF_bbb
		.amdhsa_group_segment_fixed_size 0
		.amdhsa_private_segment_fixed_size 0
		.amdhsa_kernarg_size 156
		.amdhsa_user_sgpr_count 15
		.amdhsa_user_sgpr_dispatch_ptr 0
		.amdhsa_user_sgpr_queue_ptr 0
		.amdhsa_user_sgpr_kernarg_segment_ptr 1
		.amdhsa_user_sgpr_dispatch_id 0
		.amdhsa_user_sgpr_private_segment_size 0
		.amdhsa_wavefront_size32 1
		.amdhsa_uses_dynamic_stack 0
		.amdhsa_enable_private_segment 0
		.amdhsa_system_sgpr_workgroup_id_x 1
		.amdhsa_system_sgpr_workgroup_id_y 0
		.amdhsa_system_sgpr_workgroup_id_z 0
		.amdhsa_system_sgpr_workgroup_info 0
		.amdhsa_system_vgpr_workitem_id 0
		.amdhsa_next_free_vgpr 17
		.amdhsa_next_free_sgpr 44
		.amdhsa_reserve_vcc 1
		.amdhsa_float_round_mode_32 0
		.amdhsa_float_round_mode_16_64 0
		.amdhsa_float_denorm_mode_32 3
		.amdhsa_float_denorm_mode_16_64 3
		.amdhsa_dx10_clamp 1
		.amdhsa_ieee_mode 1
		.amdhsa_fp16_overflow 0
		.amdhsa_workgroup_processor_mode 1
		.amdhsa_memory_ordered 1
		.amdhsa_forward_progress 0
		.amdhsa_shared_vgpr_count 0
		.amdhsa_exception_fp_ieee_invalid_op 0
		.amdhsa_exception_fp_denorm_src 0
		.amdhsa_exception_fp_ieee_div_zero 0
		.amdhsa_exception_fp_ieee_overflow 0
		.amdhsa_exception_fp_ieee_underflow 0
		.amdhsa_exception_fp_ieee_inexact 0
		.amdhsa_exception_int_div_zero 0
	.end_amdhsa_kernel
	.section	.text._ZN9rocsparseL41csrgemm_numeric_fill_block_per_row_kernelILj256ELj32ELj512ELj137ELj32Eii21rocsparse_complex_numIfEEEvT5_PKS3_S5_NS_24const_host_device_scalarIT6_EEPKT4_S5_PKS7_SB_S5_SD_S8_SB_S5_SD_SB_S5_PS7_21rocsparse_index_base_SF_SF_SF_bbb,"axG",@progbits,_ZN9rocsparseL41csrgemm_numeric_fill_block_per_row_kernelILj256ELj32ELj512ELj137ELj32Eii21rocsparse_complex_numIfEEEvT5_PKS3_S5_NS_24const_host_device_scalarIT6_EEPKT4_S5_PKS7_SB_S5_SD_S8_SB_S5_SD_SB_S5_PS7_21rocsparse_index_base_SF_SF_SF_bbb,comdat
.Lfunc_end44:
	.size	_ZN9rocsparseL41csrgemm_numeric_fill_block_per_row_kernelILj256ELj32ELj512ELj137ELj32Eii21rocsparse_complex_numIfEEEvT5_PKS3_S5_NS_24const_host_device_scalarIT6_EEPKT4_S5_PKS7_SB_S5_SD_S8_SB_S5_SD_SB_S5_PS7_21rocsparse_index_base_SF_SF_SF_bbb, .Lfunc_end44-_ZN9rocsparseL41csrgemm_numeric_fill_block_per_row_kernelILj256ELj32ELj512ELj137ELj32Eii21rocsparse_complex_numIfEEEvT5_PKS3_S5_NS_24const_host_device_scalarIT6_EEPKT4_S5_PKS7_SB_S5_SD_S8_SB_S5_SD_SB_S5_PS7_21rocsparse_index_base_SF_SF_SF_bbb
                                        ; -- End function
	.section	.AMDGPU.csdata,"",@progbits
; Kernel info:
; codeLenInByte = 2940
; NumSgprs: 46
; NumVgprs: 17
; ScratchSize: 0
; MemoryBound: 0
; FloatMode: 240
; IeeeMode: 1
; LDSByteSize: 0 bytes/workgroup (compile time only)
; SGPRBlocks: 5
; VGPRBlocks: 2
; NumSGPRsForWavesPerEU: 46
; NumVGPRsForWavesPerEU: 17
; Occupancy: 16
; WaveLimiterHint : 1
; COMPUTE_PGM_RSRC2:SCRATCH_EN: 0
; COMPUTE_PGM_RSRC2:USER_SGPR: 15
; COMPUTE_PGM_RSRC2:TRAP_HANDLER: 0
; COMPUTE_PGM_RSRC2:TGID_X_EN: 1
; COMPUTE_PGM_RSRC2:TGID_Y_EN: 0
; COMPUTE_PGM_RSRC2:TGID_Z_EN: 0
; COMPUTE_PGM_RSRC2:TIDIG_COMP_CNT: 0
	.section	.text._ZN9rocsparseL41csrgemm_numeric_fill_block_per_row_kernelILj256ELj32ELj512ELj137ELj64Eii21rocsparse_complex_numIfEEEvT5_PKS3_S5_NS_24const_host_device_scalarIT6_EEPKT4_S5_PKS7_SB_S5_SD_S8_SB_S5_SD_SB_S5_PS7_21rocsparse_index_base_SF_SF_SF_bbb,"axG",@progbits,_ZN9rocsparseL41csrgemm_numeric_fill_block_per_row_kernelILj256ELj32ELj512ELj137ELj64Eii21rocsparse_complex_numIfEEEvT5_PKS3_S5_NS_24const_host_device_scalarIT6_EEPKT4_S5_PKS7_SB_S5_SD_S8_SB_S5_SD_SB_S5_PS7_21rocsparse_index_base_SF_SF_SF_bbb,comdat
	.globl	_ZN9rocsparseL41csrgemm_numeric_fill_block_per_row_kernelILj256ELj32ELj512ELj137ELj64Eii21rocsparse_complex_numIfEEEvT5_PKS3_S5_NS_24const_host_device_scalarIT6_EEPKT4_S5_PKS7_SB_S5_SD_S8_SB_S5_SD_SB_S5_PS7_21rocsparse_index_base_SF_SF_SF_bbb ; -- Begin function _ZN9rocsparseL41csrgemm_numeric_fill_block_per_row_kernelILj256ELj32ELj512ELj137ELj64Eii21rocsparse_complex_numIfEEEvT5_PKS3_S5_NS_24const_host_device_scalarIT6_EEPKT4_S5_PKS7_SB_S5_SD_S8_SB_S5_SD_SB_S5_PS7_21rocsparse_index_base_SF_SF_SF_bbb
	.p2align	8
	.type	_ZN9rocsparseL41csrgemm_numeric_fill_block_per_row_kernelILj256ELj32ELj512ELj137ELj64Eii21rocsparse_complex_numIfEEEvT5_PKS3_S5_NS_24const_host_device_scalarIT6_EEPKT4_S5_PKS7_SB_S5_SD_S8_SB_S5_SD_SB_S5_PS7_21rocsparse_index_base_SF_SF_SF_bbb,@function
_ZN9rocsparseL41csrgemm_numeric_fill_block_per_row_kernelILj256ELj32ELj512ELj137ELj64Eii21rocsparse_complex_numIfEEEvT5_PKS3_S5_NS_24const_host_device_scalarIT6_EEPKT4_S5_PKS7_SB_S5_SD_S8_SB_S5_SD_SB_S5_PS7_21rocsparse_index_base_SF_SF_SF_bbb: ; @_ZN9rocsparseL41csrgemm_numeric_fill_block_per_row_kernelILj256ELj32ELj512ELj137ELj64Eii21rocsparse_complex_numIfEEEvT5_PKS3_S5_NS_24const_host_device_scalarIT6_EEPKT4_S5_PKS7_SB_S5_SD_S8_SB_S5_SD_SB_S5_PS7_21rocsparse_index_base_SF_SF_SF_bbb
; %bb.0:
	s_clause 0x7
	s_load_b32 s14, s[0:1], 0x98
	s_load_b64 s[34:35], s[0:1], 0x70
	s_load_b128 s[28:31], s[0:1], 0x60
	s_load_b256 s[4:11], s[0:1], 0x40
	s_load_b128 s[36:39], s[0:1], 0x8
	s_load_b256 s[16:23], s[0:1], 0x20
	s_load_b64 s[12:13], s[0:1], 0x80
	s_load_b128 s[24:27], s[0:1], 0x88
	s_mov_b32 s3, 0
	s_mov_b32 s40, 0
	s_waitcnt lgkmcnt(0)
	s_bitcmp1_b32 s14, 0
	s_cselect_b32 s42, -1, 0
	s_bitcmp1_b32 s14, 16
	s_cselect_b32 s2, -1, 0
	s_delay_alu instid0(SALU_CYCLE_1) | instskip(SKIP_2) | instid1(VALU_DEP_1)
	s_xor_b32 s33, s2, -1
	s_bitcmp0_b32 s14, 0
	v_cndmask_b32_e64 v1, 0, 1, s33
	v_cmp_ne_u32_e32 vcc_lo, 1, v1
	s_cbranch_scc1 .LBB45_5
; %bb.1:
	s_load_b64 s[2:3], s[0:1], 0x18
	s_and_b32 vcc_lo, exec_lo, vcc_lo
	s_waitcnt lgkmcnt(0)
	s_mov_b32 s40, s2
	s_cbranch_vccnz .LBB45_3
; %bb.2:
	s_load_b32 s40, s[2:3], 0x0
.LBB45_3:
	s_and_not1_b32 vcc_lo, exec_lo, s33
	s_cbranch_vccnz .LBB45_5
; %bb.4:
	s_load_b32 s3, s[2:3], 0x4
.LBB45_5:
	s_bitcmp1_b32 s14, 8
	s_mov_b32 s33, 0
	s_cselect_b32 s41, -1, 0
	s_bfe_u32 s2, s14, 0x10008
	s_delay_alu instid0(SALU_CYCLE_1)
	s_cmp_eq_u32 s2, 0
	s_mov_b32 s2, 0
	s_cbranch_scc1 .LBB45_11
; %bb.6:
	v_cmp_ne_u32_e32 vcc_lo, 1, v1
	s_mov_b32 s2, s8
	s_cbranch_vccnz .LBB45_8
; %bb.7:
	s_load_b32 s2, s[8:9], 0x0
.LBB45_8:
	v_cmp_ne_u32_e32 vcc_lo, 1, v1
	s_cbranch_vccnz .LBB45_10
; %bb.9:
	s_load_b32 s9, s[8:9], 0x4
.LBB45_10:
	s_waitcnt lgkmcnt(0)
	s_mov_b32 s33, s9
.LBB45_11:
	s_load_b32 s14, s[0:1], 0x0
	v_cmp_gt_u32_e64 s0, 0x200, v0
	v_lshlrev_b32_e32 v7, 3, v0
	v_or_b32_e32 v5, 0xffffff00, v0
	v_lshl_add_u32 v6, v0, 2, 0
	s_delay_alu instid0(VALU_DEP_4)
	s_and_saveexec_b32 s1, s0
	s_cbranch_execz .LBB45_14
; %bb.12:
	v_add3_u32 v1, v7, 0, 0x800
	v_or_b32_e32 v2, 0xffffff00, v0
	v_lshl_add_u32 v3, v0, 2, 0
	s_waitcnt lgkmcnt(0)
	v_mov_b32_e32 v4, s14
	v_mov_b32_e32 v8, 0
	s_mov_b32 s8, 0
.LBB45_13:                              ; =>This Inner Loop Header: Depth=1
	v_add_co_u32 v2, s9, 0x100, v2
	s_delay_alu instid0(VALU_DEP_1)
	s_xor_b32 s9, s9, -1
	ds_store_b32 v3, v4
	ds_store_2addr_b32 v1, v8, v8 offset1:1
	v_add_nc_u32_e32 v1, 0x800, v1
	v_add_nc_u32_e32 v3, 0x400, v3
	s_and_b32 s9, exec_lo, s9
	s_delay_alu instid0(SALU_CYCLE_1) | instskip(NEXT) | instid1(SALU_CYCLE_1)
	s_or_b32 s8, s9, s8
	s_and_not1_b32 exec_lo, exec_lo, s8
	s_cbranch_execnz .LBB45_13
.LBB45_14:
	s_or_b32 exec_lo, exec_lo, s1
	s_waitcnt lgkmcnt(0)
	s_barrier
	buffer_gl0_inv
	s_load_b32 s1, s[36:37], 0x0
	s_mov_b32 s9, 0
	s_waitcnt lgkmcnt(0)
	s_add_i32 s8, s1, s15
	s_delay_alu instid0(SALU_CYCLE_1) | instskip(NEXT) | instid1(SALU_CYCLE_1)
	s_lshl_b64 s[8:9], s[8:9], 2
	s_add_u32 s8, s38, s8
	s_addc_u32 s9, s39, s9
	s_and_b32 vcc_lo, exec_lo, s42
	s_load_b32 s8, s[8:9], 0x0
	s_cbranch_vccz .LBB45_34
; %bb.15:
	s_waitcnt lgkmcnt(0)
	s_ashr_i32 s9, s8, 31
	v_lshrrev_b32_e32 v1, 5, v0
	s_lshl_b64 s[36:37], s[8:9], 2
	s_mov_b32 s9, exec_lo
	s_add_u32 s16, s16, s36
	s_addc_u32 s17, s17, s37
	v_subrev_nc_u32_e32 v1, s24, v1
	s_load_b64 s[16:17], s[16:17], 0x0
	s_waitcnt lgkmcnt(0)
	s_delay_alu instid0(VALU_DEP_1)
	v_add_nc_u32_e32 v1, s16, v1
	s_sub_i32 s1, s17, s24
	s_delay_alu instid0(VALU_DEP_1) | instid1(SALU_CYCLE_1)
	v_cmpx_gt_i32_e64 s1, v1
	s_cbranch_execz .LBB45_33
; %bb.16:
	v_and_b32_e32 v2, 31, v0
	s_mov_b32 s15, 0
	s_delay_alu instid0(VALU_DEP_1)
	v_subrev_nc_u32_e32 v8, s25, v2
	s_branch .LBB45_18
.LBB45_17:                              ;   in Loop: Header=BB45_18 Depth=1
	s_or_b32 exec_lo, exec_lo, s16
	v_add_nc_u32_e32 v1, 8, v1
	s_delay_alu instid0(VALU_DEP_1) | instskip(SKIP_1) | instid1(SALU_CYCLE_1)
	v_cmp_le_i32_e32 vcc_lo, s1, v1
	s_or_b32 s15, vcc_lo, s15
	s_and_not1_b32 exec_lo, exec_lo, s15
	s_cbranch_execz .LBB45_33
.LBB45_18:                              ; =>This Loop Header: Depth=1
                                        ;     Child Loop BB45_21 Depth 2
                                        ;       Child Loop BB45_23 Depth 3
	v_ashrrev_i32_e32 v2, 31, v1
	s_mov_b32 s16, exec_lo
	s_delay_alu instid0(VALU_DEP_1) | instskip(NEXT) | instid1(VALU_DEP_1)
	v_lshlrev_b64 v[3:4], 2, v[1:2]
	v_add_co_u32 v3, vcc_lo, s18, v3
	s_delay_alu instid0(VALU_DEP_2) | instskip(SKIP_3) | instid1(VALU_DEP_1)
	v_add_co_ci_u32_e32 v4, vcc_lo, s19, v4, vcc_lo
	global_load_b32 v3, v[3:4], off
	s_waitcnt vmcnt(0)
	v_subrev_nc_u32_e32 v3, s24, v3
	v_ashrrev_i32_e32 v4, 31, v3
	s_delay_alu instid0(VALU_DEP_1) | instskip(NEXT) | instid1(VALU_DEP_1)
	v_lshlrev_b64 v[3:4], 2, v[3:4]
	v_add_co_u32 v3, vcc_lo, s22, v3
	s_delay_alu instid0(VALU_DEP_2) | instskip(SKIP_4) | instid1(VALU_DEP_1)
	v_add_co_ci_u32_e32 v4, vcc_lo, s23, v4, vcc_lo
	global_load_b64 v[3:4], v[3:4], off
	s_waitcnt vmcnt(0)
	v_subrev_nc_u32_e32 v9, s25, v4
	v_add_nc_u32_e32 v3, v3, v8
	v_cmpx_lt_i32_e64 v3, v9
	s_cbranch_execz .LBB45_17
; %bb.19:                               ;   in Loop: Header=BB45_18 Depth=1
	v_lshlrev_b64 v[10:11], 3, v[1:2]
	s_mov_b32 s17, 0
	s_delay_alu instid0(VALU_DEP_1) | instskip(NEXT) | instid1(VALU_DEP_2)
	v_add_co_u32 v10, vcc_lo, s20, v10
	v_add_co_ci_u32_e32 v11, vcc_lo, s21, v11, vcc_lo
	global_load_b64 v[11:12], v[10:11], off
	s_waitcnt vmcnt(0)
	v_mul_f32_e64 v2, v12, -s3
	v_mul_f32_e32 v10, s40, v12
	s_delay_alu instid0(VALU_DEP_2) | instskip(NEXT) | instid1(VALU_DEP_2)
	v_fmac_f32_e32 v2, s40, v11
	v_fmac_f32_e32 v10, s3, v11
	s_branch .LBB45_21
.LBB45_20:                              ;   in Loop: Header=BB45_21 Depth=2
	s_or_b32 exec_lo, exec_lo, s36
	v_add_nc_u32_e32 v3, 32, v3
	s_delay_alu instid0(VALU_DEP_1) | instskip(SKIP_1) | instid1(SALU_CYCLE_1)
	v_cmp_ge_i32_e32 vcc_lo, v3, v9
	s_or_b32 s17, vcc_lo, s17
	s_and_not1_b32 exec_lo, exec_lo, s17
	s_cbranch_execz .LBB45_17
.LBB45_21:                              ;   Parent Loop BB45_18 Depth=1
                                        ; =>  This Loop Header: Depth=2
                                        ;       Child Loop BB45_23 Depth 3
	v_ashrrev_i32_e32 v4, 31, v3
	s_mov_b32 s36, 0
	s_delay_alu instid0(VALU_DEP_1) | instskip(SKIP_1) | instid1(VALU_DEP_2)
	v_lshlrev_b64 v[11:12], 2, v[3:4]
	v_lshlrev_b64 v[13:14], 3, v[3:4]
	v_add_co_u32 v11, vcc_lo, s4, v11
	s_delay_alu instid0(VALU_DEP_3)
	v_add_co_ci_u32_e32 v12, vcc_lo, s5, v12, vcc_lo
	global_load_b32 v4, v[11:12], off
	v_add_co_u32 v11, vcc_lo, s6, v13
	v_add_co_ci_u32_e32 v12, vcc_lo, s7, v14, vcc_lo
	global_load_b64 v[13:14], v[11:12], off
	s_waitcnt vmcnt(1)
	v_subrev_nc_u32_e32 v4, s25, v4
	s_delay_alu instid0(VALU_DEP_1) | instskip(SKIP_3) | instid1(VALU_DEP_2)
	v_mul_lo_u32 v15, 0x89, v4
	s_waitcnt vmcnt(0)
	v_mul_f32_e64 v11, v14, -v10
	v_mul_f32_e32 v12, v2, v14
	v_fmac_f32_e32 v11, v2, v13
	s_delay_alu instid0(VALU_DEP_2)
	v_dual_fmac_f32 v12, v10, v13 :: v_dual_and_b32 v13, 0x1ff, v15
	s_branch .LBB45_23
.LBB45_22:                              ;   in Loop: Header=BB45_23 Depth=3
	s_or_b32 exec_lo, exec_lo, s37
	s_xor_b32 s37, s38, -1
	s_delay_alu instid0(SALU_CYCLE_1) | instskip(NEXT) | instid1(SALU_CYCLE_1)
	s_and_b32 s37, exec_lo, s37
	s_or_b32 s36, s37, s36
	s_delay_alu instid0(SALU_CYCLE_1)
	s_and_not1_b32 exec_lo, exec_lo, s36
	s_cbranch_execz .LBB45_20
.LBB45_23:                              ;   Parent Loop BB45_18 Depth=1
                                        ;     Parent Loop BB45_21 Depth=2
                                        ; =>    This Inner Loop Header: Depth=3
	s_delay_alu instid0(VALU_DEP_1)
	v_lshl_add_u32 v14, v13, 2, 0
	s_mov_b32 s37, exec_lo
                                        ; implicit-def: $sgpr38
	ds_load_b32 v15, v14
	s_waitcnt lgkmcnt(0)
	v_cmpx_ne_u32_e64 v15, v4
	s_xor_b32 s37, exec_lo, s37
	s_cbranch_execz .LBB45_31
; %bb.24:                               ;   in Loop: Header=BB45_23 Depth=3
	s_mov_b32 s39, exec_lo
                                        ; implicit-def: $sgpr38
	v_cmpx_ne_u32_e64 s14, v15
	s_xor_b32 s39, exec_lo, s39
; %bb.25:                               ;   in Loop: Header=BB45_23 Depth=3
	v_add_nc_u32_e32 v13, 1, v13
	s_mov_b32 s38, -1
                                        ; implicit-def: $vgpr14
	s_delay_alu instid0(VALU_DEP_1)
	v_and_b32_e32 v13, 0x1ff, v13
; %bb.26:                               ;   in Loop: Header=BB45_23 Depth=3
	s_and_not1_saveexec_b32 s39, s39
	s_cbranch_execz .LBB45_30
; %bb.27:                               ;   in Loop: Header=BB45_23 Depth=3
	v_mov_b32_e32 v15, s14
	s_mov_b32 s42, -1
	s_mov_b32 s43, exec_lo
	ds_cmpstore_rtn_b32 v15, v14, v4, v15
	s_waitcnt lgkmcnt(0)
	v_cmpx_eq_u32_e64 s14, v15
	s_cbranch_execz .LBB45_29
; %bb.28:                               ;   in Loop: Header=BB45_23 Depth=3
	v_lshl_add_u32 v14, v13, 2, v14
	s_xor_b32 s42, exec_lo, -1
	ds_add_f32 v14, v11 offset:2048
	ds_add_f32 v14, v12 offset:2052
.LBB45_29:                              ;   in Loop: Header=BB45_23 Depth=3
	s_or_b32 exec_lo, exec_lo, s43
	s_delay_alu instid0(SALU_CYCLE_1) | instskip(SKIP_1) | instid1(SALU_CYCLE_1)
	s_and_not1_b32 s38, s38, exec_lo
	s_and_b32 s42, s42, exec_lo
	s_or_b32 s38, s38, s42
.LBB45_30:                              ;   in Loop: Header=BB45_23 Depth=3
	s_or_b32 exec_lo, exec_lo, s39
	s_delay_alu instid0(SALU_CYCLE_1)
	s_and_b32 s38, s38, exec_lo
                                        ; implicit-def: $vgpr14
.LBB45_31:                              ;   in Loop: Header=BB45_23 Depth=3
	s_and_not1_saveexec_b32 s37, s37
	s_cbranch_execz .LBB45_22
; %bb.32:                               ;   in Loop: Header=BB45_23 Depth=3
	v_lshl_add_u32 v14, v13, 2, v14
	s_and_not1_b32 s38, s38, exec_lo
	ds_add_f32 v14, v11 offset:2048
	ds_add_f32 v14, v12 offset:2052
	s_branch .LBB45_22
.LBB45_33:
	s_or_b32 exec_lo, exec_lo, s9
.LBB45_34:
	s_delay_alu instid0(SALU_CYCLE_1)
	s_and_not1_b32 vcc_lo, exec_lo, s41
	s_cbranch_vccnz .LBB45_51
; %bb.35:
	s_waitcnt lgkmcnt(0)
	s_ashr_i32 s9, s8, 31
	v_subrev_nc_u32_e32 v1, s27, v0
	s_lshl_b64 s[4:5], s[8:9], 2
	s_mov_b32 s3, exec_lo
	s_add_u32 s4, s10, s4
	s_addc_u32 s5, s11, s5
	s_load_b64 s[4:5], s[4:5], 0x0
	s_waitcnt lgkmcnt(0)
	v_add_nc_u32_e32 v1, s4, v1
	s_sub_i32 s1, s5, s27
	s_delay_alu instid0(VALU_DEP_1) | instid1(SALU_CYCLE_1)
	v_cmpx_gt_i32_e64 s1, v1
	s_cbranch_execz .LBB45_50
; %bb.36:
	s_mov_b32 s4, 0
	s_branch .LBB45_38
.LBB45_37:                              ;   in Loop: Header=BB45_38 Depth=1
	s_or_b32 exec_lo, exec_lo, s5
	v_add_nc_u32_e32 v1, 0x100, v1
	s_delay_alu instid0(VALU_DEP_1) | instskip(SKIP_1) | instid1(SALU_CYCLE_1)
	v_cmp_le_i32_e32 vcc_lo, s1, v1
	s_or_b32 s4, vcc_lo, s4
	s_and_not1_b32 exec_lo, exec_lo, s4
	s_cbranch_execz .LBB45_50
.LBB45_38:                              ; =>This Loop Header: Depth=1
                                        ;     Child Loop BB45_40 Depth 2
	v_ashrrev_i32_e32 v2, 31, v1
	s_mov_b32 s5, 0
	s_delay_alu instid0(VALU_DEP_1) | instskip(SKIP_1) | instid1(VALU_DEP_2)
	v_lshlrev_b64 v[3:4], 2, v[1:2]
	v_lshlrev_b64 v[8:9], 3, v[1:2]
	v_add_co_u32 v3, vcc_lo, s28, v3
	s_delay_alu instid0(VALU_DEP_3) | instskip(NEXT) | instid1(VALU_DEP_3)
	v_add_co_ci_u32_e32 v4, vcc_lo, s29, v4, vcc_lo
	v_add_co_u32 v2, vcc_lo, s30, v8
	global_load_b32 v4, v[3:4], off
	v_add_co_ci_u32_e32 v3, vcc_lo, s31, v9, vcc_lo
	global_load_b64 v[8:9], v[2:3], off
	s_waitcnt vmcnt(1)
	v_subrev_nc_u32_e32 v2, s27, v4
	s_delay_alu instid0(VALU_DEP_1) | instskip(SKIP_2) | instid1(VALU_DEP_1)
	v_mul_lo_u32 v10, 0x89, v2
	s_waitcnt vmcnt(0)
	v_mul_f32_e64 v3, v9, -s33
	v_dual_mul_f32 v4, s2, v9 :: v_dual_fmac_f32 v3, s2, v8
	s_delay_alu instid0(VALU_DEP_1) | instskip(NEXT) | instid1(VALU_DEP_4)
	v_fmac_f32_e32 v4, s33, v8
	v_and_b32_e32 v8, 0x1ff, v10
	s_branch .LBB45_40
.LBB45_39:                              ;   in Loop: Header=BB45_40 Depth=2
	s_or_b32 exec_lo, exec_lo, s6
	s_xor_b32 s6, s7, -1
	s_delay_alu instid0(SALU_CYCLE_1) | instskip(NEXT) | instid1(SALU_CYCLE_1)
	s_and_b32 s6, exec_lo, s6
	s_or_b32 s5, s6, s5
	s_delay_alu instid0(SALU_CYCLE_1)
	s_and_not1_b32 exec_lo, exec_lo, s5
	s_cbranch_execz .LBB45_37
.LBB45_40:                              ;   Parent Loop BB45_38 Depth=1
                                        ; =>  This Inner Loop Header: Depth=2
	s_delay_alu instid0(VALU_DEP_1)
	v_lshl_add_u32 v9, v8, 2, 0
	s_mov_b32 s6, exec_lo
                                        ; implicit-def: $sgpr7
	ds_load_b32 v10, v9
	s_waitcnt lgkmcnt(0)
	v_cmpx_ne_u32_e64 v10, v2
	s_xor_b32 s6, exec_lo, s6
	s_cbranch_execz .LBB45_48
; %bb.41:                               ;   in Loop: Header=BB45_40 Depth=2
	s_mov_b32 s9, exec_lo
                                        ; implicit-def: $sgpr7
	v_cmpx_ne_u32_e64 s14, v10
	s_xor_b32 s9, exec_lo, s9
; %bb.42:                               ;   in Loop: Header=BB45_40 Depth=2
	v_add_nc_u32_e32 v8, 1, v8
	s_mov_b32 s7, -1
                                        ; implicit-def: $vgpr9
	s_delay_alu instid0(VALU_DEP_1)
	v_and_b32_e32 v8, 0x1ff, v8
; %bb.43:                               ;   in Loop: Header=BB45_40 Depth=2
	s_and_not1_saveexec_b32 s9, s9
	s_cbranch_execz .LBB45_47
; %bb.44:                               ;   in Loop: Header=BB45_40 Depth=2
	v_mov_b32_e32 v10, s14
	s_mov_b32 s10, -1
	s_mov_b32 s11, exec_lo
	ds_cmpstore_rtn_b32 v10, v9, v2, v10
	s_waitcnt lgkmcnt(0)
	v_cmpx_eq_u32_e64 s14, v10
	s_cbranch_execz .LBB45_46
; %bb.45:                               ;   in Loop: Header=BB45_40 Depth=2
	v_lshl_add_u32 v9, v8, 2, v9
	s_xor_b32 s10, exec_lo, -1
	ds_add_f32 v9, v3 offset:2048
	ds_add_f32 v9, v4 offset:2052
.LBB45_46:                              ;   in Loop: Header=BB45_40 Depth=2
	s_or_b32 exec_lo, exec_lo, s11
	s_delay_alu instid0(SALU_CYCLE_1) | instskip(SKIP_1) | instid1(SALU_CYCLE_1)
	s_and_not1_b32 s7, s7, exec_lo
	s_and_b32 s10, s10, exec_lo
	s_or_b32 s7, s7, s10
.LBB45_47:                              ;   in Loop: Header=BB45_40 Depth=2
	s_or_b32 exec_lo, exec_lo, s9
	s_delay_alu instid0(SALU_CYCLE_1)
	s_and_b32 s7, s7, exec_lo
                                        ; implicit-def: $vgpr9
.LBB45_48:                              ;   in Loop: Header=BB45_40 Depth=2
	s_and_not1_saveexec_b32 s6, s6
	s_cbranch_execz .LBB45_39
; %bb.49:                               ;   in Loop: Header=BB45_40 Depth=2
	v_lshl_add_u32 v9, v8, 2, v9
	s_and_not1_b32 s7, s7, exec_lo
	ds_add_f32 v9, v3 offset:2048
	ds_add_f32 v9, v4 offset:2052
	s_branch .LBB45_39
.LBB45_50:
	s_or_b32 exec_lo, exec_lo, s3
.LBB45_51:
	s_waitcnt lgkmcnt(0)
	s_barrier
	buffer_gl0_inv
	s_and_saveexec_b32 s4, s0
	s_cbranch_execz .LBB45_64
; %bb.52:
	v_mbcnt_lo_u32_b32 v1, -1, 0
	v_lshrrev_b32_e32 v2, 4, v0
	v_cmp_eq_u32_e32 vcc_lo, 0xff, v0
	v_cmp_lt_u32_e64 s0, 63, v0
	v_cmp_lt_u32_e64 s1, 0x7f, v0
	v_xor_b32_e32 v1, 63, v1
	v_dual_mov_b32 v8, 0 :: v_dual_and_b32 v3, 12, v2
	v_cmp_lt_u32_e64 s2, 0xbf, v0
	v_add3_u32 v4, v7, 0, 0x800
	s_delay_alu instid0(VALU_DEP_4) | instskip(NEXT) | instid1(VALU_DEP_4)
	v_lshrrev_b64 v[1:2], v1, -1
	v_add_nc_u32_e32 v7, 0, v3
	v_mov_b32_e32 v9, 0
	s_mov_b32 s5, 0
	s_branch .LBB45_54
.LBB45_53:                              ;   in Loop: Header=BB45_54 Depth=1
	s_or_b32 exec_lo, exec_lo, s3
	s_waitcnt lgkmcnt(0)
	s_barrier
	buffer_gl0_inv
	ds_load_b32 v2, v8 offset:6156
	v_add_co_u32 v5, s3, 0x100, v5
	s_delay_alu instid0(VALU_DEP_1) | instskip(SKIP_3) | instid1(SALU_CYCLE_1)
	s_xor_b32 s3, s3, -1
	v_add_nc_u32_e32 v4, 0x800, v4
	v_add_nc_u32_e32 v6, 0x400, v6
	s_and_b32 s3, exec_lo, s3
	s_or_b32 s5, s3, s5
	s_waitcnt lgkmcnt(0)
	v_add_nc_u32_e32 v9, v2, v9
	s_and_not1_b32 exec_lo, exec_lo, s5
	s_cbranch_execz .LBB45_64
.LBB45_54:                              ; =>This Inner Loop Header: Depth=1
	ds_load_b32 v10, v6
	ds_load_2addr_b32 v[2:3], v4 offset1:1
	s_waitcnt lgkmcnt(0)
	s_barrier
	buffer_gl0_inv
	v_cmp_gt_i32_e64 s3, s14, v10
	s_delay_alu instid0(VALU_DEP_1) | instskip(NEXT) | instid1(SALU_CYCLE_1)
	s_bcnt1_i32_b32 s6, s3
	v_dual_mov_b32 v12, s6 :: v_dual_and_b32 v11, s3, v1
	s_delay_alu instid0(VALU_DEP_1)
	v_bcnt_u32_b32 v11, v11, 0
	ds_store_b32 v7, v12 offset:6144
	s_waitcnt lgkmcnt(0)
	s_barrier
	buffer_gl0_inv
	s_and_saveexec_b32 s6, s0
	s_cbranch_execnz .LBB45_59
; %bb.55:                               ;   in Loop: Header=BB45_54 Depth=1
	s_or_b32 exec_lo, exec_lo, s6
	s_and_saveexec_b32 s6, s1
	s_cbranch_execnz .LBB45_60
.LBB45_56:                              ;   in Loop: Header=BB45_54 Depth=1
	s_or_b32 exec_lo, exec_lo, s6
	s_and_saveexec_b32 s6, s2
	s_cbranch_execnz .LBB45_61
.LBB45_57:                              ;   in Loop: Header=BB45_54 Depth=1
	s_or_b32 exec_lo, exec_lo, s6
	s_and_saveexec_b32 s6, s3
	s_cbranch_execnz .LBB45_62
.LBB45_58:                              ;   in Loop: Header=BB45_54 Depth=1
	s_or_b32 exec_lo, exec_lo, s6
	s_and_saveexec_b32 s3, vcc_lo
	s_cbranch_execz .LBB45_53
	s_branch .LBB45_63
.LBB45_59:                              ;   in Loop: Header=BB45_54 Depth=1
	ds_load_b32 v12, v8 offset:6144
	s_waitcnt lgkmcnt(0)
	v_add_nc_u32_e32 v11, v12, v11
	s_or_b32 exec_lo, exec_lo, s6
	s_and_saveexec_b32 s6, s1
	s_cbranch_execz .LBB45_56
.LBB45_60:                              ;   in Loop: Header=BB45_54 Depth=1
	ds_load_b32 v12, v8 offset:6148
	s_waitcnt lgkmcnt(0)
	v_add_nc_u32_e32 v11, v12, v11
	s_or_b32 exec_lo, exec_lo, s6
	s_and_saveexec_b32 s6, s2
	s_cbranch_execz .LBB45_57
.LBB45_61:                              ;   in Loop: Header=BB45_54 Depth=1
	ds_load_b32 v12, v8 offset:6152
	s_waitcnt lgkmcnt(0)
	v_add_nc_u32_e32 v11, v12, v11
	s_or_b32 exec_lo, exec_lo, s6
	s_and_saveexec_b32 s6, s3
	s_cbranch_execz .LBB45_58
.LBB45_62:                              ;   in Loop: Header=BB45_54 Depth=1
	s_delay_alu instid0(VALU_DEP_1) | instskip(NEXT) | instid1(VALU_DEP_1)
	v_add3_u32 v12, v9, -1, v11
	v_lshlrev_b32_e32 v13, 3, v12
	v_lshl_add_u32 v12, v12, 2, 0
	s_delay_alu instid0(VALU_DEP_2)
	v_add3_u32 v13, 0, v13, 0x800
	ds_store_b32 v12, v10
	ds_store_2addr_b32 v13, v2, v3 offset1:1
	s_or_b32 exec_lo, exec_lo, s6
	s_and_saveexec_b32 s3, vcc_lo
	s_cbranch_execz .LBB45_53
.LBB45_63:                              ;   in Loop: Header=BB45_54 Depth=1
	ds_store_b32 v8, v11 offset:6156
	s_branch .LBB45_53
.LBB45_64:
	s_or_b32 exec_lo, exec_lo, s4
	s_ashr_i32 s9, s8, 31
	s_mov_b32 s3, exec_lo
	s_lshl_b64 s[0:1], s[8:9], 2
	s_delay_alu instid0(SALU_CYCLE_1) | instskip(SKIP_4) | instid1(SALU_CYCLE_1)
	s_add_u32 s0, s34, s0
	s_addc_u32 s1, s35, s1
	s_load_b64 s[0:1], s[0:1], 0x0
	s_waitcnt lgkmcnt(0)
	s_sub_i32 s2, s1, s0
	v_cmpx_gt_i32_e64 s2, v0
	s_cbranch_execz .LBB45_74
; %bb.65:
	s_sub_i32 s3, s0, s26
	s_sub_i32 s0, s0, s1
	s_and_b32 s1, s2, 7
	s_cmp_lt_u32 s0, -7
	s_mov_b32 s7, 0
	s_cselect_b32 s4, -1, 0
	s_and_b32 s5, s2, -8
	s_cmp_lg_u32 s1, 0
	s_cselect_b32 s6, -1, 0
	s_branch .LBB45_67
.LBB45_66:                              ;   in Loop: Header=BB45_67 Depth=1
	s_waitcnt lgkmcnt(1)
	s_delay_alu instid0(VALU_DEP_1) | instskip(SKIP_1) | instid1(VALU_DEP_2)
	v_ashrrev_i32_e32 v4, 31, v3
	v_add_nc_u32_e32 v0, 0x100, v0
	v_lshlrev_b64 v[3:4], 3, v[3:4]
	s_delay_alu instid0(VALU_DEP_2) | instskip(SKIP_1) | instid1(VALU_DEP_2)
	v_cmp_le_i32_e32 vcc_lo, s2, v0
	s_or_b32 s7, vcc_lo, s7
	v_add_co_u32 v3, s0, s12, v3
	s_delay_alu instid0(VALU_DEP_1)
	v_add_co_ci_u32_e64 v4, s0, s13, v4, s0
	s_waitcnt lgkmcnt(0)
	global_store_b64 v[3:4], v[1:2], off
	s_and_not1_b32 exec_lo, exec_lo, s7
	s_cbranch_execz .LBB45_74
.LBB45_67:                              ; =>This Loop Header: Depth=1
                                        ;     Child Loop BB45_69 Depth 2
                                        ;     Child Loop BB45_73 Depth 2
	v_lshlrev_b32_e32 v1, 2, v0
	s_and_not1_b32 vcc_lo, exec_lo, s4
	s_mov_b32 s0, 0
	s_delay_alu instid0(VALU_DEP_1) | instskip(NEXT) | instid1(VALU_DEP_1)
	v_dual_mov_b32 v3, s3 :: v_dual_add_nc_u32 v2, 0, v1
	v_add3_u32 v1, v2, v1, 0x800
	ds_load_b32 v4, v2
	ds_load_2addr_b32 v[1:2], v1 offset1:1
	s_cbranch_vccnz .LBB45_71
; %bb.68:                               ;   in Loop: Header=BB45_67 Depth=1
	v_mov_b32_e32 v3, s3
	s_mov_b32 s8, 0
	s_set_inst_prefetch_distance 0x1
	.p2align	6
.LBB45_69:                              ;   Parent Loop BB45_67 Depth=1
                                        ; =>  This Inner Loop Header: Depth=2
	v_mov_b32_e32 v11, s8
	s_add_i32 s0, s0, 8
	s_add_i32 s8, s8, 32
	s_cmp_eq_u32 s5, s0
	ds_load_2addr_b32 v[5:6], v11 offset1:1
	ds_load_2addr_b32 v[7:8], v11 offset0:2 offset1:3
	ds_load_2addr_b32 v[9:10], v11 offset0:4 offset1:5
	;; [unrolled: 1-line block ×3, first 2 shown]
	s_waitcnt lgkmcnt(3)
	v_cmp_gt_i32_e32 vcc_lo, v4, v5
	v_cndmask_b32_e64 v5, 0, 1, vcc_lo
	s_waitcnt lgkmcnt(2)
	v_cmp_gt_i32_e32 vcc_lo, v4, v7
	v_cndmask_b32_e64 v7, 0, 1, vcc_lo
	v_cmp_gt_i32_e32 vcc_lo, v4, v6
	v_add_co_ci_u32_e32 v3, vcc_lo, v3, v5, vcc_lo
	s_waitcnt lgkmcnt(1)
	v_cmp_gt_i32_e32 vcc_lo, v4, v9
	v_cndmask_b32_e64 v5, 0, 1, vcc_lo
	v_cmp_gt_i32_e32 vcc_lo, v4, v8
	v_add_co_ci_u32_e32 v3, vcc_lo, v3, v7, vcc_lo
	;; [unrolled: 5-line block ×3, first 2 shown]
	v_cmp_gt_i32_e32 vcc_lo, v4, v12
	s_delay_alu instid0(VALU_DEP_2)
	v_add_co_ci_u32_e32 v3, vcc_lo, v3, v6, vcc_lo
	s_cbranch_scc0 .LBB45_69
; %bb.70:                               ;   in Loop: Header=BB45_67 Depth=1
	s_set_inst_prefetch_distance 0x2
	s_mov_b32 s0, s5
.LBB45_71:                              ;   in Loop: Header=BB45_67 Depth=1
	s_and_not1_b32 vcc_lo, exec_lo, s6
	s_cbranch_vccnz .LBB45_66
; %bb.72:                               ;   in Loop: Header=BB45_67 Depth=1
	s_lshl_b32 s0, s0, 2
	s_mov_b32 s8, s1
	s_add_i32 s0, s0, 0
.LBB45_73:                              ;   Parent Loop BB45_67 Depth=1
                                        ; =>  This Inner Loop Header: Depth=2
	s_delay_alu instid0(SALU_CYCLE_1)
	v_mov_b32_e32 v5, s0
	s_add_i32 s8, s8, -1
	s_add_i32 s0, s0, 4
	s_cmp_lg_u32 s8, 0
	ds_load_b32 v5, v5
	s_waitcnt lgkmcnt(0)
	v_cmp_gt_i32_e32 vcc_lo, v4, v5
	v_add_co_ci_u32_e32 v3, vcc_lo, 0, v3, vcc_lo
	s_cbranch_scc1 .LBB45_73
	s_branch .LBB45_66
.LBB45_74:
	s_nop 0
	s_sendmsg sendmsg(MSG_DEALLOC_VGPRS)
	s_endpgm
	.section	.rodata,"a",@progbits
	.p2align	6, 0x0
	.amdhsa_kernel _ZN9rocsparseL41csrgemm_numeric_fill_block_per_row_kernelILj256ELj32ELj512ELj137ELj64Eii21rocsparse_complex_numIfEEEvT5_PKS3_S5_NS_24const_host_device_scalarIT6_EEPKT4_S5_PKS7_SB_S5_SD_S8_SB_S5_SD_SB_S5_PS7_21rocsparse_index_base_SF_SF_SF_bbb
		.amdhsa_group_segment_fixed_size 0
		.amdhsa_private_segment_fixed_size 0
		.amdhsa_kernarg_size 156
		.amdhsa_user_sgpr_count 15
		.amdhsa_user_sgpr_dispatch_ptr 0
		.amdhsa_user_sgpr_queue_ptr 0
		.amdhsa_user_sgpr_kernarg_segment_ptr 1
		.amdhsa_user_sgpr_dispatch_id 0
		.amdhsa_user_sgpr_private_segment_size 0
		.amdhsa_wavefront_size32 1
		.amdhsa_uses_dynamic_stack 0
		.amdhsa_enable_private_segment 0
		.amdhsa_system_sgpr_workgroup_id_x 1
		.amdhsa_system_sgpr_workgroup_id_y 0
		.amdhsa_system_sgpr_workgroup_id_z 0
		.amdhsa_system_sgpr_workgroup_info 0
		.amdhsa_system_vgpr_workitem_id 0
		.amdhsa_next_free_vgpr 16
		.amdhsa_next_free_sgpr 44
		.amdhsa_reserve_vcc 1
		.amdhsa_float_round_mode_32 0
		.amdhsa_float_round_mode_16_64 0
		.amdhsa_float_denorm_mode_32 3
		.amdhsa_float_denorm_mode_16_64 3
		.amdhsa_dx10_clamp 1
		.amdhsa_ieee_mode 1
		.amdhsa_fp16_overflow 0
		.amdhsa_workgroup_processor_mode 1
		.amdhsa_memory_ordered 1
		.amdhsa_forward_progress 0
		.amdhsa_shared_vgpr_count 0
		.amdhsa_exception_fp_ieee_invalid_op 0
		.amdhsa_exception_fp_denorm_src 0
		.amdhsa_exception_fp_ieee_div_zero 0
		.amdhsa_exception_fp_ieee_overflow 0
		.amdhsa_exception_fp_ieee_underflow 0
		.amdhsa_exception_fp_ieee_inexact 0
		.amdhsa_exception_int_div_zero 0
	.end_amdhsa_kernel
	.section	.text._ZN9rocsparseL41csrgemm_numeric_fill_block_per_row_kernelILj256ELj32ELj512ELj137ELj64Eii21rocsparse_complex_numIfEEEvT5_PKS3_S5_NS_24const_host_device_scalarIT6_EEPKT4_S5_PKS7_SB_S5_SD_S8_SB_S5_SD_SB_S5_PS7_21rocsparse_index_base_SF_SF_SF_bbb,"axG",@progbits,_ZN9rocsparseL41csrgemm_numeric_fill_block_per_row_kernelILj256ELj32ELj512ELj137ELj64Eii21rocsparse_complex_numIfEEEvT5_PKS3_S5_NS_24const_host_device_scalarIT6_EEPKT4_S5_PKS7_SB_S5_SD_S8_SB_S5_SD_SB_S5_PS7_21rocsparse_index_base_SF_SF_SF_bbb,comdat
.Lfunc_end45:
	.size	_ZN9rocsparseL41csrgemm_numeric_fill_block_per_row_kernelILj256ELj32ELj512ELj137ELj64Eii21rocsparse_complex_numIfEEEvT5_PKS3_S5_NS_24const_host_device_scalarIT6_EEPKT4_S5_PKS7_SB_S5_SD_S8_SB_S5_SD_SB_S5_PS7_21rocsparse_index_base_SF_SF_SF_bbb, .Lfunc_end45-_ZN9rocsparseL41csrgemm_numeric_fill_block_per_row_kernelILj256ELj32ELj512ELj137ELj64Eii21rocsparse_complex_numIfEEEvT5_PKS3_S5_NS_24const_host_device_scalarIT6_EEPKT4_S5_PKS7_SB_S5_SD_S8_SB_S5_SD_SB_S5_PS7_21rocsparse_index_base_SF_SF_SF_bbb
                                        ; -- End function
	.section	.AMDGPU.csdata,"",@progbits
; Kernel info:
; codeLenInByte = 2748
; NumSgprs: 46
; NumVgprs: 16
; ScratchSize: 0
; MemoryBound: 0
; FloatMode: 240
; IeeeMode: 1
; LDSByteSize: 0 bytes/workgroup (compile time only)
; SGPRBlocks: 5
; VGPRBlocks: 1
; NumSGPRsForWavesPerEU: 46
; NumVGPRsForWavesPerEU: 16
; Occupancy: 16
; WaveLimiterHint : 1
; COMPUTE_PGM_RSRC2:SCRATCH_EN: 0
; COMPUTE_PGM_RSRC2:USER_SGPR: 15
; COMPUTE_PGM_RSRC2:TRAP_HANDLER: 0
; COMPUTE_PGM_RSRC2:TGID_X_EN: 1
; COMPUTE_PGM_RSRC2:TGID_Y_EN: 0
; COMPUTE_PGM_RSRC2:TGID_Z_EN: 0
; COMPUTE_PGM_RSRC2:TIDIG_COMP_CNT: 0
	.section	.text._ZN9rocsparseL41csrgemm_numeric_fill_block_per_row_kernelILj512ELj32ELj1024ELj137ELj32Eii21rocsparse_complex_numIfEEEvT5_PKS3_S5_NS_24const_host_device_scalarIT6_EEPKT4_S5_PKS7_SB_S5_SD_S8_SB_S5_SD_SB_S5_PS7_21rocsparse_index_base_SF_SF_SF_bbb,"axG",@progbits,_ZN9rocsparseL41csrgemm_numeric_fill_block_per_row_kernelILj512ELj32ELj1024ELj137ELj32Eii21rocsparse_complex_numIfEEEvT5_PKS3_S5_NS_24const_host_device_scalarIT6_EEPKT4_S5_PKS7_SB_S5_SD_S8_SB_S5_SD_SB_S5_PS7_21rocsparse_index_base_SF_SF_SF_bbb,comdat
	.globl	_ZN9rocsparseL41csrgemm_numeric_fill_block_per_row_kernelILj512ELj32ELj1024ELj137ELj32Eii21rocsparse_complex_numIfEEEvT5_PKS3_S5_NS_24const_host_device_scalarIT6_EEPKT4_S5_PKS7_SB_S5_SD_S8_SB_S5_SD_SB_S5_PS7_21rocsparse_index_base_SF_SF_SF_bbb ; -- Begin function _ZN9rocsparseL41csrgemm_numeric_fill_block_per_row_kernelILj512ELj32ELj1024ELj137ELj32Eii21rocsparse_complex_numIfEEEvT5_PKS3_S5_NS_24const_host_device_scalarIT6_EEPKT4_S5_PKS7_SB_S5_SD_S8_SB_S5_SD_SB_S5_PS7_21rocsparse_index_base_SF_SF_SF_bbb
	.p2align	8
	.type	_ZN9rocsparseL41csrgemm_numeric_fill_block_per_row_kernelILj512ELj32ELj1024ELj137ELj32Eii21rocsparse_complex_numIfEEEvT5_PKS3_S5_NS_24const_host_device_scalarIT6_EEPKT4_S5_PKS7_SB_S5_SD_S8_SB_S5_SD_SB_S5_PS7_21rocsparse_index_base_SF_SF_SF_bbb,@function
_ZN9rocsparseL41csrgemm_numeric_fill_block_per_row_kernelILj512ELj32ELj1024ELj137ELj32Eii21rocsparse_complex_numIfEEEvT5_PKS3_S5_NS_24const_host_device_scalarIT6_EEPKT4_S5_PKS7_SB_S5_SD_S8_SB_S5_SD_SB_S5_PS7_21rocsparse_index_base_SF_SF_SF_bbb: ; @_ZN9rocsparseL41csrgemm_numeric_fill_block_per_row_kernelILj512ELj32ELj1024ELj137ELj32Eii21rocsparse_complex_numIfEEEvT5_PKS3_S5_NS_24const_host_device_scalarIT6_EEPKT4_S5_PKS7_SB_S5_SD_S8_SB_S5_SD_SB_S5_PS7_21rocsparse_index_base_SF_SF_SF_bbb
; %bb.0:
	s_clause 0x7
	s_load_b32 s12, s[0:1], 0x98
	s_load_b64 s[40:41], s[0:1], 0x70
	s_load_b128 s[28:31], s[0:1], 0x60
	s_load_b256 s[4:11], s[0:1], 0x40
	s_load_b128 s[36:39], s[0:1], 0x8
	s_load_b256 s[16:23], s[0:1], 0x20
	s_load_b64 s[34:35], s[0:1], 0x80
	s_load_b128 s[24:27], s[0:1], 0x88
	s_mov_b32 s3, 0
	s_mov_b32 s13, 0
	s_waitcnt lgkmcnt(0)
	s_bitcmp1_b32 s12, 0
	s_cselect_b32 s42, -1, 0
	s_bitcmp1_b32 s12, 16
	s_cselect_b32 s2, -1, 0
	s_delay_alu instid0(SALU_CYCLE_1) | instskip(SKIP_2) | instid1(VALU_DEP_1)
	s_xor_b32 s14, s2, -1
	s_bitcmp0_b32 s12, 0
	v_cndmask_b32_e64 v1, 0, 1, s14
	v_cmp_ne_u32_e32 vcc_lo, 1, v1
	s_cbranch_scc1 .LBB46_5
; %bb.1:
	s_load_b64 s[2:3], s[0:1], 0x18
	s_and_b32 vcc_lo, exec_lo, vcc_lo
	s_waitcnt lgkmcnt(0)
	s_mov_b32 s13, s2
	s_cbranch_vccnz .LBB46_3
; %bb.2:
	s_load_b32 s13, s[2:3], 0x0
.LBB46_3:
	s_and_not1_b32 vcc_lo, exec_lo, s14
	s_cbranch_vccnz .LBB46_5
; %bb.4:
	s_load_b32 s3, s[2:3], 0x4
.LBB46_5:
	s_bitcmp1_b32 s12, 8
	s_cselect_b32 s14, -1, 0
	s_bfe_u32 s2, s12, 0x10008
	s_mov_b32 s12, 0
	s_cmp_eq_u32 s2, 0
	s_mov_b32 s2, 0
	s_cbranch_scc1 .LBB46_11
; %bb.6:
	v_cmp_ne_u32_e32 vcc_lo, 1, v1
	s_mov_b32 s2, s8
	s_cbranch_vccnz .LBB46_8
; %bb.7:
	s_load_b32 s2, s[8:9], 0x0
.LBB46_8:
	v_cmp_ne_u32_e32 vcc_lo, 1, v1
	s_cbranch_vccnz .LBB46_10
; %bb.9:
	s_load_b32 s9, s[8:9], 0x4
.LBB46_10:
	s_waitcnt lgkmcnt(0)
	s_mov_b32 s12, s9
.LBB46_11:
	s_load_b32 s33, s[0:1], 0x0
	v_lshl_add_u32 v5, v0, 2, 0
	v_lshlrev_b32_e32 v1, 3, v0
	v_or_b32_e32 v6, 0xfffffe00, v0
	s_mov_b32 s0, 0
	s_delay_alu instid0(VALU_DEP_3) | instskip(NEXT) | instid1(VALU_DEP_3)
	v_mov_b32_e32 v2, v5
	v_add3_u32 v7, v1, 0, 0x1000
	v_mov_b32_e32 v1, 0
	s_delay_alu instid0(VALU_DEP_2)
	v_dual_mov_b32 v3, v6 :: v_dual_mov_b32 v8, v7
	s_waitcnt lgkmcnt(0)
	v_mov_b32_e32 v4, s33
.LBB46_12:                              ; =>This Inner Loop Header: Depth=1
	s_delay_alu instid0(VALU_DEP_2) | instskip(NEXT) | instid1(VALU_DEP_1)
	v_add_co_u32 v3, s1, 0x200, v3
	s_xor_b32 s1, s1, -1
	ds_store_b32 v2, v4
	ds_store_2addr_b32 v8, v1, v1 offset1:1
	v_add_nc_u32_e32 v8, 0x1000, v8
	v_add_nc_u32_e32 v2, 0x800, v2
	s_and_b32 s1, exec_lo, s1
	s_delay_alu instid0(SALU_CYCLE_1) | instskip(NEXT) | instid1(SALU_CYCLE_1)
	s_or_b32 s0, s1, s0
	s_and_not1_b32 exec_lo, exec_lo, s0
	s_cbranch_execnz .LBB46_12
; %bb.13:
	s_or_b32 exec_lo, exec_lo, s0
	s_waitcnt lgkmcnt(0)
	s_barrier
	buffer_gl0_inv
	s_load_b32 s0, s[36:37], 0x0
	s_mov_b32 s1, 0
	v_lshrrev_b32_e32 v8, 5, v0
	s_waitcnt lgkmcnt(0)
	s_add_i32 s0, s0, s15
	s_delay_alu instid0(SALU_CYCLE_1) | instskip(NEXT) | instid1(SALU_CYCLE_1)
	s_lshl_b64 s[0:1], s[0:1], 2
	s_add_u32 s0, s38, s0
	s_addc_u32 s1, s39, s1
	s_and_b32 vcc_lo, exec_lo, s42
	s_load_b32 s36, s[0:1], 0x0
	s_cbranch_vccz .LBB46_33
; %bb.14:
	s_waitcnt lgkmcnt(0)
	s_ashr_i32 s37, s36, 31
	v_subrev_nc_u32_e32 v1, s24, v8
	s_lshl_b64 s[0:1], s[36:37], 2
	s_delay_alu instid0(SALU_CYCLE_1)
	s_add_u32 s0, s16, s0
	s_addc_u32 s1, s17, s1
	s_load_b64 s[0:1], s[0:1], 0x0
	s_waitcnt lgkmcnt(0)
	v_add_nc_u32_e32 v1, s0, v1
	s_sub_i32 s0, s1, s24
	s_mov_b32 s1, exec_lo
	s_delay_alu instid0(VALU_DEP_1)
	v_cmpx_gt_i32_e64 s0, v1
	s_cbranch_execz .LBB46_32
; %bb.15:
	v_and_b32_e32 v2, 31, v0
	s_mov_b32 s8, 0
	s_delay_alu instid0(VALU_DEP_1)
	v_subrev_nc_u32_e32 v9, s25, v2
	s_branch .LBB46_17
.LBB46_16:                              ;   in Loop: Header=BB46_17 Depth=1
	s_or_b32 exec_lo, exec_lo, s9
	v_add_nc_u32_e32 v1, 16, v1
	s_delay_alu instid0(VALU_DEP_1) | instskip(SKIP_1) | instid1(SALU_CYCLE_1)
	v_cmp_le_i32_e32 vcc_lo, s0, v1
	s_or_b32 s8, vcc_lo, s8
	s_and_not1_b32 exec_lo, exec_lo, s8
	s_cbranch_execz .LBB46_32
.LBB46_17:                              ; =>This Loop Header: Depth=1
                                        ;     Child Loop BB46_20 Depth 2
                                        ;       Child Loop BB46_22 Depth 3
	v_ashrrev_i32_e32 v2, 31, v1
	s_mov_b32 s9, exec_lo
	s_delay_alu instid0(VALU_DEP_1) | instskip(NEXT) | instid1(VALU_DEP_1)
	v_lshlrev_b64 v[3:4], 2, v[1:2]
	v_add_co_u32 v3, vcc_lo, s18, v3
	s_delay_alu instid0(VALU_DEP_2) | instskip(SKIP_3) | instid1(VALU_DEP_1)
	v_add_co_ci_u32_e32 v4, vcc_lo, s19, v4, vcc_lo
	global_load_b32 v3, v[3:4], off
	s_waitcnt vmcnt(0)
	v_subrev_nc_u32_e32 v3, s24, v3
	v_ashrrev_i32_e32 v4, 31, v3
	s_delay_alu instid0(VALU_DEP_1) | instskip(NEXT) | instid1(VALU_DEP_1)
	v_lshlrev_b64 v[3:4], 2, v[3:4]
	v_add_co_u32 v3, vcc_lo, s22, v3
	s_delay_alu instid0(VALU_DEP_2) | instskip(SKIP_4) | instid1(VALU_DEP_1)
	v_add_co_ci_u32_e32 v4, vcc_lo, s23, v4, vcc_lo
	global_load_b64 v[3:4], v[3:4], off
	s_waitcnt vmcnt(0)
	v_subrev_nc_u32_e32 v10, s25, v4
	v_add_nc_u32_e32 v3, v3, v9
	v_cmpx_lt_i32_e64 v3, v10
	s_cbranch_execz .LBB46_16
; %bb.18:                               ;   in Loop: Header=BB46_17 Depth=1
	v_lshlrev_b64 v[11:12], 3, v[1:2]
	s_mov_b32 s15, 0
	s_delay_alu instid0(VALU_DEP_1) | instskip(NEXT) | instid1(VALU_DEP_2)
	v_add_co_u32 v11, vcc_lo, s20, v11
	v_add_co_ci_u32_e32 v12, vcc_lo, s21, v12, vcc_lo
	global_load_b64 v[12:13], v[11:12], off
	s_waitcnt vmcnt(0)
	v_mul_f32_e64 v2, v13, -s3
	s_delay_alu instid0(VALU_DEP_1) | instskip(NEXT) | instid1(VALU_DEP_1)
	v_dual_mul_f32 v11, s13, v13 :: v_dual_fmac_f32 v2, s13, v12
	v_fmac_f32_e32 v11, s3, v12
	s_branch .LBB46_20
.LBB46_19:                              ;   in Loop: Header=BB46_20 Depth=2
	s_or_b32 exec_lo, exec_lo, s16
	v_add_nc_u32_e32 v3, 32, v3
	s_delay_alu instid0(VALU_DEP_1) | instskip(SKIP_1) | instid1(SALU_CYCLE_1)
	v_cmp_ge_i32_e32 vcc_lo, v3, v10
	s_or_b32 s15, vcc_lo, s15
	s_and_not1_b32 exec_lo, exec_lo, s15
	s_cbranch_execz .LBB46_16
.LBB46_20:                              ;   Parent Loop BB46_17 Depth=1
                                        ; =>  This Loop Header: Depth=2
                                        ;       Child Loop BB46_22 Depth 3
	v_ashrrev_i32_e32 v4, 31, v3
	s_mov_b32 s16, 0
	s_delay_alu instid0(VALU_DEP_1) | instskip(SKIP_1) | instid1(VALU_DEP_2)
	v_lshlrev_b64 v[12:13], 2, v[3:4]
	v_lshlrev_b64 v[14:15], 3, v[3:4]
	v_add_co_u32 v12, vcc_lo, s4, v12
	s_delay_alu instid0(VALU_DEP_3)
	v_add_co_ci_u32_e32 v13, vcc_lo, s5, v13, vcc_lo
	global_load_b32 v4, v[12:13], off
	v_add_co_u32 v12, vcc_lo, s6, v14
	v_add_co_ci_u32_e32 v13, vcc_lo, s7, v15, vcc_lo
	global_load_b64 v[14:15], v[12:13], off
	s_waitcnt vmcnt(1)
	v_subrev_nc_u32_e32 v4, s25, v4
	s_delay_alu instid0(VALU_DEP_1) | instskip(SKIP_3) | instid1(VALU_DEP_2)
	v_mul_lo_u32 v16, 0x89, v4
	s_waitcnt vmcnt(0)
	v_mul_f32_e64 v12, v15, -v11
	v_mul_f32_e32 v13, v2, v15
	v_fmac_f32_e32 v12, v2, v14
	s_delay_alu instid0(VALU_DEP_2)
	v_dual_fmac_f32 v13, v11, v14 :: v_dual_and_b32 v14, 0x3ff, v16
	s_branch .LBB46_22
.LBB46_21:                              ;   in Loop: Header=BB46_22 Depth=3
	s_or_b32 exec_lo, exec_lo, s17
	s_xor_b32 s17, s37, -1
	s_delay_alu instid0(SALU_CYCLE_1) | instskip(NEXT) | instid1(SALU_CYCLE_1)
	s_and_b32 s17, exec_lo, s17
	s_or_b32 s16, s17, s16
	s_delay_alu instid0(SALU_CYCLE_1)
	s_and_not1_b32 exec_lo, exec_lo, s16
	s_cbranch_execz .LBB46_19
.LBB46_22:                              ;   Parent Loop BB46_17 Depth=1
                                        ;     Parent Loop BB46_20 Depth=2
                                        ; =>    This Inner Loop Header: Depth=3
	s_delay_alu instid0(VALU_DEP_1)
	v_lshl_add_u32 v15, v14, 2, 0
	s_mov_b32 s17, exec_lo
                                        ; implicit-def: $sgpr37
	ds_load_b32 v16, v15
	s_waitcnt lgkmcnt(0)
	v_cmpx_ne_u32_e64 v16, v4
	s_xor_b32 s17, exec_lo, s17
	s_cbranch_execz .LBB46_30
; %bb.23:                               ;   in Loop: Header=BB46_22 Depth=3
	s_mov_b32 s38, exec_lo
                                        ; implicit-def: $sgpr37
	v_cmpx_ne_u32_e64 s33, v16
	s_xor_b32 s38, exec_lo, s38
; %bb.24:                               ;   in Loop: Header=BB46_22 Depth=3
	v_add_nc_u32_e32 v14, 1, v14
	s_mov_b32 s37, -1
                                        ; implicit-def: $vgpr15
	s_delay_alu instid0(VALU_DEP_1)
	v_and_b32_e32 v14, 0x3ff, v14
; %bb.25:                               ;   in Loop: Header=BB46_22 Depth=3
	s_and_not1_saveexec_b32 s38, s38
	s_cbranch_execz .LBB46_29
; %bb.26:                               ;   in Loop: Header=BB46_22 Depth=3
	v_mov_b32_e32 v16, s33
	s_mov_b32 s39, -1
	s_mov_b32 s42, exec_lo
	ds_cmpstore_rtn_b32 v16, v15, v4, v16
	s_waitcnt lgkmcnt(0)
	v_cmpx_eq_u32_e64 s33, v16
	s_cbranch_execz .LBB46_28
; %bb.27:                               ;   in Loop: Header=BB46_22 Depth=3
	v_lshl_add_u32 v15, v14, 2, v15
	s_xor_b32 s39, exec_lo, -1
	ds_add_f32 v15, v12 offset:4096
	ds_add_f32 v15, v13 offset:4100
.LBB46_28:                              ;   in Loop: Header=BB46_22 Depth=3
	s_or_b32 exec_lo, exec_lo, s42
	s_delay_alu instid0(SALU_CYCLE_1) | instskip(SKIP_1) | instid1(SALU_CYCLE_1)
	s_and_not1_b32 s37, s37, exec_lo
	s_and_b32 s39, s39, exec_lo
	s_or_b32 s37, s37, s39
.LBB46_29:                              ;   in Loop: Header=BB46_22 Depth=3
	s_or_b32 exec_lo, exec_lo, s38
	s_delay_alu instid0(SALU_CYCLE_1)
	s_and_b32 s37, s37, exec_lo
                                        ; implicit-def: $vgpr15
.LBB46_30:                              ;   in Loop: Header=BB46_22 Depth=3
	s_and_not1_saveexec_b32 s17, s17
	s_cbranch_execz .LBB46_21
; %bb.31:                               ;   in Loop: Header=BB46_22 Depth=3
	v_lshl_add_u32 v15, v14, 2, v15
	s_and_not1_b32 s37, s37, exec_lo
	ds_add_f32 v15, v12 offset:4096
	ds_add_f32 v15, v13 offset:4100
	s_branch .LBB46_21
.LBB46_32:
	s_or_b32 exec_lo, exec_lo, s1
.LBB46_33:
	s_delay_alu instid0(SALU_CYCLE_1)
	s_and_not1_b32 vcc_lo, exec_lo, s14
	s_cbranch_vccnz .LBB46_50
; %bb.34:
	s_waitcnt lgkmcnt(0)
	s_ashr_i32 s37, s36, 31
	v_subrev_nc_u32_e32 v1, s27, v0
	s_lshl_b64 s[0:1], s[36:37], 2
	s_delay_alu instid0(SALU_CYCLE_1)
	s_add_u32 s0, s10, s0
	s_addc_u32 s1, s11, s1
	s_load_b64 s[0:1], s[0:1], 0x0
	s_waitcnt lgkmcnt(0)
	v_add_nc_u32_e32 v1, s0, v1
	s_sub_i32 s0, s1, s27
	s_mov_b32 s1, exec_lo
	s_delay_alu instid0(VALU_DEP_1)
	v_cmpx_gt_i32_e64 s0, v1
	s_cbranch_execz .LBB46_49
; %bb.35:
	s_mov_b32 s3, 0
	s_branch .LBB46_37
.LBB46_36:                              ;   in Loop: Header=BB46_37 Depth=1
	s_or_b32 exec_lo, exec_lo, s4
	v_add_nc_u32_e32 v1, 0x200, v1
	s_delay_alu instid0(VALU_DEP_1) | instskip(SKIP_1) | instid1(SALU_CYCLE_1)
	v_cmp_le_i32_e32 vcc_lo, s0, v1
	s_or_b32 s3, vcc_lo, s3
	s_and_not1_b32 exec_lo, exec_lo, s3
	s_cbranch_execz .LBB46_49
.LBB46_37:                              ; =>This Loop Header: Depth=1
                                        ;     Child Loop BB46_39 Depth 2
	v_ashrrev_i32_e32 v2, 31, v1
	s_mov_b32 s4, 0
	s_delay_alu instid0(VALU_DEP_1) | instskip(SKIP_1) | instid1(VALU_DEP_2)
	v_lshlrev_b64 v[3:4], 2, v[1:2]
	v_lshlrev_b64 v[9:10], 3, v[1:2]
	v_add_co_u32 v3, vcc_lo, s28, v3
	s_delay_alu instid0(VALU_DEP_3) | instskip(NEXT) | instid1(VALU_DEP_3)
	v_add_co_ci_u32_e32 v4, vcc_lo, s29, v4, vcc_lo
	v_add_co_u32 v2, vcc_lo, s30, v9
	global_load_b32 v4, v[3:4], off
	v_add_co_ci_u32_e32 v3, vcc_lo, s31, v10, vcc_lo
	global_load_b64 v[9:10], v[2:3], off
	s_waitcnt vmcnt(1)
	v_subrev_nc_u32_e32 v2, s27, v4
	s_delay_alu instid0(VALU_DEP_1) | instskip(SKIP_2) | instid1(VALU_DEP_1)
	v_mul_lo_u32 v11, 0x89, v2
	s_waitcnt vmcnt(0)
	v_mul_f32_e64 v3, v10, -s12
	v_dual_mul_f32 v4, s2, v10 :: v_dual_fmac_f32 v3, s2, v9
	s_delay_alu instid0(VALU_DEP_1)
	v_dual_fmac_f32 v4, s12, v9 :: v_dual_and_b32 v9, 0x3ff, v11
	s_branch .LBB46_39
.LBB46_38:                              ;   in Loop: Header=BB46_39 Depth=2
	s_or_b32 exec_lo, exec_lo, s5
	s_xor_b32 s5, s6, -1
	s_delay_alu instid0(SALU_CYCLE_1) | instskip(NEXT) | instid1(SALU_CYCLE_1)
	s_and_b32 s5, exec_lo, s5
	s_or_b32 s4, s5, s4
	s_delay_alu instid0(SALU_CYCLE_1)
	s_and_not1_b32 exec_lo, exec_lo, s4
	s_cbranch_execz .LBB46_36
.LBB46_39:                              ;   Parent Loop BB46_37 Depth=1
                                        ; =>  This Inner Loop Header: Depth=2
	s_delay_alu instid0(VALU_DEP_1)
	v_lshl_add_u32 v10, v9, 2, 0
	s_mov_b32 s5, exec_lo
                                        ; implicit-def: $sgpr6
	ds_load_b32 v11, v10
	s_waitcnt lgkmcnt(0)
	v_cmpx_ne_u32_e64 v11, v2
	s_xor_b32 s5, exec_lo, s5
	s_cbranch_execz .LBB46_47
; %bb.40:                               ;   in Loop: Header=BB46_39 Depth=2
	s_mov_b32 s7, exec_lo
                                        ; implicit-def: $sgpr6
	v_cmpx_ne_u32_e64 s33, v11
	s_xor_b32 s7, exec_lo, s7
; %bb.41:                               ;   in Loop: Header=BB46_39 Depth=2
	v_add_nc_u32_e32 v9, 1, v9
	s_mov_b32 s6, -1
                                        ; implicit-def: $vgpr10
	s_delay_alu instid0(VALU_DEP_1)
	v_and_b32_e32 v9, 0x3ff, v9
; %bb.42:                               ;   in Loop: Header=BB46_39 Depth=2
	s_and_not1_saveexec_b32 s7, s7
	s_cbranch_execz .LBB46_46
; %bb.43:                               ;   in Loop: Header=BB46_39 Depth=2
	v_mov_b32_e32 v11, s33
	s_mov_b32 s8, -1
	s_mov_b32 s9, exec_lo
	ds_cmpstore_rtn_b32 v11, v10, v2, v11
	s_waitcnt lgkmcnt(0)
	v_cmpx_eq_u32_e64 s33, v11
	s_cbranch_execz .LBB46_45
; %bb.44:                               ;   in Loop: Header=BB46_39 Depth=2
	v_lshl_add_u32 v10, v9, 2, v10
	s_xor_b32 s8, exec_lo, -1
	ds_add_f32 v10, v3 offset:4096
	ds_add_f32 v10, v4 offset:4100
.LBB46_45:                              ;   in Loop: Header=BB46_39 Depth=2
	s_or_b32 exec_lo, exec_lo, s9
	s_delay_alu instid0(SALU_CYCLE_1) | instskip(SKIP_1) | instid1(SALU_CYCLE_1)
	s_and_not1_b32 s6, s6, exec_lo
	s_and_b32 s8, s8, exec_lo
	s_or_b32 s6, s6, s8
.LBB46_46:                              ;   in Loop: Header=BB46_39 Depth=2
	s_or_b32 exec_lo, exec_lo, s7
	s_delay_alu instid0(SALU_CYCLE_1)
	s_and_b32 s6, s6, exec_lo
                                        ; implicit-def: $vgpr10
.LBB46_47:                              ;   in Loop: Header=BB46_39 Depth=2
	s_and_not1_saveexec_b32 s5, s5
	s_cbranch_execz .LBB46_38
; %bb.48:                               ;   in Loop: Header=BB46_39 Depth=2
	v_lshl_add_u32 v10, v9, 2, v10
	s_and_not1_b32 s6, s6, exec_lo
	ds_add_f32 v10, v3 offset:4096
	ds_add_f32 v10, v4 offset:4100
	s_branch .LBB46_38
.LBB46_49:
	s_or_b32 exec_lo, exec_lo, s1
.LBB46_50:
	v_mbcnt_lo_u32_b32 v1, -1, 0
	v_lshl_add_u32 v4, v8, 2, 0
	v_cmp_eq_u32_e32 vcc_lo, 0x1ff, v0
	v_cmp_lt_u32_e64 s0, 31, v0
	v_cmp_lt_u32_e64 s1, 63, v0
	v_xor_b32_e32 v1, 63, v1
	v_cmp_lt_u32_e64 s2, 0x5f, v0
	v_cmp_lt_u32_e64 s3, 0x7f, v0
	;; [unrolled: 1-line block ×4, first 2 shown]
	v_lshrrev_b64 v[1:2], v1, -1
	v_cmp_lt_u32_e64 s6, 0xdf, v0
	v_cmp_lt_u32_e64 s7, 0xff, v0
	;; [unrolled: 1-line block ×9, first 2 shown]
	v_dual_mov_b32 v8, 0 :: v_dual_mov_b32 v9, 0
	s_mov_b32 s16, 0
	s_waitcnt lgkmcnt(0)
	s_barrier
	buffer_gl0_inv
	s_branch .LBB46_52
.LBB46_51:                              ;   in Loop: Header=BB46_52 Depth=1
	s_or_b32 exec_lo, exec_lo, s15
	s_waitcnt lgkmcnt(0)
	s_barrier
	buffer_gl0_inv
	ds_load_b32 v2, v8 offset:12348
	v_add_co_u32 v6, s15, 0x200, v6
	s_delay_alu instid0(VALU_DEP_1) | instskip(SKIP_3) | instid1(SALU_CYCLE_1)
	s_xor_b32 s15, s15, -1
	v_add_nc_u32_e32 v7, 0x1000, v7
	v_add_nc_u32_e32 v5, 0x800, v5
	s_and_b32 s15, exec_lo, s15
	s_or_b32 s16, s15, s16
	s_waitcnt lgkmcnt(0)
	v_add_nc_u32_e32 v9, v2, v9
	s_and_not1_b32 exec_lo, exec_lo, s16
	s_cbranch_execz .LBB46_86
.LBB46_52:                              ; =>This Inner Loop Header: Depth=1
	ds_load_b32 v10, v5
	ds_load_2addr_b32 v[2:3], v7 offset1:1
	s_waitcnt lgkmcnt(0)
	s_barrier
	buffer_gl0_inv
	v_cmp_gt_i32_e64 s15, s33, v10
	s_delay_alu instid0(VALU_DEP_1) | instskip(NEXT) | instid1(SALU_CYCLE_1)
	s_bcnt1_i32_b32 s17, s15
	v_dual_mov_b32 v12, s17 :: v_dual_and_b32 v11, s15, v1
	s_delay_alu instid0(VALU_DEP_1)
	v_bcnt_u32_b32 v11, v11, 0
	ds_store_b32 v4, v12 offset:12288
	s_waitcnt lgkmcnt(0)
	s_barrier
	buffer_gl0_inv
	s_and_saveexec_b32 s17, s0
	s_cbranch_execnz .LBB46_69
; %bb.53:                               ;   in Loop: Header=BB46_52 Depth=1
	s_or_b32 exec_lo, exec_lo, s17
	s_and_saveexec_b32 s17, s1
	s_cbranch_execnz .LBB46_70
.LBB46_54:                              ;   in Loop: Header=BB46_52 Depth=1
	s_or_b32 exec_lo, exec_lo, s17
	s_and_saveexec_b32 s17, s2
	s_cbranch_execnz .LBB46_71
.LBB46_55:                              ;   in Loop: Header=BB46_52 Depth=1
	s_or_b32 exec_lo, exec_lo, s17
	s_and_saveexec_b32 s17, s3
	s_cbranch_execnz .LBB46_72
.LBB46_56:                              ;   in Loop: Header=BB46_52 Depth=1
	s_or_b32 exec_lo, exec_lo, s17
	s_and_saveexec_b32 s17, s4
	s_cbranch_execnz .LBB46_73
.LBB46_57:                              ;   in Loop: Header=BB46_52 Depth=1
	s_or_b32 exec_lo, exec_lo, s17
	s_and_saveexec_b32 s17, s5
	s_cbranch_execnz .LBB46_74
.LBB46_58:                              ;   in Loop: Header=BB46_52 Depth=1
	s_or_b32 exec_lo, exec_lo, s17
	s_and_saveexec_b32 s17, s6
	s_cbranch_execnz .LBB46_75
.LBB46_59:                              ;   in Loop: Header=BB46_52 Depth=1
	s_or_b32 exec_lo, exec_lo, s17
	s_and_saveexec_b32 s17, s7
	s_cbranch_execnz .LBB46_76
.LBB46_60:                              ;   in Loop: Header=BB46_52 Depth=1
	s_or_b32 exec_lo, exec_lo, s17
	s_and_saveexec_b32 s17, s8
	s_cbranch_execnz .LBB46_77
.LBB46_61:                              ;   in Loop: Header=BB46_52 Depth=1
	s_or_b32 exec_lo, exec_lo, s17
	s_and_saveexec_b32 s17, s9
	s_cbranch_execnz .LBB46_78
.LBB46_62:                              ;   in Loop: Header=BB46_52 Depth=1
	s_or_b32 exec_lo, exec_lo, s17
	s_and_saveexec_b32 s17, s10
	s_cbranch_execnz .LBB46_79
.LBB46_63:                              ;   in Loop: Header=BB46_52 Depth=1
	s_or_b32 exec_lo, exec_lo, s17
	s_and_saveexec_b32 s17, s11
	s_cbranch_execnz .LBB46_80
.LBB46_64:                              ;   in Loop: Header=BB46_52 Depth=1
	s_or_b32 exec_lo, exec_lo, s17
	s_and_saveexec_b32 s17, s12
	s_cbranch_execnz .LBB46_81
.LBB46_65:                              ;   in Loop: Header=BB46_52 Depth=1
	s_or_b32 exec_lo, exec_lo, s17
	s_and_saveexec_b32 s17, s13
	s_cbranch_execnz .LBB46_82
.LBB46_66:                              ;   in Loop: Header=BB46_52 Depth=1
	s_or_b32 exec_lo, exec_lo, s17
	s_and_saveexec_b32 s17, s14
	s_cbranch_execnz .LBB46_83
.LBB46_67:                              ;   in Loop: Header=BB46_52 Depth=1
	s_or_b32 exec_lo, exec_lo, s17
	s_and_saveexec_b32 s17, s15
	s_cbranch_execnz .LBB46_84
.LBB46_68:                              ;   in Loop: Header=BB46_52 Depth=1
	s_or_b32 exec_lo, exec_lo, s17
	s_and_saveexec_b32 s15, vcc_lo
	s_cbranch_execz .LBB46_51
	s_branch .LBB46_85
.LBB46_69:                              ;   in Loop: Header=BB46_52 Depth=1
	ds_load_b32 v12, v8 offset:12288
	s_waitcnt lgkmcnt(0)
	v_add_nc_u32_e32 v11, v12, v11
	s_or_b32 exec_lo, exec_lo, s17
	s_and_saveexec_b32 s17, s1
	s_cbranch_execz .LBB46_54
.LBB46_70:                              ;   in Loop: Header=BB46_52 Depth=1
	ds_load_b32 v12, v8 offset:12292
	s_waitcnt lgkmcnt(0)
	v_add_nc_u32_e32 v11, v12, v11
	s_or_b32 exec_lo, exec_lo, s17
	s_and_saveexec_b32 s17, s2
	s_cbranch_execz .LBB46_55
.LBB46_71:                              ;   in Loop: Header=BB46_52 Depth=1
	ds_load_b32 v12, v8 offset:12296
	s_waitcnt lgkmcnt(0)
	v_add_nc_u32_e32 v11, v12, v11
	s_or_b32 exec_lo, exec_lo, s17
	s_and_saveexec_b32 s17, s3
	s_cbranch_execz .LBB46_56
.LBB46_72:                              ;   in Loop: Header=BB46_52 Depth=1
	ds_load_b32 v12, v8 offset:12300
	s_waitcnt lgkmcnt(0)
	v_add_nc_u32_e32 v11, v12, v11
	s_or_b32 exec_lo, exec_lo, s17
	s_and_saveexec_b32 s17, s4
	s_cbranch_execz .LBB46_57
.LBB46_73:                              ;   in Loop: Header=BB46_52 Depth=1
	ds_load_b32 v12, v8 offset:12304
	s_waitcnt lgkmcnt(0)
	v_add_nc_u32_e32 v11, v12, v11
	s_or_b32 exec_lo, exec_lo, s17
	s_and_saveexec_b32 s17, s5
	s_cbranch_execz .LBB46_58
.LBB46_74:                              ;   in Loop: Header=BB46_52 Depth=1
	ds_load_b32 v12, v8 offset:12308
	s_waitcnt lgkmcnt(0)
	v_add_nc_u32_e32 v11, v12, v11
	s_or_b32 exec_lo, exec_lo, s17
	s_and_saveexec_b32 s17, s6
	s_cbranch_execz .LBB46_59
.LBB46_75:                              ;   in Loop: Header=BB46_52 Depth=1
	ds_load_b32 v12, v8 offset:12312
	s_waitcnt lgkmcnt(0)
	v_add_nc_u32_e32 v11, v12, v11
	s_or_b32 exec_lo, exec_lo, s17
	s_and_saveexec_b32 s17, s7
	s_cbranch_execz .LBB46_60
.LBB46_76:                              ;   in Loop: Header=BB46_52 Depth=1
	ds_load_b32 v12, v8 offset:12316
	s_waitcnt lgkmcnt(0)
	v_add_nc_u32_e32 v11, v12, v11
	s_or_b32 exec_lo, exec_lo, s17
	s_and_saveexec_b32 s17, s8
	s_cbranch_execz .LBB46_61
.LBB46_77:                              ;   in Loop: Header=BB46_52 Depth=1
	ds_load_b32 v12, v8 offset:12320
	s_waitcnt lgkmcnt(0)
	v_add_nc_u32_e32 v11, v12, v11
	s_or_b32 exec_lo, exec_lo, s17
	s_and_saveexec_b32 s17, s9
	s_cbranch_execz .LBB46_62
.LBB46_78:                              ;   in Loop: Header=BB46_52 Depth=1
	ds_load_b32 v12, v8 offset:12324
	s_waitcnt lgkmcnt(0)
	v_add_nc_u32_e32 v11, v12, v11
	s_or_b32 exec_lo, exec_lo, s17
	s_and_saveexec_b32 s17, s10
	s_cbranch_execz .LBB46_63
.LBB46_79:                              ;   in Loop: Header=BB46_52 Depth=1
	ds_load_b32 v12, v8 offset:12328
	s_waitcnt lgkmcnt(0)
	v_add_nc_u32_e32 v11, v12, v11
	s_or_b32 exec_lo, exec_lo, s17
	s_and_saveexec_b32 s17, s11
	s_cbranch_execz .LBB46_64
.LBB46_80:                              ;   in Loop: Header=BB46_52 Depth=1
	ds_load_b32 v12, v8 offset:12332
	s_waitcnt lgkmcnt(0)
	v_add_nc_u32_e32 v11, v12, v11
	s_or_b32 exec_lo, exec_lo, s17
	s_and_saveexec_b32 s17, s12
	s_cbranch_execz .LBB46_65
.LBB46_81:                              ;   in Loop: Header=BB46_52 Depth=1
	ds_load_b32 v12, v8 offset:12336
	s_waitcnt lgkmcnt(0)
	v_add_nc_u32_e32 v11, v12, v11
	s_or_b32 exec_lo, exec_lo, s17
	s_and_saveexec_b32 s17, s13
	s_cbranch_execz .LBB46_66
.LBB46_82:                              ;   in Loop: Header=BB46_52 Depth=1
	ds_load_b32 v12, v8 offset:12340
	s_waitcnt lgkmcnt(0)
	v_add_nc_u32_e32 v11, v12, v11
	s_or_b32 exec_lo, exec_lo, s17
	s_and_saveexec_b32 s17, s14
	s_cbranch_execz .LBB46_67
.LBB46_83:                              ;   in Loop: Header=BB46_52 Depth=1
	ds_load_b32 v12, v8 offset:12344
	s_waitcnt lgkmcnt(0)
	v_add_nc_u32_e32 v11, v12, v11
	s_or_b32 exec_lo, exec_lo, s17
	s_and_saveexec_b32 s17, s15
	s_cbranch_execz .LBB46_68
.LBB46_84:                              ;   in Loop: Header=BB46_52 Depth=1
	s_delay_alu instid0(VALU_DEP_1) | instskip(NEXT) | instid1(VALU_DEP_1)
	v_add3_u32 v12, v9, -1, v11
	v_lshlrev_b32_e32 v13, 3, v12
	v_lshl_add_u32 v12, v12, 2, 0
	s_delay_alu instid0(VALU_DEP_2)
	v_add3_u32 v13, 0, v13, 0x1000
	ds_store_b32 v12, v10
	ds_store_2addr_b32 v13, v2, v3 offset1:1
	s_or_b32 exec_lo, exec_lo, s17
	s_and_saveexec_b32 s15, vcc_lo
	s_cbranch_execz .LBB46_51
.LBB46_85:                              ;   in Loop: Header=BB46_52 Depth=1
	ds_store_b32 v8, v11 offset:12348
	s_branch .LBB46_51
.LBB46_86:
	s_or_b32 exec_lo, exec_lo, s16
	s_ashr_i32 s37, s36, 31
	s_mov_b32 s3, exec_lo
	s_lshl_b64 s[0:1], s[36:37], 2
	s_delay_alu instid0(SALU_CYCLE_1) | instskip(SKIP_4) | instid1(SALU_CYCLE_1)
	s_add_u32 s0, s40, s0
	s_addc_u32 s1, s41, s1
	s_load_b64 s[0:1], s[0:1], 0x0
	s_waitcnt lgkmcnt(0)
	s_sub_i32 s2, s1, s0
	v_cmpx_gt_i32_e64 s2, v0
	s_cbranch_execz .LBB46_96
; %bb.87:
	s_sub_i32 s3, s0, s26
	s_sub_i32 s0, s0, s1
	s_and_b32 s1, s2, 7
	s_cmp_lt_u32 s0, -7
	s_mov_b32 s7, 0
	s_cselect_b32 s4, -1, 0
	s_and_b32 s5, s2, -8
	s_cmp_lg_u32 s1, 0
	s_cselect_b32 s6, -1, 0
	s_branch .LBB46_89
.LBB46_88:                              ;   in Loop: Header=BB46_89 Depth=1
	s_waitcnt lgkmcnt(1)
	s_delay_alu instid0(VALU_DEP_1) | instskip(SKIP_1) | instid1(VALU_DEP_2)
	v_ashrrev_i32_e32 v4, 31, v3
	v_add_nc_u32_e32 v0, 0x200, v0
	v_lshlrev_b64 v[3:4], 3, v[3:4]
	s_delay_alu instid0(VALU_DEP_2) | instskip(SKIP_1) | instid1(VALU_DEP_2)
	v_cmp_le_i32_e32 vcc_lo, s2, v0
	s_or_b32 s7, vcc_lo, s7
	v_add_co_u32 v3, s0, s34, v3
	s_delay_alu instid0(VALU_DEP_1)
	v_add_co_ci_u32_e64 v4, s0, s35, v4, s0
	s_waitcnt lgkmcnt(0)
	global_store_b64 v[3:4], v[1:2], off
	s_and_not1_b32 exec_lo, exec_lo, s7
	s_cbranch_execz .LBB46_96
.LBB46_89:                              ; =>This Loop Header: Depth=1
                                        ;     Child Loop BB46_91 Depth 2
                                        ;     Child Loop BB46_95 Depth 2
	v_lshlrev_b32_e32 v1, 2, v0
	s_and_not1_b32 vcc_lo, exec_lo, s4
	s_mov_b32 s0, 0
	s_delay_alu instid0(VALU_DEP_1) | instskip(NEXT) | instid1(VALU_DEP_1)
	v_dual_mov_b32 v3, s3 :: v_dual_add_nc_u32 v2, 0, v1
	v_add3_u32 v1, v2, v1, 0x1000
	ds_load_b32 v4, v2
	ds_load_2addr_b32 v[1:2], v1 offset1:1
	s_cbranch_vccnz .LBB46_93
; %bb.90:                               ;   in Loop: Header=BB46_89 Depth=1
	v_mov_b32_e32 v3, s3
	s_mov_b32 s8, 0
	s_set_inst_prefetch_distance 0x1
	.p2align	6
.LBB46_91:                              ;   Parent Loop BB46_89 Depth=1
                                        ; =>  This Inner Loop Header: Depth=2
	v_mov_b32_e32 v11, s8
	s_add_i32 s0, s0, 8
	s_add_i32 s8, s8, 32
	s_cmp_eq_u32 s5, s0
	ds_load_2addr_b32 v[5:6], v11 offset1:1
	ds_load_2addr_b32 v[7:8], v11 offset0:2 offset1:3
	ds_load_2addr_b32 v[9:10], v11 offset0:4 offset1:5
	;; [unrolled: 1-line block ×3, first 2 shown]
	s_waitcnt lgkmcnt(3)
	v_cmp_gt_i32_e32 vcc_lo, v4, v5
	v_cndmask_b32_e64 v5, 0, 1, vcc_lo
	s_waitcnt lgkmcnt(2)
	v_cmp_gt_i32_e32 vcc_lo, v4, v7
	v_cndmask_b32_e64 v7, 0, 1, vcc_lo
	v_cmp_gt_i32_e32 vcc_lo, v4, v6
	v_add_co_ci_u32_e32 v3, vcc_lo, v3, v5, vcc_lo
	s_waitcnt lgkmcnt(1)
	v_cmp_gt_i32_e32 vcc_lo, v4, v9
	v_cndmask_b32_e64 v5, 0, 1, vcc_lo
	v_cmp_gt_i32_e32 vcc_lo, v4, v8
	v_add_co_ci_u32_e32 v3, vcc_lo, v3, v7, vcc_lo
	;; [unrolled: 5-line block ×3, first 2 shown]
	v_cmp_gt_i32_e32 vcc_lo, v4, v12
	s_delay_alu instid0(VALU_DEP_2)
	v_add_co_ci_u32_e32 v3, vcc_lo, v3, v6, vcc_lo
	s_cbranch_scc0 .LBB46_91
; %bb.92:                               ;   in Loop: Header=BB46_89 Depth=1
	s_set_inst_prefetch_distance 0x2
	s_mov_b32 s0, s5
.LBB46_93:                              ;   in Loop: Header=BB46_89 Depth=1
	s_and_not1_b32 vcc_lo, exec_lo, s6
	s_cbranch_vccnz .LBB46_88
; %bb.94:                               ;   in Loop: Header=BB46_89 Depth=1
	s_lshl_b32 s0, s0, 2
	s_mov_b32 s8, s1
	s_add_i32 s0, s0, 0
.LBB46_95:                              ;   Parent Loop BB46_89 Depth=1
                                        ; =>  This Inner Loop Header: Depth=2
	s_delay_alu instid0(SALU_CYCLE_1)
	v_mov_b32_e32 v5, s0
	s_add_i32 s8, s8, -1
	s_add_i32 s0, s0, 4
	s_cmp_lg_u32 s8, 0
	ds_load_b32 v5, v5
	s_waitcnt lgkmcnt(0)
	v_cmp_gt_i32_e32 vcc_lo, v4, v5
	v_add_co_ci_u32_e32 v3, vcc_lo, 0, v3, vcc_lo
	s_cbranch_scc1 .LBB46_95
	s_branch .LBB46_88
.LBB46_96:
	s_nop 0
	s_sendmsg sendmsg(MSG_DEALLOC_VGPRS)
	s_endpgm
	.section	.rodata,"a",@progbits
	.p2align	6, 0x0
	.amdhsa_kernel _ZN9rocsparseL41csrgemm_numeric_fill_block_per_row_kernelILj512ELj32ELj1024ELj137ELj32Eii21rocsparse_complex_numIfEEEvT5_PKS3_S5_NS_24const_host_device_scalarIT6_EEPKT4_S5_PKS7_SB_S5_SD_S8_SB_S5_SD_SB_S5_PS7_21rocsparse_index_base_SF_SF_SF_bbb
		.amdhsa_group_segment_fixed_size 0
		.amdhsa_private_segment_fixed_size 0
		.amdhsa_kernarg_size 156
		.amdhsa_user_sgpr_count 15
		.amdhsa_user_sgpr_dispatch_ptr 0
		.amdhsa_user_sgpr_queue_ptr 0
		.amdhsa_user_sgpr_kernarg_segment_ptr 1
		.amdhsa_user_sgpr_dispatch_id 0
		.amdhsa_user_sgpr_private_segment_size 0
		.amdhsa_wavefront_size32 1
		.amdhsa_uses_dynamic_stack 0
		.amdhsa_enable_private_segment 0
		.amdhsa_system_sgpr_workgroup_id_x 1
		.amdhsa_system_sgpr_workgroup_id_y 0
		.amdhsa_system_sgpr_workgroup_id_z 0
		.amdhsa_system_sgpr_workgroup_info 0
		.amdhsa_system_vgpr_workitem_id 0
		.amdhsa_next_free_vgpr 17
		.amdhsa_next_free_sgpr 43
		.amdhsa_reserve_vcc 1
		.amdhsa_float_round_mode_32 0
		.amdhsa_float_round_mode_16_64 0
		.amdhsa_float_denorm_mode_32 3
		.amdhsa_float_denorm_mode_16_64 3
		.amdhsa_dx10_clamp 1
		.amdhsa_ieee_mode 1
		.amdhsa_fp16_overflow 0
		.amdhsa_workgroup_processor_mode 1
		.amdhsa_memory_ordered 1
		.amdhsa_forward_progress 0
		.amdhsa_shared_vgpr_count 0
		.amdhsa_exception_fp_ieee_invalid_op 0
		.amdhsa_exception_fp_denorm_src 0
		.amdhsa_exception_fp_ieee_div_zero 0
		.amdhsa_exception_fp_ieee_overflow 0
		.amdhsa_exception_fp_ieee_underflow 0
		.amdhsa_exception_fp_ieee_inexact 0
		.amdhsa_exception_int_div_zero 0
	.end_amdhsa_kernel
	.section	.text._ZN9rocsparseL41csrgemm_numeric_fill_block_per_row_kernelILj512ELj32ELj1024ELj137ELj32Eii21rocsparse_complex_numIfEEEvT5_PKS3_S5_NS_24const_host_device_scalarIT6_EEPKT4_S5_PKS7_SB_S5_SD_S8_SB_S5_SD_SB_S5_PS7_21rocsparse_index_base_SF_SF_SF_bbb,"axG",@progbits,_ZN9rocsparseL41csrgemm_numeric_fill_block_per_row_kernelILj512ELj32ELj1024ELj137ELj32Eii21rocsparse_complex_numIfEEEvT5_PKS3_S5_NS_24const_host_device_scalarIT6_EEPKT4_S5_PKS7_SB_S5_SD_S8_SB_S5_SD_SB_S5_PS7_21rocsparse_index_base_SF_SF_SF_bbb,comdat
.Lfunc_end46:
	.size	_ZN9rocsparseL41csrgemm_numeric_fill_block_per_row_kernelILj512ELj32ELj1024ELj137ELj32Eii21rocsparse_complex_numIfEEEvT5_PKS3_S5_NS_24const_host_device_scalarIT6_EEPKT4_S5_PKS7_SB_S5_SD_S8_SB_S5_SD_SB_S5_PS7_21rocsparse_index_base_SF_SF_SF_bbb, .Lfunc_end46-_ZN9rocsparseL41csrgemm_numeric_fill_block_per_row_kernelILj512ELj32ELj1024ELj137ELj32Eii21rocsparse_complex_numIfEEEvT5_PKS3_S5_NS_24const_host_device_scalarIT6_EEPKT4_S5_PKS7_SB_S5_SD_S8_SB_S5_SD_SB_S5_PS7_21rocsparse_index_base_SF_SF_SF_bbb
                                        ; -- End function
	.section	.AMDGPU.csdata,"",@progbits
; Kernel info:
; codeLenInByte = 3320
; NumSgprs: 45
; NumVgprs: 17
; ScratchSize: 0
; MemoryBound: 0
; FloatMode: 240
; IeeeMode: 1
; LDSByteSize: 0 bytes/workgroup (compile time only)
; SGPRBlocks: 5
; VGPRBlocks: 2
; NumSGPRsForWavesPerEU: 45
; NumVGPRsForWavesPerEU: 17
; Occupancy: 16
; WaveLimiterHint : 1
; COMPUTE_PGM_RSRC2:SCRATCH_EN: 0
; COMPUTE_PGM_RSRC2:USER_SGPR: 15
; COMPUTE_PGM_RSRC2:TRAP_HANDLER: 0
; COMPUTE_PGM_RSRC2:TGID_X_EN: 1
; COMPUTE_PGM_RSRC2:TGID_Y_EN: 0
; COMPUTE_PGM_RSRC2:TGID_Z_EN: 0
; COMPUTE_PGM_RSRC2:TIDIG_COMP_CNT: 0
	.section	.text._ZN9rocsparseL41csrgemm_numeric_fill_block_per_row_kernelILj512ELj32ELj1024ELj137ELj64Eii21rocsparse_complex_numIfEEEvT5_PKS3_S5_NS_24const_host_device_scalarIT6_EEPKT4_S5_PKS7_SB_S5_SD_S8_SB_S5_SD_SB_S5_PS7_21rocsparse_index_base_SF_SF_SF_bbb,"axG",@progbits,_ZN9rocsparseL41csrgemm_numeric_fill_block_per_row_kernelILj512ELj32ELj1024ELj137ELj64Eii21rocsparse_complex_numIfEEEvT5_PKS3_S5_NS_24const_host_device_scalarIT6_EEPKT4_S5_PKS7_SB_S5_SD_S8_SB_S5_SD_SB_S5_PS7_21rocsparse_index_base_SF_SF_SF_bbb,comdat
	.globl	_ZN9rocsparseL41csrgemm_numeric_fill_block_per_row_kernelILj512ELj32ELj1024ELj137ELj64Eii21rocsparse_complex_numIfEEEvT5_PKS3_S5_NS_24const_host_device_scalarIT6_EEPKT4_S5_PKS7_SB_S5_SD_S8_SB_S5_SD_SB_S5_PS7_21rocsparse_index_base_SF_SF_SF_bbb ; -- Begin function _ZN9rocsparseL41csrgemm_numeric_fill_block_per_row_kernelILj512ELj32ELj1024ELj137ELj64Eii21rocsparse_complex_numIfEEEvT5_PKS3_S5_NS_24const_host_device_scalarIT6_EEPKT4_S5_PKS7_SB_S5_SD_S8_SB_S5_SD_SB_S5_PS7_21rocsparse_index_base_SF_SF_SF_bbb
	.p2align	8
	.type	_ZN9rocsparseL41csrgemm_numeric_fill_block_per_row_kernelILj512ELj32ELj1024ELj137ELj64Eii21rocsparse_complex_numIfEEEvT5_PKS3_S5_NS_24const_host_device_scalarIT6_EEPKT4_S5_PKS7_SB_S5_SD_S8_SB_S5_SD_SB_S5_PS7_21rocsparse_index_base_SF_SF_SF_bbb,@function
_ZN9rocsparseL41csrgemm_numeric_fill_block_per_row_kernelILj512ELj32ELj1024ELj137ELj64Eii21rocsparse_complex_numIfEEEvT5_PKS3_S5_NS_24const_host_device_scalarIT6_EEPKT4_S5_PKS7_SB_S5_SD_S8_SB_S5_SD_SB_S5_PS7_21rocsparse_index_base_SF_SF_SF_bbb: ; @_ZN9rocsparseL41csrgemm_numeric_fill_block_per_row_kernelILj512ELj32ELj1024ELj137ELj64Eii21rocsparse_complex_numIfEEEvT5_PKS3_S5_NS_24const_host_device_scalarIT6_EEPKT4_S5_PKS7_SB_S5_SD_S8_SB_S5_SD_SB_S5_PS7_21rocsparse_index_base_SF_SF_SF_bbb
; %bb.0:
	s_clause 0x7
	s_load_b32 s14, s[0:1], 0x98
	s_load_b64 s[34:35], s[0:1], 0x70
	s_load_b128 s[28:31], s[0:1], 0x60
	s_load_b256 s[4:11], s[0:1], 0x40
	s_load_b128 s[36:39], s[0:1], 0x8
	s_load_b256 s[16:23], s[0:1], 0x20
	s_load_b64 s[12:13], s[0:1], 0x80
	s_load_b128 s[24:27], s[0:1], 0x88
	s_mov_b32 s3, 0
	s_mov_b32 s40, 0
	s_waitcnt lgkmcnt(0)
	s_bitcmp1_b32 s14, 0
	s_cselect_b32 s42, -1, 0
	s_bitcmp1_b32 s14, 16
	s_cselect_b32 s2, -1, 0
	s_delay_alu instid0(SALU_CYCLE_1) | instskip(SKIP_2) | instid1(VALU_DEP_1)
	s_xor_b32 s33, s2, -1
	s_bitcmp0_b32 s14, 0
	v_cndmask_b32_e64 v1, 0, 1, s33
	v_cmp_ne_u32_e32 vcc_lo, 1, v1
	s_cbranch_scc1 .LBB47_5
; %bb.1:
	s_load_b64 s[2:3], s[0:1], 0x18
	s_and_b32 vcc_lo, exec_lo, vcc_lo
	s_waitcnt lgkmcnt(0)
	s_mov_b32 s40, s2
	s_cbranch_vccnz .LBB47_3
; %bb.2:
	s_load_b32 s40, s[2:3], 0x0
.LBB47_3:
	s_and_not1_b32 vcc_lo, exec_lo, s33
	s_cbranch_vccnz .LBB47_5
; %bb.4:
	s_load_b32 s3, s[2:3], 0x4
.LBB47_5:
	s_bitcmp1_b32 s14, 8
	s_mov_b32 s33, 0
	s_cselect_b32 s41, -1, 0
	s_bfe_u32 s2, s14, 0x10008
	s_delay_alu instid0(SALU_CYCLE_1)
	s_cmp_eq_u32 s2, 0
	s_mov_b32 s2, 0
	s_cbranch_scc1 .LBB47_11
; %bb.6:
	v_cmp_ne_u32_e32 vcc_lo, 1, v1
	s_mov_b32 s2, s8
	s_cbranch_vccnz .LBB47_8
; %bb.7:
	s_load_b32 s2, s[8:9], 0x0
.LBB47_8:
	v_cmp_ne_u32_e32 vcc_lo, 1, v1
	s_cbranch_vccnz .LBB47_10
; %bb.9:
	s_load_b32 s9, s[8:9], 0x4
.LBB47_10:
	s_waitcnt lgkmcnt(0)
	s_mov_b32 s33, s9
.LBB47_11:
	s_load_b32 s14, s[0:1], 0x0
	v_lshl_add_u32 v5, v0, 2, 0
	v_lshlrev_b32_e32 v1, 3, v0
	v_or_b32_e32 v6, 0xfffffe00, v0
	s_mov_b32 s0, 0
	s_delay_alu instid0(VALU_DEP_3) | instskip(NEXT) | instid1(VALU_DEP_3)
	v_mov_b32_e32 v2, v5
	v_add3_u32 v7, v1, 0, 0x1000
	v_mov_b32_e32 v1, 0
	s_delay_alu instid0(VALU_DEP_2)
	v_dual_mov_b32 v3, v6 :: v_dual_mov_b32 v8, v7
	s_waitcnt lgkmcnt(0)
	v_mov_b32_e32 v4, s14
.LBB47_12:                              ; =>This Inner Loop Header: Depth=1
	s_delay_alu instid0(VALU_DEP_2) | instskip(NEXT) | instid1(VALU_DEP_1)
	v_add_co_u32 v3, s1, 0x200, v3
	s_xor_b32 s1, s1, -1
	ds_store_b32 v2, v4
	ds_store_2addr_b32 v8, v1, v1 offset1:1
	v_add_nc_u32_e32 v8, 0x1000, v8
	v_add_nc_u32_e32 v2, 0x800, v2
	s_and_b32 s1, exec_lo, s1
	s_delay_alu instid0(SALU_CYCLE_1) | instskip(NEXT) | instid1(SALU_CYCLE_1)
	s_or_b32 s0, s1, s0
	s_and_not1_b32 exec_lo, exec_lo, s0
	s_cbranch_execnz .LBB47_12
; %bb.13:
	s_or_b32 exec_lo, exec_lo, s0
	s_waitcnt lgkmcnt(0)
	s_barrier
	buffer_gl0_inv
	s_load_b32 s0, s[36:37], 0x0
	s_mov_b32 s1, 0
	s_waitcnt lgkmcnt(0)
	s_add_i32 s0, s0, s15
	s_delay_alu instid0(SALU_CYCLE_1) | instskip(NEXT) | instid1(SALU_CYCLE_1)
	s_lshl_b64 s[0:1], s[0:1], 2
	s_add_u32 s0, s38, s0
	s_addc_u32 s1, s39, s1
	s_and_b32 vcc_lo, exec_lo, s42
	s_load_b32 s8, s[0:1], 0x0
	s_cbranch_vccz .LBB47_33
; %bb.14:
	s_waitcnt lgkmcnt(0)
	s_ashr_i32 s9, s8, 31
	v_lshrrev_b32_e32 v1, 5, v0
	s_lshl_b64 s[0:1], s[8:9], 2
	s_delay_alu instid0(SALU_CYCLE_1) | instskip(SKIP_1) | instid1(VALU_DEP_1)
	s_add_u32 s0, s16, s0
	s_addc_u32 s1, s17, s1
	v_subrev_nc_u32_e32 v1, s24, v1
	s_load_b64 s[0:1], s[0:1], 0x0
	s_waitcnt lgkmcnt(0)
	s_delay_alu instid0(VALU_DEP_1) | instskip(SKIP_2) | instid1(VALU_DEP_1)
	v_add_nc_u32_e32 v1, s0, v1
	s_sub_i32 s0, s1, s24
	s_mov_b32 s1, exec_lo
	v_cmpx_gt_i32_e64 s0, v1
	s_cbranch_execz .LBB47_32
; %bb.15:
	v_and_b32_e32 v2, 31, v0
	s_mov_b32 s9, 0
	s_delay_alu instid0(VALU_DEP_1)
	v_subrev_nc_u32_e32 v8, s25, v2
	s_branch .LBB47_17
.LBB47_16:                              ;   in Loop: Header=BB47_17 Depth=1
	s_or_b32 exec_lo, exec_lo, s15
	v_add_nc_u32_e32 v1, 16, v1
	s_delay_alu instid0(VALU_DEP_1) | instskip(SKIP_1) | instid1(SALU_CYCLE_1)
	v_cmp_le_i32_e32 vcc_lo, s0, v1
	s_or_b32 s9, vcc_lo, s9
	s_and_not1_b32 exec_lo, exec_lo, s9
	s_cbranch_execz .LBB47_32
.LBB47_17:                              ; =>This Loop Header: Depth=1
                                        ;     Child Loop BB47_20 Depth 2
                                        ;       Child Loop BB47_22 Depth 3
	v_ashrrev_i32_e32 v2, 31, v1
	s_mov_b32 s15, exec_lo
	s_delay_alu instid0(VALU_DEP_1) | instskip(NEXT) | instid1(VALU_DEP_1)
	v_lshlrev_b64 v[3:4], 2, v[1:2]
	v_add_co_u32 v3, vcc_lo, s18, v3
	s_delay_alu instid0(VALU_DEP_2) | instskip(SKIP_3) | instid1(VALU_DEP_1)
	v_add_co_ci_u32_e32 v4, vcc_lo, s19, v4, vcc_lo
	global_load_b32 v3, v[3:4], off
	s_waitcnt vmcnt(0)
	v_subrev_nc_u32_e32 v3, s24, v3
	v_ashrrev_i32_e32 v4, 31, v3
	s_delay_alu instid0(VALU_DEP_1) | instskip(NEXT) | instid1(VALU_DEP_1)
	v_lshlrev_b64 v[3:4], 2, v[3:4]
	v_add_co_u32 v3, vcc_lo, s22, v3
	s_delay_alu instid0(VALU_DEP_2) | instskip(SKIP_4) | instid1(VALU_DEP_1)
	v_add_co_ci_u32_e32 v4, vcc_lo, s23, v4, vcc_lo
	global_load_b64 v[3:4], v[3:4], off
	s_waitcnt vmcnt(0)
	v_subrev_nc_u32_e32 v9, s25, v4
	v_add_nc_u32_e32 v3, v3, v8
	v_cmpx_lt_i32_e64 v3, v9
	s_cbranch_execz .LBB47_16
; %bb.18:                               ;   in Loop: Header=BB47_17 Depth=1
	v_lshlrev_b64 v[10:11], 3, v[1:2]
	s_mov_b32 s16, 0
	s_delay_alu instid0(VALU_DEP_1) | instskip(NEXT) | instid1(VALU_DEP_2)
	v_add_co_u32 v10, vcc_lo, s20, v10
	v_add_co_ci_u32_e32 v11, vcc_lo, s21, v11, vcc_lo
	global_load_b64 v[11:12], v[10:11], off
	s_waitcnt vmcnt(0)
	v_mul_f32_e64 v2, v12, -s3
	v_mul_f32_e32 v10, s40, v12
	s_delay_alu instid0(VALU_DEP_2) | instskip(NEXT) | instid1(VALU_DEP_2)
	v_fmac_f32_e32 v2, s40, v11
	v_fmac_f32_e32 v10, s3, v11
	s_branch .LBB47_20
.LBB47_19:                              ;   in Loop: Header=BB47_20 Depth=2
	s_or_b32 exec_lo, exec_lo, s17
	v_add_nc_u32_e32 v3, 32, v3
	s_delay_alu instid0(VALU_DEP_1) | instskip(SKIP_1) | instid1(SALU_CYCLE_1)
	v_cmp_ge_i32_e32 vcc_lo, v3, v9
	s_or_b32 s16, vcc_lo, s16
	s_and_not1_b32 exec_lo, exec_lo, s16
	s_cbranch_execz .LBB47_16
.LBB47_20:                              ;   Parent Loop BB47_17 Depth=1
                                        ; =>  This Loop Header: Depth=2
                                        ;       Child Loop BB47_22 Depth 3
	v_ashrrev_i32_e32 v4, 31, v3
	s_mov_b32 s17, 0
	s_delay_alu instid0(VALU_DEP_1) | instskip(SKIP_1) | instid1(VALU_DEP_2)
	v_lshlrev_b64 v[11:12], 2, v[3:4]
	v_lshlrev_b64 v[13:14], 3, v[3:4]
	v_add_co_u32 v11, vcc_lo, s4, v11
	s_delay_alu instid0(VALU_DEP_3)
	v_add_co_ci_u32_e32 v12, vcc_lo, s5, v12, vcc_lo
	global_load_b32 v4, v[11:12], off
	v_add_co_u32 v11, vcc_lo, s6, v13
	v_add_co_ci_u32_e32 v12, vcc_lo, s7, v14, vcc_lo
	global_load_b64 v[13:14], v[11:12], off
	s_waitcnt vmcnt(1)
	v_subrev_nc_u32_e32 v4, s25, v4
	s_delay_alu instid0(VALU_DEP_1) | instskip(SKIP_3) | instid1(VALU_DEP_2)
	v_mul_lo_u32 v15, 0x89, v4
	s_waitcnt vmcnt(0)
	v_mul_f32_e64 v11, v14, -v10
	v_mul_f32_e32 v12, v2, v14
	v_fmac_f32_e32 v11, v2, v13
	s_delay_alu instid0(VALU_DEP_2)
	v_dual_fmac_f32 v12, v10, v13 :: v_dual_and_b32 v13, 0x3ff, v15
	s_branch .LBB47_22
.LBB47_21:                              ;   in Loop: Header=BB47_22 Depth=3
	s_or_b32 exec_lo, exec_lo, s36
	s_xor_b32 s36, s37, -1
	s_delay_alu instid0(SALU_CYCLE_1) | instskip(NEXT) | instid1(SALU_CYCLE_1)
	s_and_b32 s36, exec_lo, s36
	s_or_b32 s17, s36, s17
	s_delay_alu instid0(SALU_CYCLE_1)
	s_and_not1_b32 exec_lo, exec_lo, s17
	s_cbranch_execz .LBB47_19
.LBB47_22:                              ;   Parent Loop BB47_17 Depth=1
                                        ;     Parent Loop BB47_20 Depth=2
                                        ; =>    This Inner Loop Header: Depth=3
	s_delay_alu instid0(VALU_DEP_1)
	v_lshl_add_u32 v14, v13, 2, 0
	s_mov_b32 s36, exec_lo
                                        ; implicit-def: $sgpr37
	ds_load_b32 v15, v14
	s_waitcnt lgkmcnt(0)
	v_cmpx_ne_u32_e64 v15, v4
	s_xor_b32 s36, exec_lo, s36
	s_cbranch_execz .LBB47_30
; %bb.23:                               ;   in Loop: Header=BB47_22 Depth=3
	s_mov_b32 s38, exec_lo
                                        ; implicit-def: $sgpr37
	v_cmpx_ne_u32_e64 s14, v15
	s_xor_b32 s38, exec_lo, s38
; %bb.24:                               ;   in Loop: Header=BB47_22 Depth=3
	v_add_nc_u32_e32 v13, 1, v13
	s_mov_b32 s37, -1
                                        ; implicit-def: $vgpr14
	s_delay_alu instid0(VALU_DEP_1)
	v_and_b32_e32 v13, 0x3ff, v13
; %bb.25:                               ;   in Loop: Header=BB47_22 Depth=3
	s_and_not1_saveexec_b32 s38, s38
	s_cbranch_execz .LBB47_29
; %bb.26:                               ;   in Loop: Header=BB47_22 Depth=3
	v_mov_b32_e32 v15, s14
	s_mov_b32 s39, -1
	s_mov_b32 s42, exec_lo
	ds_cmpstore_rtn_b32 v15, v14, v4, v15
	s_waitcnt lgkmcnt(0)
	v_cmpx_eq_u32_e64 s14, v15
	s_cbranch_execz .LBB47_28
; %bb.27:                               ;   in Loop: Header=BB47_22 Depth=3
	v_lshl_add_u32 v14, v13, 2, v14
	s_xor_b32 s39, exec_lo, -1
	ds_add_f32 v14, v11 offset:4096
	ds_add_f32 v14, v12 offset:4100
.LBB47_28:                              ;   in Loop: Header=BB47_22 Depth=3
	s_or_b32 exec_lo, exec_lo, s42
	s_delay_alu instid0(SALU_CYCLE_1) | instskip(SKIP_1) | instid1(SALU_CYCLE_1)
	s_and_not1_b32 s37, s37, exec_lo
	s_and_b32 s39, s39, exec_lo
	s_or_b32 s37, s37, s39
.LBB47_29:                              ;   in Loop: Header=BB47_22 Depth=3
	s_or_b32 exec_lo, exec_lo, s38
	s_delay_alu instid0(SALU_CYCLE_1)
	s_and_b32 s37, s37, exec_lo
                                        ; implicit-def: $vgpr14
.LBB47_30:                              ;   in Loop: Header=BB47_22 Depth=3
	s_and_not1_saveexec_b32 s36, s36
	s_cbranch_execz .LBB47_21
; %bb.31:                               ;   in Loop: Header=BB47_22 Depth=3
	v_lshl_add_u32 v14, v13, 2, v14
	s_and_not1_b32 s37, s37, exec_lo
	ds_add_f32 v14, v11 offset:4096
	ds_add_f32 v14, v12 offset:4100
	s_branch .LBB47_21
.LBB47_32:
	s_or_b32 exec_lo, exec_lo, s1
.LBB47_33:
	s_delay_alu instid0(SALU_CYCLE_1)
	s_and_not1_b32 vcc_lo, exec_lo, s41
	s_cbranch_vccnz .LBB47_50
; %bb.34:
	s_waitcnt lgkmcnt(0)
	s_ashr_i32 s9, s8, 31
	v_subrev_nc_u32_e32 v1, s27, v0
	s_lshl_b64 s[0:1], s[8:9], 2
	s_delay_alu instid0(SALU_CYCLE_1)
	s_add_u32 s0, s10, s0
	s_addc_u32 s1, s11, s1
	s_load_b64 s[0:1], s[0:1], 0x0
	s_waitcnt lgkmcnt(0)
	v_add_nc_u32_e32 v1, s0, v1
	s_sub_i32 s0, s1, s27
	s_mov_b32 s1, exec_lo
	s_delay_alu instid0(VALU_DEP_1)
	v_cmpx_gt_i32_e64 s0, v1
	s_cbranch_execz .LBB47_49
; %bb.35:
	s_mov_b32 s3, 0
	s_branch .LBB47_37
.LBB47_36:                              ;   in Loop: Header=BB47_37 Depth=1
	s_or_b32 exec_lo, exec_lo, s4
	v_add_nc_u32_e32 v1, 0x200, v1
	s_delay_alu instid0(VALU_DEP_1) | instskip(SKIP_1) | instid1(SALU_CYCLE_1)
	v_cmp_le_i32_e32 vcc_lo, s0, v1
	s_or_b32 s3, vcc_lo, s3
	s_and_not1_b32 exec_lo, exec_lo, s3
	s_cbranch_execz .LBB47_49
.LBB47_37:                              ; =>This Loop Header: Depth=1
                                        ;     Child Loop BB47_39 Depth 2
	v_ashrrev_i32_e32 v2, 31, v1
	s_mov_b32 s4, 0
	s_delay_alu instid0(VALU_DEP_1) | instskip(SKIP_1) | instid1(VALU_DEP_2)
	v_lshlrev_b64 v[3:4], 2, v[1:2]
	v_lshlrev_b64 v[8:9], 3, v[1:2]
	v_add_co_u32 v3, vcc_lo, s28, v3
	s_delay_alu instid0(VALU_DEP_3) | instskip(NEXT) | instid1(VALU_DEP_3)
	v_add_co_ci_u32_e32 v4, vcc_lo, s29, v4, vcc_lo
	v_add_co_u32 v2, vcc_lo, s30, v8
	global_load_b32 v4, v[3:4], off
	v_add_co_ci_u32_e32 v3, vcc_lo, s31, v9, vcc_lo
	global_load_b64 v[8:9], v[2:3], off
	s_waitcnt vmcnt(1)
	v_subrev_nc_u32_e32 v2, s27, v4
	s_delay_alu instid0(VALU_DEP_1) | instskip(SKIP_2) | instid1(VALU_DEP_1)
	v_mul_lo_u32 v10, 0x89, v2
	s_waitcnt vmcnt(0)
	v_mul_f32_e64 v3, v9, -s33
	v_dual_mul_f32 v4, s2, v9 :: v_dual_fmac_f32 v3, s2, v8
	s_delay_alu instid0(VALU_DEP_1) | instskip(NEXT) | instid1(VALU_DEP_4)
	v_fmac_f32_e32 v4, s33, v8
	v_and_b32_e32 v8, 0x3ff, v10
	s_branch .LBB47_39
.LBB47_38:                              ;   in Loop: Header=BB47_39 Depth=2
	s_or_b32 exec_lo, exec_lo, s5
	s_xor_b32 s5, s6, -1
	s_delay_alu instid0(SALU_CYCLE_1) | instskip(NEXT) | instid1(SALU_CYCLE_1)
	s_and_b32 s5, exec_lo, s5
	s_or_b32 s4, s5, s4
	s_delay_alu instid0(SALU_CYCLE_1)
	s_and_not1_b32 exec_lo, exec_lo, s4
	s_cbranch_execz .LBB47_36
.LBB47_39:                              ;   Parent Loop BB47_37 Depth=1
                                        ; =>  This Inner Loop Header: Depth=2
	s_delay_alu instid0(VALU_DEP_1)
	v_lshl_add_u32 v9, v8, 2, 0
	s_mov_b32 s5, exec_lo
                                        ; implicit-def: $sgpr6
	ds_load_b32 v10, v9
	s_waitcnt lgkmcnt(0)
	v_cmpx_ne_u32_e64 v10, v2
	s_xor_b32 s5, exec_lo, s5
	s_cbranch_execz .LBB47_47
; %bb.40:                               ;   in Loop: Header=BB47_39 Depth=2
	s_mov_b32 s7, exec_lo
                                        ; implicit-def: $sgpr6
	v_cmpx_ne_u32_e64 s14, v10
	s_xor_b32 s7, exec_lo, s7
; %bb.41:                               ;   in Loop: Header=BB47_39 Depth=2
	v_add_nc_u32_e32 v8, 1, v8
	s_mov_b32 s6, -1
                                        ; implicit-def: $vgpr9
	s_delay_alu instid0(VALU_DEP_1)
	v_and_b32_e32 v8, 0x3ff, v8
; %bb.42:                               ;   in Loop: Header=BB47_39 Depth=2
	s_and_not1_saveexec_b32 s7, s7
	s_cbranch_execz .LBB47_46
; %bb.43:                               ;   in Loop: Header=BB47_39 Depth=2
	v_mov_b32_e32 v10, s14
	s_mov_b32 s9, -1
	s_mov_b32 s10, exec_lo
	ds_cmpstore_rtn_b32 v10, v9, v2, v10
	s_waitcnt lgkmcnt(0)
	v_cmpx_eq_u32_e64 s14, v10
	s_cbranch_execz .LBB47_45
; %bb.44:                               ;   in Loop: Header=BB47_39 Depth=2
	v_lshl_add_u32 v9, v8, 2, v9
	s_xor_b32 s9, exec_lo, -1
	ds_add_f32 v9, v3 offset:4096
	ds_add_f32 v9, v4 offset:4100
.LBB47_45:                              ;   in Loop: Header=BB47_39 Depth=2
	s_or_b32 exec_lo, exec_lo, s10
	s_delay_alu instid0(SALU_CYCLE_1) | instskip(SKIP_1) | instid1(SALU_CYCLE_1)
	s_and_not1_b32 s6, s6, exec_lo
	s_and_b32 s9, s9, exec_lo
	s_or_b32 s6, s6, s9
.LBB47_46:                              ;   in Loop: Header=BB47_39 Depth=2
	s_or_b32 exec_lo, exec_lo, s7
	s_delay_alu instid0(SALU_CYCLE_1)
	s_and_b32 s6, s6, exec_lo
                                        ; implicit-def: $vgpr9
.LBB47_47:                              ;   in Loop: Header=BB47_39 Depth=2
	s_and_not1_saveexec_b32 s5, s5
	s_cbranch_execz .LBB47_38
; %bb.48:                               ;   in Loop: Header=BB47_39 Depth=2
	v_lshl_add_u32 v9, v8, 2, v9
	s_and_not1_b32 s6, s6, exec_lo
	ds_add_f32 v9, v3 offset:4096
	ds_add_f32 v9, v4 offset:4100
	s_branch .LBB47_38
.LBB47_49:
	s_or_b32 exec_lo, exec_lo, s1
.LBB47_50:
	v_mbcnt_lo_u32_b32 v1, -1, 0
	v_lshrrev_b32_e32 v2, 4, v0
	v_cmp_eq_u32_e32 vcc_lo, 0x1ff, v0
	v_cmp_lt_u32_e64 s0, 63, v0
	v_cmp_lt_u32_e64 s1, 0x7f, v0
	v_xor_b32_e32 v1, 63, v1
	v_dual_mov_b32 v8, 0 :: v_dual_and_b32 v3, 28, v2
	v_cmp_lt_u32_e64 s2, 0xbf, v0
	v_cmp_lt_u32_e64 s3, 0xff, v0
	s_delay_alu instid0(VALU_DEP_4) | instskip(NEXT) | instid1(VALU_DEP_4)
	v_lshrrev_b64 v[1:2], v1, -1
	v_dual_mov_b32 v9, 0 :: v_dual_add_nc_u32 v4, 0, v3
	v_cmp_lt_u32_e64 s4, 0x13f, v0
	v_cmp_lt_u32_e64 s5, 0x17f, v0
	;; [unrolled: 1-line block ×3, first 2 shown]
	s_mov_b32 s9, 0
	s_waitcnt lgkmcnt(0)
	s_barrier
	buffer_gl0_inv
	s_branch .LBB47_52
.LBB47_51:                              ;   in Loop: Header=BB47_52 Depth=1
	s_or_b32 exec_lo, exec_lo, s7
	s_waitcnt lgkmcnt(0)
	s_barrier
	buffer_gl0_inv
	ds_load_b32 v2, v8 offset:12316
	v_add_co_u32 v6, s7, 0x200, v6
	s_delay_alu instid0(VALU_DEP_1) | instskip(SKIP_3) | instid1(SALU_CYCLE_1)
	s_xor_b32 s7, s7, -1
	v_add_nc_u32_e32 v7, 0x1000, v7
	v_add_nc_u32_e32 v5, 0x800, v5
	s_and_b32 s7, exec_lo, s7
	s_or_b32 s9, s7, s9
	s_waitcnt lgkmcnt(0)
	v_add_nc_u32_e32 v9, v2, v9
	s_and_not1_b32 exec_lo, exec_lo, s9
	s_cbranch_execz .LBB47_70
.LBB47_52:                              ; =>This Inner Loop Header: Depth=1
	ds_load_b32 v10, v5
	ds_load_2addr_b32 v[2:3], v7 offset1:1
	s_waitcnt lgkmcnt(0)
	s_barrier
	buffer_gl0_inv
	v_cmp_gt_i32_e64 s7, s14, v10
	s_delay_alu instid0(VALU_DEP_1) | instskip(NEXT) | instid1(SALU_CYCLE_1)
	s_bcnt1_i32_b32 s10, s7
	v_dual_mov_b32 v12, s10 :: v_dual_and_b32 v11, s7, v1
	s_delay_alu instid0(VALU_DEP_1)
	v_bcnt_u32_b32 v11, v11, 0
	ds_store_b32 v4, v12 offset:12288
	s_waitcnt lgkmcnt(0)
	s_barrier
	buffer_gl0_inv
	s_and_saveexec_b32 s10, s0
	s_cbranch_execnz .LBB47_61
; %bb.53:                               ;   in Loop: Header=BB47_52 Depth=1
	s_or_b32 exec_lo, exec_lo, s10
	s_and_saveexec_b32 s10, s1
	s_cbranch_execnz .LBB47_62
.LBB47_54:                              ;   in Loop: Header=BB47_52 Depth=1
	s_or_b32 exec_lo, exec_lo, s10
	s_and_saveexec_b32 s10, s2
	s_cbranch_execnz .LBB47_63
.LBB47_55:                              ;   in Loop: Header=BB47_52 Depth=1
	s_or_b32 exec_lo, exec_lo, s10
	s_and_saveexec_b32 s10, s3
	s_cbranch_execnz .LBB47_64
.LBB47_56:                              ;   in Loop: Header=BB47_52 Depth=1
	s_or_b32 exec_lo, exec_lo, s10
	s_and_saveexec_b32 s10, s4
	s_cbranch_execnz .LBB47_65
.LBB47_57:                              ;   in Loop: Header=BB47_52 Depth=1
	s_or_b32 exec_lo, exec_lo, s10
	s_and_saveexec_b32 s10, s5
	s_cbranch_execnz .LBB47_66
.LBB47_58:                              ;   in Loop: Header=BB47_52 Depth=1
	s_or_b32 exec_lo, exec_lo, s10
	s_and_saveexec_b32 s10, s6
	s_cbranch_execnz .LBB47_67
.LBB47_59:                              ;   in Loop: Header=BB47_52 Depth=1
	s_or_b32 exec_lo, exec_lo, s10
	s_and_saveexec_b32 s10, s7
	s_cbranch_execnz .LBB47_68
.LBB47_60:                              ;   in Loop: Header=BB47_52 Depth=1
	s_or_b32 exec_lo, exec_lo, s10
	s_and_saveexec_b32 s7, vcc_lo
	s_cbranch_execz .LBB47_51
	s_branch .LBB47_69
.LBB47_61:                              ;   in Loop: Header=BB47_52 Depth=1
	ds_load_b32 v12, v8 offset:12288
	s_waitcnt lgkmcnt(0)
	v_add_nc_u32_e32 v11, v12, v11
	s_or_b32 exec_lo, exec_lo, s10
	s_and_saveexec_b32 s10, s1
	s_cbranch_execz .LBB47_54
.LBB47_62:                              ;   in Loop: Header=BB47_52 Depth=1
	ds_load_b32 v12, v8 offset:12292
	s_waitcnt lgkmcnt(0)
	v_add_nc_u32_e32 v11, v12, v11
	s_or_b32 exec_lo, exec_lo, s10
	s_and_saveexec_b32 s10, s2
	s_cbranch_execz .LBB47_55
.LBB47_63:                              ;   in Loop: Header=BB47_52 Depth=1
	ds_load_b32 v12, v8 offset:12296
	s_waitcnt lgkmcnt(0)
	v_add_nc_u32_e32 v11, v12, v11
	s_or_b32 exec_lo, exec_lo, s10
	s_and_saveexec_b32 s10, s3
	s_cbranch_execz .LBB47_56
.LBB47_64:                              ;   in Loop: Header=BB47_52 Depth=1
	ds_load_b32 v12, v8 offset:12300
	s_waitcnt lgkmcnt(0)
	v_add_nc_u32_e32 v11, v12, v11
	s_or_b32 exec_lo, exec_lo, s10
	s_and_saveexec_b32 s10, s4
	s_cbranch_execz .LBB47_57
.LBB47_65:                              ;   in Loop: Header=BB47_52 Depth=1
	ds_load_b32 v12, v8 offset:12304
	s_waitcnt lgkmcnt(0)
	v_add_nc_u32_e32 v11, v12, v11
	s_or_b32 exec_lo, exec_lo, s10
	s_and_saveexec_b32 s10, s5
	s_cbranch_execz .LBB47_58
.LBB47_66:                              ;   in Loop: Header=BB47_52 Depth=1
	ds_load_b32 v12, v8 offset:12308
	s_waitcnt lgkmcnt(0)
	v_add_nc_u32_e32 v11, v12, v11
	s_or_b32 exec_lo, exec_lo, s10
	s_and_saveexec_b32 s10, s6
	s_cbranch_execz .LBB47_59
.LBB47_67:                              ;   in Loop: Header=BB47_52 Depth=1
	ds_load_b32 v12, v8 offset:12312
	s_waitcnt lgkmcnt(0)
	v_add_nc_u32_e32 v11, v12, v11
	s_or_b32 exec_lo, exec_lo, s10
	s_and_saveexec_b32 s10, s7
	s_cbranch_execz .LBB47_60
.LBB47_68:                              ;   in Loop: Header=BB47_52 Depth=1
	s_delay_alu instid0(VALU_DEP_1) | instskip(NEXT) | instid1(VALU_DEP_1)
	v_add3_u32 v12, v9, -1, v11
	v_lshlrev_b32_e32 v13, 3, v12
	v_lshl_add_u32 v12, v12, 2, 0
	s_delay_alu instid0(VALU_DEP_2)
	v_add3_u32 v13, 0, v13, 0x1000
	ds_store_b32 v12, v10
	ds_store_2addr_b32 v13, v2, v3 offset1:1
	s_or_b32 exec_lo, exec_lo, s10
	s_and_saveexec_b32 s7, vcc_lo
	s_cbranch_execz .LBB47_51
.LBB47_69:                              ;   in Loop: Header=BB47_52 Depth=1
	ds_store_b32 v8, v11 offset:12316
	s_branch .LBB47_51
.LBB47_70:
	s_or_b32 exec_lo, exec_lo, s9
	s_ashr_i32 s9, s8, 31
	s_mov_b32 s3, exec_lo
	s_lshl_b64 s[0:1], s[8:9], 2
	s_delay_alu instid0(SALU_CYCLE_1) | instskip(SKIP_4) | instid1(SALU_CYCLE_1)
	s_add_u32 s0, s34, s0
	s_addc_u32 s1, s35, s1
	s_load_b64 s[0:1], s[0:1], 0x0
	s_waitcnt lgkmcnt(0)
	s_sub_i32 s2, s1, s0
	v_cmpx_gt_i32_e64 s2, v0
	s_cbranch_execz .LBB47_80
; %bb.71:
	s_sub_i32 s3, s0, s26
	s_sub_i32 s0, s0, s1
	s_and_b32 s1, s2, 7
	s_cmp_lt_u32 s0, -7
	s_mov_b32 s7, 0
	s_cselect_b32 s4, -1, 0
	s_and_b32 s5, s2, -8
	s_cmp_lg_u32 s1, 0
	s_cselect_b32 s6, -1, 0
	s_branch .LBB47_73
.LBB47_72:                              ;   in Loop: Header=BB47_73 Depth=1
	s_waitcnt lgkmcnt(1)
	s_delay_alu instid0(VALU_DEP_1) | instskip(SKIP_1) | instid1(VALU_DEP_2)
	v_ashrrev_i32_e32 v4, 31, v3
	v_add_nc_u32_e32 v0, 0x200, v0
	v_lshlrev_b64 v[3:4], 3, v[3:4]
	s_delay_alu instid0(VALU_DEP_2) | instskip(SKIP_1) | instid1(VALU_DEP_2)
	v_cmp_le_i32_e32 vcc_lo, s2, v0
	s_or_b32 s7, vcc_lo, s7
	v_add_co_u32 v3, s0, s12, v3
	s_delay_alu instid0(VALU_DEP_1)
	v_add_co_ci_u32_e64 v4, s0, s13, v4, s0
	s_waitcnt lgkmcnt(0)
	global_store_b64 v[3:4], v[1:2], off
	s_and_not1_b32 exec_lo, exec_lo, s7
	s_cbranch_execz .LBB47_80
.LBB47_73:                              ; =>This Loop Header: Depth=1
                                        ;     Child Loop BB47_75 Depth 2
                                        ;     Child Loop BB47_79 Depth 2
	v_lshlrev_b32_e32 v1, 2, v0
	s_and_not1_b32 vcc_lo, exec_lo, s4
	s_mov_b32 s0, 0
	s_delay_alu instid0(VALU_DEP_1) | instskip(NEXT) | instid1(VALU_DEP_1)
	v_dual_mov_b32 v3, s3 :: v_dual_add_nc_u32 v2, 0, v1
	v_add3_u32 v1, v2, v1, 0x1000
	ds_load_b32 v4, v2
	ds_load_2addr_b32 v[1:2], v1 offset1:1
	s_cbranch_vccnz .LBB47_77
; %bb.74:                               ;   in Loop: Header=BB47_73 Depth=1
	v_mov_b32_e32 v3, s3
	s_mov_b32 s8, 0
	s_set_inst_prefetch_distance 0x1
	.p2align	6
.LBB47_75:                              ;   Parent Loop BB47_73 Depth=1
                                        ; =>  This Inner Loop Header: Depth=2
	v_mov_b32_e32 v11, s8
	s_add_i32 s0, s0, 8
	s_add_i32 s8, s8, 32
	s_cmp_eq_u32 s5, s0
	ds_load_2addr_b32 v[5:6], v11 offset1:1
	ds_load_2addr_b32 v[7:8], v11 offset0:2 offset1:3
	ds_load_2addr_b32 v[9:10], v11 offset0:4 offset1:5
	;; [unrolled: 1-line block ×3, first 2 shown]
	s_waitcnt lgkmcnt(3)
	v_cmp_gt_i32_e32 vcc_lo, v4, v5
	v_cndmask_b32_e64 v5, 0, 1, vcc_lo
	s_waitcnt lgkmcnt(2)
	v_cmp_gt_i32_e32 vcc_lo, v4, v7
	v_cndmask_b32_e64 v7, 0, 1, vcc_lo
	v_cmp_gt_i32_e32 vcc_lo, v4, v6
	v_add_co_ci_u32_e32 v3, vcc_lo, v3, v5, vcc_lo
	s_waitcnt lgkmcnt(1)
	v_cmp_gt_i32_e32 vcc_lo, v4, v9
	v_cndmask_b32_e64 v5, 0, 1, vcc_lo
	v_cmp_gt_i32_e32 vcc_lo, v4, v8
	v_add_co_ci_u32_e32 v3, vcc_lo, v3, v7, vcc_lo
	;; [unrolled: 5-line block ×3, first 2 shown]
	v_cmp_gt_i32_e32 vcc_lo, v4, v12
	s_delay_alu instid0(VALU_DEP_2)
	v_add_co_ci_u32_e32 v3, vcc_lo, v3, v6, vcc_lo
	s_cbranch_scc0 .LBB47_75
; %bb.76:                               ;   in Loop: Header=BB47_73 Depth=1
	s_set_inst_prefetch_distance 0x2
	s_mov_b32 s0, s5
.LBB47_77:                              ;   in Loop: Header=BB47_73 Depth=1
	s_and_not1_b32 vcc_lo, exec_lo, s6
	s_cbranch_vccnz .LBB47_72
; %bb.78:                               ;   in Loop: Header=BB47_73 Depth=1
	s_lshl_b32 s0, s0, 2
	s_mov_b32 s8, s1
	s_add_i32 s0, s0, 0
.LBB47_79:                              ;   Parent Loop BB47_73 Depth=1
                                        ; =>  This Inner Loop Header: Depth=2
	s_delay_alu instid0(SALU_CYCLE_1)
	v_mov_b32_e32 v5, s0
	s_add_i32 s8, s8, -1
	s_add_i32 s0, s0, 4
	s_cmp_lg_u32 s8, 0
	ds_load_b32 v5, v5
	s_waitcnt lgkmcnt(0)
	v_cmp_gt_i32_e32 vcc_lo, v4, v5
	v_add_co_ci_u32_e32 v3, vcc_lo, 0, v3, vcc_lo
	s_cbranch_scc1 .LBB47_79
	s_branch .LBB47_72
.LBB47_80:
	s_nop 0
	s_sendmsg sendmsg(MSG_DEALLOC_VGPRS)
	s_endpgm
	.section	.rodata,"a",@progbits
	.p2align	6, 0x0
	.amdhsa_kernel _ZN9rocsparseL41csrgemm_numeric_fill_block_per_row_kernelILj512ELj32ELj1024ELj137ELj64Eii21rocsparse_complex_numIfEEEvT5_PKS3_S5_NS_24const_host_device_scalarIT6_EEPKT4_S5_PKS7_SB_S5_SD_S8_SB_S5_SD_SB_S5_PS7_21rocsparse_index_base_SF_SF_SF_bbb
		.amdhsa_group_segment_fixed_size 0
		.amdhsa_private_segment_fixed_size 0
		.amdhsa_kernarg_size 156
		.amdhsa_user_sgpr_count 15
		.amdhsa_user_sgpr_dispatch_ptr 0
		.amdhsa_user_sgpr_queue_ptr 0
		.amdhsa_user_sgpr_kernarg_segment_ptr 1
		.amdhsa_user_sgpr_dispatch_id 0
		.amdhsa_user_sgpr_private_segment_size 0
		.amdhsa_wavefront_size32 1
		.amdhsa_uses_dynamic_stack 0
		.amdhsa_enable_private_segment 0
		.amdhsa_system_sgpr_workgroup_id_x 1
		.amdhsa_system_sgpr_workgroup_id_y 0
		.amdhsa_system_sgpr_workgroup_id_z 0
		.amdhsa_system_sgpr_workgroup_info 0
		.amdhsa_system_vgpr_workitem_id 0
		.amdhsa_next_free_vgpr 16
		.amdhsa_next_free_sgpr 43
		.amdhsa_reserve_vcc 1
		.amdhsa_float_round_mode_32 0
		.amdhsa_float_round_mode_16_64 0
		.amdhsa_float_denorm_mode_32 3
		.amdhsa_float_denorm_mode_16_64 3
		.amdhsa_dx10_clamp 1
		.amdhsa_ieee_mode 1
		.amdhsa_fp16_overflow 0
		.amdhsa_workgroup_processor_mode 1
		.amdhsa_memory_ordered 1
		.amdhsa_forward_progress 0
		.amdhsa_shared_vgpr_count 0
		.amdhsa_exception_fp_ieee_invalid_op 0
		.amdhsa_exception_fp_denorm_src 0
		.amdhsa_exception_fp_ieee_div_zero 0
		.amdhsa_exception_fp_ieee_overflow 0
		.amdhsa_exception_fp_ieee_underflow 0
		.amdhsa_exception_fp_ieee_inexact 0
		.amdhsa_exception_int_div_zero 0
	.end_amdhsa_kernel
	.section	.text._ZN9rocsparseL41csrgemm_numeric_fill_block_per_row_kernelILj512ELj32ELj1024ELj137ELj64Eii21rocsparse_complex_numIfEEEvT5_PKS3_S5_NS_24const_host_device_scalarIT6_EEPKT4_S5_PKS7_SB_S5_SD_S8_SB_S5_SD_SB_S5_PS7_21rocsparse_index_base_SF_SF_SF_bbb,"axG",@progbits,_ZN9rocsparseL41csrgemm_numeric_fill_block_per_row_kernelILj512ELj32ELj1024ELj137ELj64Eii21rocsparse_complex_numIfEEEvT5_PKS3_S5_NS_24const_host_device_scalarIT6_EEPKT4_S5_PKS7_SB_S5_SD_S8_SB_S5_SD_SB_S5_PS7_21rocsparse_index_base_SF_SF_SF_bbb,comdat
.Lfunc_end47:
	.size	_ZN9rocsparseL41csrgemm_numeric_fill_block_per_row_kernelILj512ELj32ELj1024ELj137ELj64Eii21rocsparse_complex_numIfEEEvT5_PKS3_S5_NS_24const_host_device_scalarIT6_EEPKT4_S5_PKS7_SB_S5_SD_S8_SB_S5_SD_SB_S5_PS7_21rocsparse_index_base_SF_SF_SF_bbb, .Lfunc_end47-_ZN9rocsparseL41csrgemm_numeric_fill_block_per_row_kernelILj512ELj32ELj1024ELj137ELj64Eii21rocsparse_complex_numIfEEEvT5_PKS3_S5_NS_24const_host_device_scalarIT6_EEPKT4_S5_PKS7_SB_S5_SD_S8_SB_S5_SD_SB_S5_PS7_21rocsparse_index_base_SF_SF_SF_bbb
                                        ; -- End function
	.section	.AMDGPU.csdata,"",@progbits
; Kernel info:
; codeLenInByte = 2920
; NumSgprs: 45
; NumVgprs: 16
; ScratchSize: 0
; MemoryBound: 0
; FloatMode: 240
; IeeeMode: 1
; LDSByteSize: 0 bytes/workgroup (compile time only)
; SGPRBlocks: 5
; VGPRBlocks: 1
; NumSGPRsForWavesPerEU: 45
; NumVGPRsForWavesPerEU: 16
; Occupancy: 16
; WaveLimiterHint : 1
; COMPUTE_PGM_RSRC2:SCRATCH_EN: 0
; COMPUTE_PGM_RSRC2:USER_SGPR: 15
; COMPUTE_PGM_RSRC2:TRAP_HANDLER: 0
; COMPUTE_PGM_RSRC2:TGID_X_EN: 1
; COMPUTE_PGM_RSRC2:TGID_Y_EN: 0
; COMPUTE_PGM_RSRC2:TGID_Z_EN: 0
; COMPUTE_PGM_RSRC2:TIDIG_COMP_CNT: 0
	.section	.text._ZN9rocsparseL41csrgemm_numeric_fill_block_per_row_kernelILj1024ELj32ELj2048ELj137ELj32Eii21rocsparse_complex_numIfEEEvT5_PKS3_S5_NS_24const_host_device_scalarIT6_EEPKT4_S5_PKS7_SB_S5_SD_S8_SB_S5_SD_SB_S5_PS7_21rocsparse_index_base_SF_SF_SF_bbb,"axG",@progbits,_ZN9rocsparseL41csrgemm_numeric_fill_block_per_row_kernelILj1024ELj32ELj2048ELj137ELj32Eii21rocsparse_complex_numIfEEEvT5_PKS3_S5_NS_24const_host_device_scalarIT6_EEPKT4_S5_PKS7_SB_S5_SD_S8_SB_S5_SD_SB_S5_PS7_21rocsparse_index_base_SF_SF_SF_bbb,comdat
	.globl	_ZN9rocsparseL41csrgemm_numeric_fill_block_per_row_kernelILj1024ELj32ELj2048ELj137ELj32Eii21rocsparse_complex_numIfEEEvT5_PKS3_S5_NS_24const_host_device_scalarIT6_EEPKT4_S5_PKS7_SB_S5_SD_S8_SB_S5_SD_SB_S5_PS7_21rocsparse_index_base_SF_SF_SF_bbb ; -- Begin function _ZN9rocsparseL41csrgemm_numeric_fill_block_per_row_kernelILj1024ELj32ELj2048ELj137ELj32Eii21rocsparse_complex_numIfEEEvT5_PKS3_S5_NS_24const_host_device_scalarIT6_EEPKT4_S5_PKS7_SB_S5_SD_S8_SB_S5_SD_SB_S5_PS7_21rocsparse_index_base_SF_SF_SF_bbb
	.p2align	8
	.type	_ZN9rocsparseL41csrgemm_numeric_fill_block_per_row_kernelILj1024ELj32ELj2048ELj137ELj32Eii21rocsparse_complex_numIfEEEvT5_PKS3_S5_NS_24const_host_device_scalarIT6_EEPKT4_S5_PKS7_SB_S5_SD_S8_SB_S5_SD_SB_S5_PS7_21rocsparse_index_base_SF_SF_SF_bbb,@function
_ZN9rocsparseL41csrgemm_numeric_fill_block_per_row_kernelILj1024ELj32ELj2048ELj137ELj32Eii21rocsparse_complex_numIfEEEvT5_PKS3_S5_NS_24const_host_device_scalarIT6_EEPKT4_S5_PKS7_SB_S5_SD_S8_SB_S5_SD_SB_S5_PS7_21rocsparse_index_base_SF_SF_SF_bbb: ; @_ZN9rocsparseL41csrgemm_numeric_fill_block_per_row_kernelILj1024ELj32ELj2048ELj137ELj32Eii21rocsparse_complex_numIfEEEvT5_PKS3_S5_NS_24const_host_device_scalarIT6_EEPKT4_S5_PKS7_SB_S5_SD_S8_SB_S5_SD_SB_S5_PS7_21rocsparse_index_base_SF_SF_SF_bbb
; %bb.0:
	s_clause 0x7
	s_load_b32 s12, s[0:1], 0x98
	s_load_b64 s[40:41], s[0:1], 0x70
	s_load_b128 s[24:27], s[0:1], 0x60
	s_load_b256 s[4:11], s[0:1], 0x40
	s_load_b128 s[28:31], s[0:1], 0x8
	s_load_b256 s[16:23], s[0:1], 0x20
	s_load_b64 s[34:35], s[0:1], 0x80
	s_load_b128 s[36:39], s[0:1], 0x88
	s_mov_b32 s3, 0
	s_mov_b32 s13, 0
	s_waitcnt lgkmcnt(0)
	s_bitcmp1_b32 s12, 0
	s_cselect_b32 s43, -1, 0
	s_bitcmp1_b32 s12, 16
	s_cselect_b32 s2, -1, 0
	s_delay_alu instid0(SALU_CYCLE_1) | instskip(SKIP_2) | instid1(VALU_DEP_1)
	s_xor_b32 s14, s2, -1
	s_bitcmp0_b32 s12, 0
	v_cndmask_b32_e64 v1, 0, 1, s14
	v_cmp_ne_u32_e32 vcc_lo, 1, v1
	s_cbranch_scc1 .LBB48_5
; %bb.1:
	s_load_b64 s[2:3], s[0:1], 0x18
	s_and_b32 vcc_lo, exec_lo, vcc_lo
	s_waitcnt lgkmcnt(0)
	s_mov_b32 s13, s2
	s_cbranch_vccnz .LBB48_3
; %bb.2:
	s_load_b32 s13, s[2:3], 0x0
.LBB48_3:
	s_and_not1_b32 vcc_lo, exec_lo, s14
	s_cbranch_vccnz .LBB48_5
; %bb.4:
	s_load_b32 s3, s[2:3], 0x4
.LBB48_5:
	s_bitcmp1_b32 s12, 8
	s_cselect_b32 s14, -1, 0
	s_bfe_u32 s2, s12, 0x10008
	s_mov_b32 s12, 0
	s_cmp_eq_u32 s2, 0
	s_mov_b32 s2, 0
	s_cbranch_scc1 .LBB48_11
; %bb.6:
	v_cmp_ne_u32_e32 vcc_lo, 1, v1
	s_mov_b32 s2, s8
	s_cbranch_vccnz .LBB48_8
; %bb.7:
	s_load_b32 s2, s[8:9], 0x0
.LBB48_8:
	v_cmp_ne_u32_e32 vcc_lo, 1, v1
	s_cbranch_vccnz .LBB48_10
; %bb.9:
	s_load_b32 s9, s[8:9], 0x4
.LBB48_10:
	s_waitcnt lgkmcnt(0)
	s_mov_b32 s12, s9
.LBB48_11:
	s_load_b32 s33, s[0:1], 0x0
	v_lshl_add_u32 v5, v0, 2, 0
	v_lshlrev_b32_e32 v1, 3, v0
	v_or_b32_e32 v6, 0xfffffc00, v0
	s_mov_b32 s0, 0
	s_delay_alu instid0(VALU_DEP_3) | instskip(NEXT) | instid1(VALU_DEP_3)
	v_mov_b32_e32 v2, v5
	v_add3_u32 v7, v1, 0, 0x2000
	v_mov_b32_e32 v1, 0
	s_delay_alu instid0(VALU_DEP_2)
	v_dual_mov_b32 v3, v6 :: v_dual_mov_b32 v8, v7
	s_waitcnt lgkmcnt(0)
	v_mov_b32_e32 v4, s33
.LBB48_12:                              ; =>This Inner Loop Header: Depth=1
	s_delay_alu instid0(VALU_DEP_2) | instskip(NEXT) | instid1(VALU_DEP_1)
	v_add_co_u32 v3, s1, 0x400, v3
	s_xor_b32 s1, s1, -1
	ds_store_b32 v2, v4
	ds_store_2addr_b32 v8, v1, v1 offset1:1
	v_add_nc_u32_e32 v8, 0x2000, v8
	v_add_nc_u32_e32 v2, 0x1000, v2
	s_and_b32 s1, exec_lo, s1
	s_delay_alu instid0(SALU_CYCLE_1) | instskip(NEXT) | instid1(SALU_CYCLE_1)
	s_or_b32 s0, s1, s0
	s_and_not1_b32 exec_lo, exec_lo, s0
	s_cbranch_execnz .LBB48_12
; %bb.13:
	s_or_b32 exec_lo, exec_lo, s0
	s_waitcnt lgkmcnt(0)
	s_barrier
	buffer_gl0_inv
	s_load_b32 s0, s[28:29], 0x0
	s_mov_b32 s1, 0
	v_lshrrev_b32_e32 v8, 5, v0
	s_waitcnt lgkmcnt(0)
	s_add_i32 s0, s0, s15
	s_delay_alu instid0(SALU_CYCLE_1) | instskip(NEXT) | instid1(SALU_CYCLE_1)
	s_lshl_b64 s[0:1], s[0:1], 2
	s_add_u32 s0, s30, s0
	s_addc_u32 s1, s31, s1
	s_and_b32 vcc_lo, exec_lo, s43
	s_load_b32 s42, s[0:1], 0x0
	s_cbranch_vccz .LBB48_33
; %bb.14:
	s_waitcnt lgkmcnt(0)
	s_ashr_i32 s43, s42, 31
	v_subrev_nc_u32_e32 v1, s36, v8
	s_lshl_b64 s[0:1], s[42:43], 2
	s_delay_alu instid0(SALU_CYCLE_1)
	s_add_u32 s0, s16, s0
	s_addc_u32 s1, s17, s1
	s_load_b64 s[0:1], s[0:1], 0x0
	s_waitcnt lgkmcnt(0)
	v_add_nc_u32_e32 v1, s0, v1
	s_sub_i32 s0, s1, s36
	s_mov_b32 s1, exec_lo
	s_delay_alu instid0(VALU_DEP_1)
	v_cmpx_gt_i32_e64 s0, v1
	s_cbranch_execz .LBB48_32
; %bb.15:
	v_and_b32_e32 v2, 31, v0
	s_mov_b32 s8, 0
	s_delay_alu instid0(VALU_DEP_1)
	v_subrev_nc_u32_e32 v9, s37, v2
	s_branch .LBB48_17
.LBB48_16:                              ;   in Loop: Header=BB48_17 Depth=1
	s_or_b32 exec_lo, exec_lo, s9
	v_add_nc_u32_e32 v1, 32, v1
	s_delay_alu instid0(VALU_DEP_1) | instskip(SKIP_1) | instid1(SALU_CYCLE_1)
	v_cmp_le_i32_e32 vcc_lo, s0, v1
	s_or_b32 s8, vcc_lo, s8
	s_and_not1_b32 exec_lo, exec_lo, s8
	s_cbranch_execz .LBB48_32
.LBB48_17:                              ; =>This Loop Header: Depth=1
                                        ;     Child Loop BB48_20 Depth 2
                                        ;       Child Loop BB48_22 Depth 3
	v_ashrrev_i32_e32 v2, 31, v1
	s_mov_b32 s9, exec_lo
	s_delay_alu instid0(VALU_DEP_1) | instskip(NEXT) | instid1(VALU_DEP_1)
	v_lshlrev_b64 v[3:4], 2, v[1:2]
	v_add_co_u32 v3, vcc_lo, s18, v3
	s_delay_alu instid0(VALU_DEP_2) | instskip(SKIP_3) | instid1(VALU_DEP_1)
	v_add_co_ci_u32_e32 v4, vcc_lo, s19, v4, vcc_lo
	global_load_b32 v3, v[3:4], off
	s_waitcnt vmcnt(0)
	v_subrev_nc_u32_e32 v3, s36, v3
	v_ashrrev_i32_e32 v4, 31, v3
	s_delay_alu instid0(VALU_DEP_1) | instskip(NEXT) | instid1(VALU_DEP_1)
	v_lshlrev_b64 v[3:4], 2, v[3:4]
	v_add_co_u32 v3, vcc_lo, s22, v3
	s_delay_alu instid0(VALU_DEP_2) | instskip(SKIP_4) | instid1(VALU_DEP_1)
	v_add_co_ci_u32_e32 v4, vcc_lo, s23, v4, vcc_lo
	global_load_b64 v[3:4], v[3:4], off
	s_waitcnt vmcnt(0)
	v_subrev_nc_u32_e32 v10, s37, v4
	v_add_nc_u32_e32 v3, v3, v9
	v_cmpx_lt_i32_e64 v3, v10
	s_cbranch_execz .LBB48_16
; %bb.18:                               ;   in Loop: Header=BB48_17 Depth=1
	v_lshlrev_b64 v[11:12], 3, v[1:2]
	s_mov_b32 s15, 0
	s_delay_alu instid0(VALU_DEP_1) | instskip(NEXT) | instid1(VALU_DEP_2)
	v_add_co_u32 v11, vcc_lo, s20, v11
	v_add_co_ci_u32_e32 v12, vcc_lo, s21, v12, vcc_lo
	global_load_b64 v[12:13], v[11:12], off
	s_waitcnt vmcnt(0)
	v_mul_f32_e64 v2, v13, -s3
	s_delay_alu instid0(VALU_DEP_1) | instskip(NEXT) | instid1(VALU_DEP_1)
	v_dual_mul_f32 v11, s13, v13 :: v_dual_fmac_f32 v2, s13, v12
	v_fmac_f32_e32 v11, s3, v12
	s_branch .LBB48_20
.LBB48_19:                              ;   in Loop: Header=BB48_20 Depth=2
	s_or_b32 exec_lo, exec_lo, s16
	v_add_nc_u32_e32 v3, 32, v3
	s_delay_alu instid0(VALU_DEP_1) | instskip(SKIP_1) | instid1(SALU_CYCLE_1)
	v_cmp_ge_i32_e32 vcc_lo, v3, v10
	s_or_b32 s15, vcc_lo, s15
	s_and_not1_b32 exec_lo, exec_lo, s15
	s_cbranch_execz .LBB48_16
.LBB48_20:                              ;   Parent Loop BB48_17 Depth=1
                                        ; =>  This Loop Header: Depth=2
                                        ;       Child Loop BB48_22 Depth 3
	v_ashrrev_i32_e32 v4, 31, v3
	s_mov_b32 s16, 0
	s_delay_alu instid0(VALU_DEP_1) | instskip(SKIP_1) | instid1(VALU_DEP_2)
	v_lshlrev_b64 v[12:13], 2, v[3:4]
	v_lshlrev_b64 v[14:15], 3, v[3:4]
	v_add_co_u32 v12, vcc_lo, s4, v12
	s_delay_alu instid0(VALU_DEP_3)
	v_add_co_ci_u32_e32 v13, vcc_lo, s5, v13, vcc_lo
	global_load_b32 v4, v[12:13], off
	v_add_co_u32 v12, vcc_lo, s6, v14
	v_add_co_ci_u32_e32 v13, vcc_lo, s7, v15, vcc_lo
	global_load_b64 v[14:15], v[12:13], off
	s_waitcnt vmcnt(1)
	v_subrev_nc_u32_e32 v4, s37, v4
	s_delay_alu instid0(VALU_DEP_1) | instskip(SKIP_3) | instid1(VALU_DEP_2)
	v_mul_lo_u32 v16, 0x89, v4
	s_waitcnt vmcnt(0)
	v_mul_f32_e64 v12, v15, -v11
	v_mul_f32_e32 v13, v2, v15
	v_fmac_f32_e32 v12, v2, v14
	s_delay_alu instid0(VALU_DEP_2)
	v_dual_fmac_f32 v13, v11, v14 :: v_dual_and_b32 v14, 0x7ff, v16
	s_branch .LBB48_22
.LBB48_21:                              ;   in Loop: Header=BB48_22 Depth=3
	s_or_b32 exec_lo, exec_lo, s17
	s_xor_b32 s17, s28, -1
	s_delay_alu instid0(SALU_CYCLE_1) | instskip(NEXT) | instid1(SALU_CYCLE_1)
	s_and_b32 s17, exec_lo, s17
	s_or_b32 s16, s17, s16
	s_delay_alu instid0(SALU_CYCLE_1)
	s_and_not1_b32 exec_lo, exec_lo, s16
	s_cbranch_execz .LBB48_19
.LBB48_22:                              ;   Parent Loop BB48_17 Depth=1
                                        ;     Parent Loop BB48_20 Depth=2
                                        ; =>    This Inner Loop Header: Depth=3
	s_delay_alu instid0(VALU_DEP_1)
	v_lshl_add_u32 v15, v14, 2, 0
	s_mov_b32 s17, exec_lo
                                        ; implicit-def: $sgpr28
	ds_load_b32 v16, v15
	s_waitcnt lgkmcnt(0)
	v_cmpx_ne_u32_e64 v16, v4
	s_xor_b32 s17, exec_lo, s17
	s_cbranch_execz .LBB48_30
; %bb.23:                               ;   in Loop: Header=BB48_22 Depth=3
	s_mov_b32 s29, exec_lo
                                        ; implicit-def: $sgpr28
	v_cmpx_ne_u32_e64 s33, v16
	s_xor_b32 s29, exec_lo, s29
; %bb.24:                               ;   in Loop: Header=BB48_22 Depth=3
	v_add_nc_u32_e32 v14, 1, v14
	s_mov_b32 s28, -1
                                        ; implicit-def: $vgpr15
	s_delay_alu instid0(VALU_DEP_1)
	v_and_b32_e32 v14, 0x7ff, v14
; %bb.25:                               ;   in Loop: Header=BB48_22 Depth=3
	s_and_not1_saveexec_b32 s29, s29
	s_cbranch_execz .LBB48_29
; %bb.26:                               ;   in Loop: Header=BB48_22 Depth=3
	v_mov_b32_e32 v16, s33
	s_mov_b32 s30, -1
	s_mov_b32 s31, exec_lo
	ds_cmpstore_rtn_b32 v16, v15, v4, v16
	s_waitcnt lgkmcnt(0)
	v_cmpx_eq_u32_e64 s33, v16
	s_cbranch_execz .LBB48_28
; %bb.27:                               ;   in Loop: Header=BB48_22 Depth=3
	v_lshl_add_u32 v15, v14, 2, v15
	s_xor_b32 s30, exec_lo, -1
	ds_add_f32 v15, v12 offset:8192
	ds_add_f32 v15, v13 offset:8196
.LBB48_28:                              ;   in Loop: Header=BB48_22 Depth=3
	s_or_b32 exec_lo, exec_lo, s31
	s_delay_alu instid0(SALU_CYCLE_1) | instskip(SKIP_1) | instid1(SALU_CYCLE_1)
	s_and_not1_b32 s28, s28, exec_lo
	s_and_b32 s30, s30, exec_lo
	s_or_b32 s28, s28, s30
.LBB48_29:                              ;   in Loop: Header=BB48_22 Depth=3
	s_or_b32 exec_lo, exec_lo, s29
	s_delay_alu instid0(SALU_CYCLE_1)
	s_and_b32 s28, s28, exec_lo
                                        ; implicit-def: $vgpr15
.LBB48_30:                              ;   in Loop: Header=BB48_22 Depth=3
	s_and_not1_saveexec_b32 s17, s17
	s_cbranch_execz .LBB48_21
; %bb.31:                               ;   in Loop: Header=BB48_22 Depth=3
	v_lshl_add_u32 v15, v14, 2, v15
	s_and_not1_b32 s28, s28, exec_lo
	ds_add_f32 v15, v12 offset:8192
	ds_add_f32 v15, v13 offset:8196
	s_branch .LBB48_21
.LBB48_32:
	s_or_b32 exec_lo, exec_lo, s1
.LBB48_33:
	s_delay_alu instid0(SALU_CYCLE_1)
	s_and_not1_b32 vcc_lo, exec_lo, s14
	s_cbranch_vccnz .LBB48_50
; %bb.34:
	s_waitcnt lgkmcnt(0)
	s_ashr_i32 s43, s42, 31
	v_subrev_nc_u32_e32 v1, s39, v0
	s_lshl_b64 s[0:1], s[42:43], 2
	s_delay_alu instid0(SALU_CYCLE_1)
	s_add_u32 s0, s10, s0
	s_addc_u32 s1, s11, s1
	s_load_b64 s[0:1], s[0:1], 0x0
	s_waitcnt lgkmcnt(0)
	v_add_nc_u32_e32 v1, s0, v1
	s_sub_i32 s0, s1, s39
	s_mov_b32 s1, exec_lo
	s_delay_alu instid0(VALU_DEP_1)
	v_cmpx_gt_i32_e64 s0, v1
	s_cbranch_execz .LBB48_49
; %bb.35:
	s_mov_b32 s3, 0
	s_branch .LBB48_37
.LBB48_36:                              ;   in Loop: Header=BB48_37 Depth=1
	s_or_b32 exec_lo, exec_lo, s4
	v_add_nc_u32_e32 v1, 0x400, v1
	s_delay_alu instid0(VALU_DEP_1) | instskip(SKIP_1) | instid1(SALU_CYCLE_1)
	v_cmp_le_i32_e32 vcc_lo, s0, v1
	s_or_b32 s3, vcc_lo, s3
	s_and_not1_b32 exec_lo, exec_lo, s3
	s_cbranch_execz .LBB48_49
.LBB48_37:                              ; =>This Loop Header: Depth=1
                                        ;     Child Loop BB48_39 Depth 2
	v_ashrrev_i32_e32 v2, 31, v1
	s_mov_b32 s4, 0
	s_delay_alu instid0(VALU_DEP_1) | instskip(SKIP_1) | instid1(VALU_DEP_2)
	v_lshlrev_b64 v[3:4], 2, v[1:2]
	v_lshlrev_b64 v[9:10], 3, v[1:2]
	v_add_co_u32 v3, vcc_lo, s24, v3
	s_delay_alu instid0(VALU_DEP_3) | instskip(NEXT) | instid1(VALU_DEP_3)
	v_add_co_ci_u32_e32 v4, vcc_lo, s25, v4, vcc_lo
	v_add_co_u32 v2, vcc_lo, s26, v9
	global_load_b32 v4, v[3:4], off
	v_add_co_ci_u32_e32 v3, vcc_lo, s27, v10, vcc_lo
	global_load_b64 v[9:10], v[2:3], off
	s_waitcnt vmcnt(1)
	v_subrev_nc_u32_e32 v2, s39, v4
	s_delay_alu instid0(VALU_DEP_1) | instskip(SKIP_2) | instid1(VALU_DEP_1)
	v_mul_lo_u32 v11, 0x89, v2
	s_waitcnt vmcnt(0)
	v_mul_f32_e64 v3, v10, -s12
	v_dual_mul_f32 v4, s2, v10 :: v_dual_fmac_f32 v3, s2, v9
	s_delay_alu instid0(VALU_DEP_1)
	v_dual_fmac_f32 v4, s12, v9 :: v_dual_and_b32 v9, 0x7ff, v11
	s_branch .LBB48_39
.LBB48_38:                              ;   in Loop: Header=BB48_39 Depth=2
	s_or_b32 exec_lo, exec_lo, s5
	s_xor_b32 s5, s6, -1
	s_delay_alu instid0(SALU_CYCLE_1) | instskip(NEXT) | instid1(SALU_CYCLE_1)
	s_and_b32 s5, exec_lo, s5
	s_or_b32 s4, s5, s4
	s_delay_alu instid0(SALU_CYCLE_1)
	s_and_not1_b32 exec_lo, exec_lo, s4
	s_cbranch_execz .LBB48_36
.LBB48_39:                              ;   Parent Loop BB48_37 Depth=1
                                        ; =>  This Inner Loop Header: Depth=2
	s_delay_alu instid0(VALU_DEP_1)
	v_lshl_add_u32 v10, v9, 2, 0
	s_mov_b32 s5, exec_lo
                                        ; implicit-def: $sgpr6
	ds_load_b32 v11, v10
	s_waitcnt lgkmcnt(0)
	v_cmpx_ne_u32_e64 v11, v2
	s_xor_b32 s5, exec_lo, s5
	s_cbranch_execz .LBB48_47
; %bb.40:                               ;   in Loop: Header=BB48_39 Depth=2
	s_mov_b32 s7, exec_lo
                                        ; implicit-def: $sgpr6
	v_cmpx_ne_u32_e64 s33, v11
	s_xor_b32 s7, exec_lo, s7
; %bb.41:                               ;   in Loop: Header=BB48_39 Depth=2
	v_add_nc_u32_e32 v9, 1, v9
	s_mov_b32 s6, -1
                                        ; implicit-def: $vgpr10
	s_delay_alu instid0(VALU_DEP_1)
	v_and_b32_e32 v9, 0x7ff, v9
; %bb.42:                               ;   in Loop: Header=BB48_39 Depth=2
	s_and_not1_saveexec_b32 s7, s7
	s_cbranch_execz .LBB48_46
; %bb.43:                               ;   in Loop: Header=BB48_39 Depth=2
	v_mov_b32_e32 v11, s33
	s_mov_b32 s8, -1
	s_mov_b32 s9, exec_lo
	ds_cmpstore_rtn_b32 v11, v10, v2, v11
	s_waitcnt lgkmcnt(0)
	v_cmpx_eq_u32_e64 s33, v11
	s_cbranch_execz .LBB48_45
; %bb.44:                               ;   in Loop: Header=BB48_39 Depth=2
	v_lshl_add_u32 v10, v9, 2, v10
	s_xor_b32 s8, exec_lo, -1
	ds_add_f32 v10, v3 offset:8192
	ds_add_f32 v10, v4 offset:8196
.LBB48_45:                              ;   in Loop: Header=BB48_39 Depth=2
	s_or_b32 exec_lo, exec_lo, s9
	s_delay_alu instid0(SALU_CYCLE_1) | instskip(SKIP_1) | instid1(SALU_CYCLE_1)
	s_and_not1_b32 s6, s6, exec_lo
	s_and_b32 s8, s8, exec_lo
	s_or_b32 s6, s6, s8
.LBB48_46:                              ;   in Loop: Header=BB48_39 Depth=2
	s_or_b32 exec_lo, exec_lo, s7
	s_delay_alu instid0(SALU_CYCLE_1)
	s_and_b32 s6, s6, exec_lo
                                        ; implicit-def: $vgpr10
.LBB48_47:                              ;   in Loop: Header=BB48_39 Depth=2
	s_and_not1_saveexec_b32 s5, s5
	s_cbranch_execz .LBB48_38
; %bb.48:                               ;   in Loop: Header=BB48_39 Depth=2
	v_lshl_add_u32 v10, v9, 2, v10
	s_and_not1_b32 s6, s6, exec_lo
	ds_add_f32 v10, v3 offset:8192
	ds_add_f32 v10, v4 offset:8196
	s_branch .LBB48_38
.LBB48_49:
	s_or_b32 exec_lo, exec_lo, s1
.LBB48_50:
	v_mbcnt_lo_u32_b32 v1, -1, 0
	v_lshl_add_u32 v4, v8, 2, 0
	v_cmp_eq_u32_e32 vcc_lo, 0x3ff, v0
	v_cmp_lt_u32_e64 s0, 31, v0
	v_cmp_lt_u32_e64 s1, 63, v0
	v_xor_b32_e32 v1, 63, v1
	v_cmp_lt_u32_e64 s2, 0x5f, v0
	v_cmp_lt_u32_e64 s3, 0x7f, v0
	;; [unrolled: 1-line block ×4, first 2 shown]
	v_lshrrev_b64 v[1:2], v1, -1
	v_cmp_lt_u32_e64 s6, 0xdf, v0
	v_cmp_lt_u32_e64 s7, 0xff, v0
	;; [unrolled: 1-line block ×25, first 2 shown]
	v_dual_mov_b32 v8, 0 :: v_dual_mov_b32 v9, 0
	s_mov_b32 s36, 0
	s_waitcnt lgkmcnt(0)
	s_barrier
	buffer_gl0_inv
	s_branch .LBB48_52
.LBB48_51:                              ;   in Loop: Header=BB48_52 Depth=1
	s_or_b32 exec_lo, exec_lo, s31
	s_waitcnt lgkmcnt(0)
	s_barrier
	buffer_gl0_inv
	ds_load_b32 v2, v8 offset:24700
	v_add_co_u32 v6, s31, 0x400, v6
	s_delay_alu instid0(VALU_DEP_1) | instskip(SKIP_3) | instid1(SALU_CYCLE_1)
	s_xor_b32 s31, s31, -1
	v_add_nc_u32_e32 v7, 0x2000, v7
	v_add_nc_u32_e32 v5, 0x1000, v5
	s_and_b32 s31, exec_lo, s31
	s_or_b32 s36, s31, s36
	s_waitcnt lgkmcnt(0)
	v_add_nc_u32_e32 v9, v2, v9
	s_and_not1_b32 exec_lo, exec_lo, s36
	s_cbranch_execz .LBB48_118
.LBB48_52:                              ; =>This Inner Loop Header: Depth=1
	ds_load_b32 v10, v5
	ds_load_2addr_b32 v[2:3], v7 offset1:1
	s_waitcnt lgkmcnt(0)
	s_barrier
	buffer_gl0_inv
	v_cmp_gt_i32_e64 s31, s33, v10
	s_delay_alu instid0(VALU_DEP_1) | instskip(NEXT) | instid1(SALU_CYCLE_1)
	s_bcnt1_i32_b32 s37, s31
	v_dual_mov_b32 v12, s37 :: v_dual_and_b32 v11, s31, v1
	s_delay_alu instid0(VALU_DEP_1)
	v_bcnt_u32_b32 v11, v11, 0
	ds_store_b32 v4, v12 offset:24576
	s_waitcnt lgkmcnt(0)
	s_barrier
	buffer_gl0_inv
	s_and_saveexec_b32 s37, s0
	s_cbranch_execnz .LBB48_85
; %bb.53:                               ;   in Loop: Header=BB48_52 Depth=1
	s_or_b32 exec_lo, exec_lo, s37
	s_and_saveexec_b32 s37, s1
	s_cbranch_execnz .LBB48_86
.LBB48_54:                              ;   in Loop: Header=BB48_52 Depth=1
	s_or_b32 exec_lo, exec_lo, s37
	s_and_saveexec_b32 s37, s2
	s_cbranch_execnz .LBB48_87
.LBB48_55:                              ;   in Loop: Header=BB48_52 Depth=1
	s_or_b32 exec_lo, exec_lo, s37
	s_and_saveexec_b32 s37, s3
	s_cbranch_execnz .LBB48_88
.LBB48_56:                              ;   in Loop: Header=BB48_52 Depth=1
	s_or_b32 exec_lo, exec_lo, s37
	s_and_saveexec_b32 s37, s4
	s_cbranch_execnz .LBB48_89
.LBB48_57:                              ;   in Loop: Header=BB48_52 Depth=1
	s_or_b32 exec_lo, exec_lo, s37
	s_and_saveexec_b32 s37, s5
	s_cbranch_execnz .LBB48_90
.LBB48_58:                              ;   in Loop: Header=BB48_52 Depth=1
	s_or_b32 exec_lo, exec_lo, s37
	s_and_saveexec_b32 s37, s6
	s_cbranch_execnz .LBB48_91
.LBB48_59:                              ;   in Loop: Header=BB48_52 Depth=1
	s_or_b32 exec_lo, exec_lo, s37
	s_and_saveexec_b32 s37, s7
	s_cbranch_execnz .LBB48_92
.LBB48_60:                              ;   in Loop: Header=BB48_52 Depth=1
	s_or_b32 exec_lo, exec_lo, s37
	s_and_saveexec_b32 s37, s8
	s_cbranch_execnz .LBB48_93
.LBB48_61:                              ;   in Loop: Header=BB48_52 Depth=1
	s_or_b32 exec_lo, exec_lo, s37
	s_and_saveexec_b32 s37, s9
	s_cbranch_execnz .LBB48_94
.LBB48_62:                              ;   in Loop: Header=BB48_52 Depth=1
	s_or_b32 exec_lo, exec_lo, s37
	s_and_saveexec_b32 s37, s10
	s_cbranch_execnz .LBB48_95
.LBB48_63:                              ;   in Loop: Header=BB48_52 Depth=1
	s_or_b32 exec_lo, exec_lo, s37
	s_and_saveexec_b32 s37, s11
	s_cbranch_execnz .LBB48_96
.LBB48_64:                              ;   in Loop: Header=BB48_52 Depth=1
	s_or_b32 exec_lo, exec_lo, s37
	s_and_saveexec_b32 s37, s12
	s_cbranch_execnz .LBB48_97
.LBB48_65:                              ;   in Loop: Header=BB48_52 Depth=1
	s_or_b32 exec_lo, exec_lo, s37
	s_and_saveexec_b32 s37, s13
	s_cbranch_execnz .LBB48_98
.LBB48_66:                              ;   in Loop: Header=BB48_52 Depth=1
	s_or_b32 exec_lo, exec_lo, s37
	s_and_saveexec_b32 s37, s14
	s_cbranch_execnz .LBB48_99
.LBB48_67:                              ;   in Loop: Header=BB48_52 Depth=1
	s_or_b32 exec_lo, exec_lo, s37
	s_and_saveexec_b32 s37, s15
	s_cbranch_execnz .LBB48_100
.LBB48_68:                              ;   in Loop: Header=BB48_52 Depth=1
	s_or_b32 exec_lo, exec_lo, s37
	s_and_saveexec_b32 s37, s16
	s_cbranch_execnz .LBB48_101
.LBB48_69:                              ;   in Loop: Header=BB48_52 Depth=1
	s_or_b32 exec_lo, exec_lo, s37
	s_and_saveexec_b32 s37, s17
	s_cbranch_execnz .LBB48_102
.LBB48_70:                              ;   in Loop: Header=BB48_52 Depth=1
	s_or_b32 exec_lo, exec_lo, s37
	s_and_saveexec_b32 s37, s18
	s_cbranch_execnz .LBB48_103
.LBB48_71:                              ;   in Loop: Header=BB48_52 Depth=1
	s_or_b32 exec_lo, exec_lo, s37
	s_and_saveexec_b32 s37, s19
	s_cbranch_execnz .LBB48_104
.LBB48_72:                              ;   in Loop: Header=BB48_52 Depth=1
	s_or_b32 exec_lo, exec_lo, s37
	s_and_saveexec_b32 s37, s20
	s_cbranch_execnz .LBB48_105
.LBB48_73:                              ;   in Loop: Header=BB48_52 Depth=1
	s_or_b32 exec_lo, exec_lo, s37
	s_and_saveexec_b32 s37, s21
	s_cbranch_execnz .LBB48_106
.LBB48_74:                              ;   in Loop: Header=BB48_52 Depth=1
	s_or_b32 exec_lo, exec_lo, s37
	s_and_saveexec_b32 s37, s22
	s_cbranch_execnz .LBB48_107
.LBB48_75:                              ;   in Loop: Header=BB48_52 Depth=1
	s_or_b32 exec_lo, exec_lo, s37
	s_and_saveexec_b32 s37, s23
	s_cbranch_execnz .LBB48_108
.LBB48_76:                              ;   in Loop: Header=BB48_52 Depth=1
	s_or_b32 exec_lo, exec_lo, s37
	s_and_saveexec_b32 s37, s24
	s_cbranch_execnz .LBB48_109
.LBB48_77:                              ;   in Loop: Header=BB48_52 Depth=1
	s_or_b32 exec_lo, exec_lo, s37
	s_and_saveexec_b32 s37, s25
	s_cbranch_execnz .LBB48_110
.LBB48_78:                              ;   in Loop: Header=BB48_52 Depth=1
	s_or_b32 exec_lo, exec_lo, s37
	s_and_saveexec_b32 s37, s26
	s_cbranch_execnz .LBB48_111
.LBB48_79:                              ;   in Loop: Header=BB48_52 Depth=1
	s_or_b32 exec_lo, exec_lo, s37
	s_and_saveexec_b32 s37, s27
	s_cbranch_execnz .LBB48_112
.LBB48_80:                              ;   in Loop: Header=BB48_52 Depth=1
	s_or_b32 exec_lo, exec_lo, s37
	s_and_saveexec_b32 s37, s28
	s_cbranch_execnz .LBB48_113
.LBB48_81:                              ;   in Loop: Header=BB48_52 Depth=1
	s_or_b32 exec_lo, exec_lo, s37
	s_and_saveexec_b32 s37, s29
	s_cbranch_execnz .LBB48_114
.LBB48_82:                              ;   in Loop: Header=BB48_52 Depth=1
	s_or_b32 exec_lo, exec_lo, s37
	s_and_saveexec_b32 s37, s30
	s_cbranch_execnz .LBB48_115
.LBB48_83:                              ;   in Loop: Header=BB48_52 Depth=1
	s_or_b32 exec_lo, exec_lo, s37
	s_and_saveexec_b32 s37, s31
	s_cbranch_execnz .LBB48_116
.LBB48_84:                              ;   in Loop: Header=BB48_52 Depth=1
	s_or_b32 exec_lo, exec_lo, s37
	s_and_saveexec_b32 s31, vcc_lo
	s_cbranch_execz .LBB48_51
	s_branch .LBB48_117
.LBB48_85:                              ;   in Loop: Header=BB48_52 Depth=1
	ds_load_b32 v12, v8 offset:24576
	s_waitcnt lgkmcnt(0)
	v_add_nc_u32_e32 v11, v12, v11
	s_or_b32 exec_lo, exec_lo, s37
	s_and_saveexec_b32 s37, s1
	s_cbranch_execz .LBB48_54
.LBB48_86:                              ;   in Loop: Header=BB48_52 Depth=1
	ds_load_b32 v12, v8 offset:24580
	s_waitcnt lgkmcnt(0)
	v_add_nc_u32_e32 v11, v12, v11
	s_or_b32 exec_lo, exec_lo, s37
	s_and_saveexec_b32 s37, s2
	s_cbranch_execz .LBB48_55
.LBB48_87:                              ;   in Loop: Header=BB48_52 Depth=1
	ds_load_b32 v12, v8 offset:24584
	s_waitcnt lgkmcnt(0)
	v_add_nc_u32_e32 v11, v12, v11
	s_or_b32 exec_lo, exec_lo, s37
	s_and_saveexec_b32 s37, s3
	s_cbranch_execz .LBB48_56
.LBB48_88:                              ;   in Loop: Header=BB48_52 Depth=1
	ds_load_b32 v12, v8 offset:24588
	s_waitcnt lgkmcnt(0)
	v_add_nc_u32_e32 v11, v12, v11
	s_or_b32 exec_lo, exec_lo, s37
	s_and_saveexec_b32 s37, s4
	s_cbranch_execz .LBB48_57
.LBB48_89:                              ;   in Loop: Header=BB48_52 Depth=1
	ds_load_b32 v12, v8 offset:24592
	s_waitcnt lgkmcnt(0)
	v_add_nc_u32_e32 v11, v12, v11
	s_or_b32 exec_lo, exec_lo, s37
	s_and_saveexec_b32 s37, s5
	s_cbranch_execz .LBB48_58
.LBB48_90:                              ;   in Loop: Header=BB48_52 Depth=1
	ds_load_b32 v12, v8 offset:24596
	s_waitcnt lgkmcnt(0)
	v_add_nc_u32_e32 v11, v12, v11
	s_or_b32 exec_lo, exec_lo, s37
	s_and_saveexec_b32 s37, s6
	s_cbranch_execz .LBB48_59
.LBB48_91:                              ;   in Loop: Header=BB48_52 Depth=1
	ds_load_b32 v12, v8 offset:24600
	s_waitcnt lgkmcnt(0)
	v_add_nc_u32_e32 v11, v12, v11
	s_or_b32 exec_lo, exec_lo, s37
	s_and_saveexec_b32 s37, s7
	s_cbranch_execz .LBB48_60
.LBB48_92:                              ;   in Loop: Header=BB48_52 Depth=1
	ds_load_b32 v12, v8 offset:24604
	s_waitcnt lgkmcnt(0)
	v_add_nc_u32_e32 v11, v12, v11
	s_or_b32 exec_lo, exec_lo, s37
	s_and_saveexec_b32 s37, s8
	s_cbranch_execz .LBB48_61
.LBB48_93:                              ;   in Loop: Header=BB48_52 Depth=1
	ds_load_b32 v12, v8 offset:24608
	s_waitcnt lgkmcnt(0)
	v_add_nc_u32_e32 v11, v12, v11
	s_or_b32 exec_lo, exec_lo, s37
	s_and_saveexec_b32 s37, s9
	s_cbranch_execz .LBB48_62
.LBB48_94:                              ;   in Loop: Header=BB48_52 Depth=1
	ds_load_b32 v12, v8 offset:24612
	s_waitcnt lgkmcnt(0)
	v_add_nc_u32_e32 v11, v12, v11
	s_or_b32 exec_lo, exec_lo, s37
	s_and_saveexec_b32 s37, s10
	s_cbranch_execz .LBB48_63
.LBB48_95:                              ;   in Loop: Header=BB48_52 Depth=1
	ds_load_b32 v12, v8 offset:24616
	s_waitcnt lgkmcnt(0)
	v_add_nc_u32_e32 v11, v12, v11
	s_or_b32 exec_lo, exec_lo, s37
	s_and_saveexec_b32 s37, s11
	s_cbranch_execz .LBB48_64
.LBB48_96:                              ;   in Loop: Header=BB48_52 Depth=1
	ds_load_b32 v12, v8 offset:24620
	s_waitcnt lgkmcnt(0)
	v_add_nc_u32_e32 v11, v12, v11
	s_or_b32 exec_lo, exec_lo, s37
	s_and_saveexec_b32 s37, s12
	s_cbranch_execz .LBB48_65
.LBB48_97:                              ;   in Loop: Header=BB48_52 Depth=1
	ds_load_b32 v12, v8 offset:24624
	s_waitcnt lgkmcnt(0)
	v_add_nc_u32_e32 v11, v12, v11
	s_or_b32 exec_lo, exec_lo, s37
	s_and_saveexec_b32 s37, s13
	s_cbranch_execz .LBB48_66
.LBB48_98:                              ;   in Loop: Header=BB48_52 Depth=1
	ds_load_b32 v12, v8 offset:24628
	s_waitcnt lgkmcnt(0)
	v_add_nc_u32_e32 v11, v12, v11
	s_or_b32 exec_lo, exec_lo, s37
	s_and_saveexec_b32 s37, s14
	s_cbranch_execz .LBB48_67
.LBB48_99:                              ;   in Loop: Header=BB48_52 Depth=1
	ds_load_b32 v12, v8 offset:24632
	s_waitcnt lgkmcnt(0)
	v_add_nc_u32_e32 v11, v12, v11
	s_or_b32 exec_lo, exec_lo, s37
	s_and_saveexec_b32 s37, s15
	s_cbranch_execz .LBB48_68
.LBB48_100:                             ;   in Loop: Header=BB48_52 Depth=1
	ds_load_b32 v12, v8 offset:24636
	s_waitcnt lgkmcnt(0)
	v_add_nc_u32_e32 v11, v12, v11
	s_or_b32 exec_lo, exec_lo, s37
	s_and_saveexec_b32 s37, s16
	s_cbranch_execz .LBB48_69
.LBB48_101:                             ;   in Loop: Header=BB48_52 Depth=1
	ds_load_b32 v12, v8 offset:24640
	s_waitcnt lgkmcnt(0)
	v_add_nc_u32_e32 v11, v12, v11
	s_or_b32 exec_lo, exec_lo, s37
	s_and_saveexec_b32 s37, s17
	s_cbranch_execz .LBB48_70
.LBB48_102:                             ;   in Loop: Header=BB48_52 Depth=1
	ds_load_b32 v12, v8 offset:24644
	s_waitcnt lgkmcnt(0)
	v_add_nc_u32_e32 v11, v12, v11
	s_or_b32 exec_lo, exec_lo, s37
	s_and_saveexec_b32 s37, s18
	s_cbranch_execz .LBB48_71
.LBB48_103:                             ;   in Loop: Header=BB48_52 Depth=1
	ds_load_b32 v12, v8 offset:24648
	s_waitcnt lgkmcnt(0)
	v_add_nc_u32_e32 v11, v12, v11
	s_or_b32 exec_lo, exec_lo, s37
	s_and_saveexec_b32 s37, s19
	s_cbranch_execz .LBB48_72
.LBB48_104:                             ;   in Loop: Header=BB48_52 Depth=1
	ds_load_b32 v12, v8 offset:24652
	s_waitcnt lgkmcnt(0)
	v_add_nc_u32_e32 v11, v12, v11
	s_or_b32 exec_lo, exec_lo, s37
	s_and_saveexec_b32 s37, s20
	s_cbranch_execz .LBB48_73
.LBB48_105:                             ;   in Loop: Header=BB48_52 Depth=1
	ds_load_b32 v12, v8 offset:24656
	s_waitcnt lgkmcnt(0)
	v_add_nc_u32_e32 v11, v12, v11
	s_or_b32 exec_lo, exec_lo, s37
	s_and_saveexec_b32 s37, s21
	s_cbranch_execz .LBB48_74
.LBB48_106:                             ;   in Loop: Header=BB48_52 Depth=1
	ds_load_b32 v12, v8 offset:24660
	s_waitcnt lgkmcnt(0)
	v_add_nc_u32_e32 v11, v12, v11
	s_or_b32 exec_lo, exec_lo, s37
	s_and_saveexec_b32 s37, s22
	s_cbranch_execz .LBB48_75
.LBB48_107:                             ;   in Loop: Header=BB48_52 Depth=1
	ds_load_b32 v12, v8 offset:24664
	s_waitcnt lgkmcnt(0)
	v_add_nc_u32_e32 v11, v12, v11
	s_or_b32 exec_lo, exec_lo, s37
	s_and_saveexec_b32 s37, s23
	s_cbranch_execz .LBB48_76
.LBB48_108:                             ;   in Loop: Header=BB48_52 Depth=1
	ds_load_b32 v12, v8 offset:24668
	s_waitcnt lgkmcnt(0)
	v_add_nc_u32_e32 v11, v12, v11
	s_or_b32 exec_lo, exec_lo, s37
	s_and_saveexec_b32 s37, s24
	s_cbranch_execz .LBB48_77
.LBB48_109:                             ;   in Loop: Header=BB48_52 Depth=1
	ds_load_b32 v12, v8 offset:24672
	s_waitcnt lgkmcnt(0)
	v_add_nc_u32_e32 v11, v12, v11
	s_or_b32 exec_lo, exec_lo, s37
	s_and_saveexec_b32 s37, s25
	s_cbranch_execz .LBB48_78
.LBB48_110:                             ;   in Loop: Header=BB48_52 Depth=1
	ds_load_b32 v12, v8 offset:24676
	s_waitcnt lgkmcnt(0)
	v_add_nc_u32_e32 v11, v12, v11
	s_or_b32 exec_lo, exec_lo, s37
	s_and_saveexec_b32 s37, s26
	s_cbranch_execz .LBB48_79
.LBB48_111:                             ;   in Loop: Header=BB48_52 Depth=1
	ds_load_b32 v12, v8 offset:24680
	s_waitcnt lgkmcnt(0)
	v_add_nc_u32_e32 v11, v12, v11
	s_or_b32 exec_lo, exec_lo, s37
	s_and_saveexec_b32 s37, s27
	s_cbranch_execz .LBB48_80
.LBB48_112:                             ;   in Loop: Header=BB48_52 Depth=1
	ds_load_b32 v12, v8 offset:24684
	s_waitcnt lgkmcnt(0)
	v_add_nc_u32_e32 v11, v12, v11
	s_or_b32 exec_lo, exec_lo, s37
	s_and_saveexec_b32 s37, s28
	s_cbranch_execz .LBB48_81
.LBB48_113:                             ;   in Loop: Header=BB48_52 Depth=1
	ds_load_b32 v12, v8 offset:24688
	s_waitcnt lgkmcnt(0)
	v_add_nc_u32_e32 v11, v12, v11
	s_or_b32 exec_lo, exec_lo, s37
	s_and_saveexec_b32 s37, s29
	s_cbranch_execz .LBB48_82
.LBB48_114:                             ;   in Loop: Header=BB48_52 Depth=1
	ds_load_b32 v12, v8 offset:24692
	s_waitcnt lgkmcnt(0)
	v_add_nc_u32_e32 v11, v12, v11
	s_or_b32 exec_lo, exec_lo, s37
	s_and_saveexec_b32 s37, s30
	s_cbranch_execz .LBB48_83
.LBB48_115:                             ;   in Loop: Header=BB48_52 Depth=1
	ds_load_b32 v12, v8 offset:24696
	s_waitcnt lgkmcnt(0)
	v_add_nc_u32_e32 v11, v12, v11
	s_or_b32 exec_lo, exec_lo, s37
	s_and_saveexec_b32 s37, s31
	s_cbranch_execz .LBB48_84
.LBB48_116:                             ;   in Loop: Header=BB48_52 Depth=1
	s_delay_alu instid0(VALU_DEP_1) | instskip(NEXT) | instid1(VALU_DEP_1)
	v_add3_u32 v12, v9, -1, v11
	v_lshlrev_b32_e32 v13, 3, v12
	v_lshl_add_u32 v12, v12, 2, 0
	s_delay_alu instid0(VALU_DEP_2)
	v_add3_u32 v13, 0, v13, 0x2000
	ds_store_b32 v12, v10
	ds_store_2addr_b32 v13, v2, v3 offset1:1
	s_or_b32 exec_lo, exec_lo, s37
	s_and_saveexec_b32 s31, vcc_lo
	s_cbranch_execz .LBB48_51
.LBB48_117:                             ;   in Loop: Header=BB48_52 Depth=1
	ds_store_b32 v8, v11 offset:24700
	s_branch .LBB48_51
.LBB48_118:
	s_or_b32 exec_lo, exec_lo, s36
	s_ashr_i32 s43, s42, 31
	s_mov_b32 s3, exec_lo
	s_lshl_b64 s[0:1], s[42:43], 2
	s_delay_alu instid0(SALU_CYCLE_1) | instskip(SKIP_4) | instid1(SALU_CYCLE_1)
	s_add_u32 s0, s40, s0
	s_addc_u32 s1, s41, s1
	s_load_b64 s[0:1], s[0:1], 0x0
	s_waitcnt lgkmcnt(0)
	s_sub_i32 s2, s1, s0
	v_cmpx_gt_i32_e64 s2, v0
	s_cbranch_execz .LBB48_128
; %bb.119:
	s_sub_i32 s3, s0, s38
	s_sub_i32 s0, s0, s1
	s_and_b32 s1, s2, 7
	s_cmp_lt_u32 s0, -7
	s_mov_b32 s7, 0
	s_cselect_b32 s4, -1, 0
	s_and_b32 s5, s2, -8
	s_cmp_lg_u32 s1, 0
	s_cselect_b32 s6, -1, 0
	s_branch .LBB48_121
.LBB48_120:                             ;   in Loop: Header=BB48_121 Depth=1
	s_waitcnt lgkmcnt(1)
	s_delay_alu instid0(VALU_DEP_1) | instskip(SKIP_1) | instid1(VALU_DEP_2)
	v_ashrrev_i32_e32 v4, 31, v3
	v_add_nc_u32_e32 v0, 0x400, v0
	v_lshlrev_b64 v[3:4], 3, v[3:4]
	s_delay_alu instid0(VALU_DEP_2) | instskip(SKIP_1) | instid1(VALU_DEP_2)
	v_cmp_le_i32_e32 vcc_lo, s2, v0
	s_or_b32 s7, vcc_lo, s7
	v_add_co_u32 v3, s0, s34, v3
	s_delay_alu instid0(VALU_DEP_1)
	v_add_co_ci_u32_e64 v4, s0, s35, v4, s0
	s_waitcnt lgkmcnt(0)
	global_store_b64 v[3:4], v[1:2], off
	s_and_not1_b32 exec_lo, exec_lo, s7
	s_cbranch_execz .LBB48_128
.LBB48_121:                             ; =>This Loop Header: Depth=1
                                        ;     Child Loop BB48_123 Depth 2
                                        ;     Child Loop BB48_127 Depth 2
	v_lshlrev_b32_e32 v1, 2, v0
	s_and_not1_b32 vcc_lo, exec_lo, s4
	s_mov_b32 s0, 0
	s_delay_alu instid0(VALU_DEP_1) | instskip(NEXT) | instid1(VALU_DEP_1)
	v_dual_mov_b32 v3, s3 :: v_dual_add_nc_u32 v2, 0, v1
	v_add3_u32 v1, v2, v1, 0x2000
	ds_load_b32 v4, v2
	ds_load_2addr_b32 v[1:2], v1 offset1:1
	s_cbranch_vccnz .LBB48_125
; %bb.122:                              ;   in Loop: Header=BB48_121 Depth=1
	v_mov_b32_e32 v3, s3
	s_mov_b32 s8, 0
	s_set_inst_prefetch_distance 0x1
	.p2align	6
.LBB48_123:                             ;   Parent Loop BB48_121 Depth=1
                                        ; =>  This Inner Loop Header: Depth=2
	v_mov_b32_e32 v11, s8
	s_add_i32 s0, s0, 8
	s_add_i32 s8, s8, 32
	s_cmp_eq_u32 s5, s0
	ds_load_2addr_b32 v[5:6], v11 offset1:1
	ds_load_2addr_b32 v[7:8], v11 offset0:2 offset1:3
	ds_load_2addr_b32 v[9:10], v11 offset0:4 offset1:5
	;; [unrolled: 1-line block ×3, first 2 shown]
	s_waitcnt lgkmcnt(3)
	v_cmp_gt_i32_e32 vcc_lo, v4, v5
	v_cndmask_b32_e64 v5, 0, 1, vcc_lo
	s_waitcnt lgkmcnt(2)
	v_cmp_gt_i32_e32 vcc_lo, v4, v7
	v_cndmask_b32_e64 v7, 0, 1, vcc_lo
	v_cmp_gt_i32_e32 vcc_lo, v4, v6
	v_add_co_ci_u32_e32 v3, vcc_lo, v3, v5, vcc_lo
	s_waitcnt lgkmcnt(1)
	v_cmp_gt_i32_e32 vcc_lo, v4, v9
	v_cndmask_b32_e64 v5, 0, 1, vcc_lo
	v_cmp_gt_i32_e32 vcc_lo, v4, v8
	v_add_co_ci_u32_e32 v3, vcc_lo, v3, v7, vcc_lo
	;; [unrolled: 5-line block ×3, first 2 shown]
	v_cmp_gt_i32_e32 vcc_lo, v4, v12
	s_delay_alu instid0(VALU_DEP_2)
	v_add_co_ci_u32_e32 v3, vcc_lo, v3, v6, vcc_lo
	s_cbranch_scc0 .LBB48_123
; %bb.124:                              ;   in Loop: Header=BB48_121 Depth=1
	s_set_inst_prefetch_distance 0x2
	s_mov_b32 s0, s5
.LBB48_125:                             ;   in Loop: Header=BB48_121 Depth=1
	s_and_not1_b32 vcc_lo, exec_lo, s6
	s_cbranch_vccnz .LBB48_120
; %bb.126:                              ;   in Loop: Header=BB48_121 Depth=1
	s_lshl_b32 s0, s0, 2
	s_mov_b32 s8, s1
	s_add_i32 s0, s0, 0
.LBB48_127:                             ;   Parent Loop BB48_121 Depth=1
                                        ; =>  This Inner Loop Header: Depth=2
	s_delay_alu instid0(SALU_CYCLE_1)
	v_mov_b32_e32 v5, s0
	s_add_i32 s8, s8, -1
	s_add_i32 s0, s0, 4
	s_cmp_lg_u32 s8, 0
	ds_load_b32 v5, v5
	s_waitcnt lgkmcnt(0)
	v_cmp_gt_i32_e32 vcc_lo, v4, v5
	v_add_co_ci_u32_e32 v3, vcc_lo, 0, v3, vcc_lo
	s_cbranch_scc1 .LBB48_127
	s_branch .LBB48_120
.LBB48_128:
	s_nop 0
	s_sendmsg sendmsg(MSG_DEALLOC_VGPRS)
	s_endpgm
	.section	.rodata,"a",@progbits
	.p2align	6, 0x0
	.amdhsa_kernel _ZN9rocsparseL41csrgemm_numeric_fill_block_per_row_kernelILj1024ELj32ELj2048ELj137ELj32Eii21rocsparse_complex_numIfEEEvT5_PKS3_S5_NS_24const_host_device_scalarIT6_EEPKT4_S5_PKS7_SB_S5_SD_S8_SB_S5_SD_SB_S5_PS7_21rocsparse_index_base_SF_SF_SF_bbb
		.amdhsa_group_segment_fixed_size 0
		.amdhsa_private_segment_fixed_size 0
		.amdhsa_kernarg_size 156
		.amdhsa_user_sgpr_count 15
		.amdhsa_user_sgpr_dispatch_ptr 0
		.amdhsa_user_sgpr_queue_ptr 0
		.amdhsa_user_sgpr_kernarg_segment_ptr 1
		.amdhsa_user_sgpr_dispatch_id 0
		.amdhsa_user_sgpr_private_segment_size 0
		.amdhsa_wavefront_size32 1
		.amdhsa_uses_dynamic_stack 0
		.amdhsa_enable_private_segment 0
		.amdhsa_system_sgpr_workgroup_id_x 1
		.amdhsa_system_sgpr_workgroup_id_y 0
		.amdhsa_system_sgpr_workgroup_id_z 0
		.amdhsa_system_sgpr_workgroup_info 0
		.amdhsa_system_vgpr_workitem_id 0
		.amdhsa_next_free_vgpr 17
		.amdhsa_next_free_sgpr 44
		.amdhsa_reserve_vcc 1
		.amdhsa_float_round_mode_32 0
		.amdhsa_float_round_mode_16_64 0
		.amdhsa_float_denorm_mode_32 3
		.amdhsa_float_denorm_mode_16_64 3
		.amdhsa_dx10_clamp 1
		.amdhsa_ieee_mode 1
		.amdhsa_fp16_overflow 0
		.amdhsa_workgroup_processor_mode 1
		.amdhsa_memory_ordered 1
		.amdhsa_forward_progress 0
		.amdhsa_shared_vgpr_count 0
		.amdhsa_exception_fp_ieee_invalid_op 0
		.amdhsa_exception_fp_denorm_src 0
		.amdhsa_exception_fp_ieee_div_zero 0
		.amdhsa_exception_fp_ieee_overflow 0
		.amdhsa_exception_fp_ieee_underflow 0
		.amdhsa_exception_fp_ieee_inexact 0
		.amdhsa_exception_int_div_zero 0
	.end_amdhsa_kernel
	.section	.text._ZN9rocsparseL41csrgemm_numeric_fill_block_per_row_kernelILj1024ELj32ELj2048ELj137ELj32Eii21rocsparse_complex_numIfEEEvT5_PKS3_S5_NS_24const_host_device_scalarIT6_EEPKT4_S5_PKS7_SB_S5_SD_S8_SB_S5_SD_SB_S5_PS7_21rocsparse_index_base_SF_SF_SF_bbb,"axG",@progbits,_ZN9rocsparseL41csrgemm_numeric_fill_block_per_row_kernelILj1024ELj32ELj2048ELj137ELj32Eii21rocsparse_complex_numIfEEEvT5_PKS3_S5_NS_24const_host_device_scalarIT6_EEPKT4_S5_PKS7_SB_S5_SD_S8_SB_S5_SD_SB_S5_PS7_21rocsparse_index_base_SF_SF_SF_bbb,comdat
.Lfunc_end48:
	.size	_ZN9rocsparseL41csrgemm_numeric_fill_block_per_row_kernelILj1024ELj32ELj2048ELj137ELj32Eii21rocsparse_complex_numIfEEEvT5_PKS3_S5_NS_24const_host_device_scalarIT6_EEPKT4_S5_PKS7_SB_S5_SD_S8_SB_S5_SD_SB_S5_PS7_21rocsparse_index_base_SF_SF_SF_bbb, .Lfunc_end48-_ZN9rocsparseL41csrgemm_numeric_fill_block_per_row_kernelILj1024ELj32ELj2048ELj137ELj32Eii21rocsparse_complex_numIfEEEvT5_PKS3_S5_NS_24const_host_device_scalarIT6_EEPKT4_S5_PKS7_SB_S5_SD_S8_SB_S5_SD_SB_S5_PS7_21rocsparse_index_base_SF_SF_SF_bbb
                                        ; -- End function
	.section	.AMDGPU.csdata,"",@progbits
; Kernel info:
; codeLenInByte = 4152
; NumSgprs: 46
; NumVgprs: 17
; ScratchSize: 0
; MemoryBound: 0
; FloatMode: 240
; IeeeMode: 1
; LDSByteSize: 0 bytes/workgroup (compile time only)
; SGPRBlocks: 5
; VGPRBlocks: 2
; NumSGPRsForWavesPerEU: 46
; NumVGPRsForWavesPerEU: 17
; Occupancy: 16
; WaveLimiterHint : 1
; COMPUTE_PGM_RSRC2:SCRATCH_EN: 0
; COMPUTE_PGM_RSRC2:USER_SGPR: 15
; COMPUTE_PGM_RSRC2:TRAP_HANDLER: 0
; COMPUTE_PGM_RSRC2:TGID_X_EN: 1
; COMPUTE_PGM_RSRC2:TGID_Y_EN: 0
; COMPUTE_PGM_RSRC2:TGID_Z_EN: 0
; COMPUTE_PGM_RSRC2:TIDIG_COMP_CNT: 0
	.section	.text._ZN9rocsparseL41csrgemm_numeric_fill_block_per_row_kernelILj1024ELj32ELj2048ELj137ELj64Eii21rocsparse_complex_numIfEEEvT5_PKS3_S5_NS_24const_host_device_scalarIT6_EEPKT4_S5_PKS7_SB_S5_SD_S8_SB_S5_SD_SB_S5_PS7_21rocsparse_index_base_SF_SF_SF_bbb,"axG",@progbits,_ZN9rocsparseL41csrgemm_numeric_fill_block_per_row_kernelILj1024ELj32ELj2048ELj137ELj64Eii21rocsparse_complex_numIfEEEvT5_PKS3_S5_NS_24const_host_device_scalarIT6_EEPKT4_S5_PKS7_SB_S5_SD_S8_SB_S5_SD_SB_S5_PS7_21rocsparse_index_base_SF_SF_SF_bbb,comdat
	.globl	_ZN9rocsparseL41csrgemm_numeric_fill_block_per_row_kernelILj1024ELj32ELj2048ELj137ELj64Eii21rocsparse_complex_numIfEEEvT5_PKS3_S5_NS_24const_host_device_scalarIT6_EEPKT4_S5_PKS7_SB_S5_SD_S8_SB_S5_SD_SB_S5_PS7_21rocsparse_index_base_SF_SF_SF_bbb ; -- Begin function _ZN9rocsparseL41csrgemm_numeric_fill_block_per_row_kernelILj1024ELj32ELj2048ELj137ELj64Eii21rocsparse_complex_numIfEEEvT5_PKS3_S5_NS_24const_host_device_scalarIT6_EEPKT4_S5_PKS7_SB_S5_SD_S8_SB_S5_SD_SB_S5_PS7_21rocsparse_index_base_SF_SF_SF_bbb
	.p2align	8
	.type	_ZN9rocsparseL41csrgemm_numeric_fill_block_per_row_kernelILj1024ELj32ELj2048ELj137ELj64Eii21rocsparse_complex_numIfEEEvT5_PKS3_S5_NS_24const_host_device_scalarIT6_EEPKT4_S5_PKS7_SB_S5_SD_S8_SB_S5_SD_SB_S5_PS7_21rocsparse_index_base_SF_SF_SF_bbb,@function
_ZN9rocsparseL41csrgemm_numeric_fill_block_per_row_kernelILj1024ELj32ELj2048ELj137ELj64Eii21rocsparse_complex_numIfEEEvT5_PKS3_S5_NS_24const_host_device_scalarIT6_EEPKT4_S5_PKS7_SB_S5_SD_S8_SB_S5_SD_SB_S5_PS7_21rocsparse_index_base_SF_SF_SF_bbb: ; @_ZN9rocsparseL41csrgemm_numeric_fill_block_per_row_kernelILj1024ELj32ELj2048ELj137ELj64Eii21rocsparse_complex_numIfEEEvT5_PKS3_S5_NS_24const_host_device_scalarIT6_EEPKT4_S5_PKS7_SB_S5_SD_S8_SB_S5_SD_SB_S5_PS7_21rocsparse_index_base_SF_SF_SF_bbb
; %bb.0:
	s_clause 0x7
	s_load_b32 s12, s[0:1], 0x98
	s_load_b64 s[40:41], s[0:1], 0x70
	s_load_b128 s[28:31], s[0:1], 0x60
	s_load_b256 s[4:11], s[0:1], 0x40
	s_load_b128 s[36:39], s[0:1], 0x8
	s_load_b256 s[16:23], s[0:1], 0x20
	s_load_b64 s[34:35], s[0:1], 0x80
	s_load_b128 s[24:27], s[0:1], 0x88
	s_mov_b32 s3, 0
	s_mov_b32 s13, 0
	s_waitcnt lgkmcnt(0)
	s_bitcmp1_b32 s12, 0
	s_cselect_b32 s42, -1, 0
	s_bitcmp1_b32 s12, 16
	s_cselect_b32 s2, -1, 0
	s_delay_alu instid0(SALU_CYCLE_1) | instskip(SKIP_2) | instid1(VALU_DEP_1)
	s_xor_b32 s14, s2, -1
	s_bitcmp0_b32 s12, 0
	v_cndmask_b32_e64 v1, 0, 1, s14
	v_cmp_ne_u32_e32 vcc_lo, 1, v1
	s_cbranch_scc1 .LBB49_5
; %bb.1:
	s_load_b64 s[2:3], s[0:1], 0x18
	s_and_b32 vcc_lo, exec_lo, vcc_lo
	s_waitcnt lgkmcnt(0)
	s_mov_b32 s13, s2
	s_cbranch_vccnz .LBB49_3
; %bb.2:
	s_load_b32 s13, s[2:3], 0x0
.LBB49_3:
	s_and_not1_b32 vcc_lo, exec_lo, s14
	s_cbranch_vccnz .LBB49_5
; %bb.4:
	s_load_b32 s3, s[2:3], 0x4
.LBB49_5:
	s_bitcmp1_b32 s12, 8
	s_cselect_b32 s14, -1, 0
	s_bfe_u32 s2, s12, 0x10008
	s_mov_b32 s12, 0
	s_cmp_eq_u32 s2, 0
	s_mov_b32 s2, 0
	s_cbranch_scc1 .LBB49_11
; %bb.6:
	v_cmp_ne_u32_e32 vcc_lo, 1, v1
	s_mov_b32 s2, s8
	s_cbranch_vccnz .LBB49_8
; %bb.7:
	s_load_b32 s2, s[8:9], 0x0
.LBB49_8:
	v_cmp_ne_u32_e32 vcc_lo, 1, v1
	s_cbranch_vccnz .LBB49_10
; %bb.9:
	s_load_b32 s9, s[8:9], 0x4
.LBB49_10:
	s_waitcnt lgkmcnt(0)
	s_mov_b32 s12, s9
.LBB49_11:
	s_load_b32 s33, s[0:1], 0x0
	v_lshl_add_u32 v5, v0, 2, 0
	v_lshlrev_b32_e32 v1, 3, v0
	v_or_b32_e32 v6, 0xfffffc00, v0
	s_mov_b32 s0, 0
	s_delay_alu instid0(VALU_DEP_3) | instskip(NEXT) | instid1(VALU_DEP_3)
	v_mov_b32_e32 v2, v5
	v_add3_u32 v7, v1, 0, 0x2000
	v_mov_b32_e32 v1, 0
	s_delay_alu instid0(VALU_DEP_2)
	v_dual_mov_b32 v3, v6 :: v_dual_mov_b32 v8, v7
	s_waitcnt lgkmcnt(0)
	v_mov_b32_e32 v4, s33
.LBB49_12:                              ; =>This Inner Loop Header: Depth=1
	s_delay_alu instid0(VALU_DEP_2) | instskip(NEXT) | instid1(VALU_DEP_1)
	v_add_co_u32 v3, s1, 0x400, v3
	s_xor_b32 s1, s1, -1
	ds_store_b32 v2, v4
	ds_store_2addr_b32 v8, v1, v1 offset1:1
	v_add_nc_u32_e32 v8, 0x2000, v8
	v_add_nc_u32_e32 v2, 0x1000, v2
	s_and_b32 s1, exec_lo, s1
	s_delay_alu instid0(SALU_CYCLE_1) | instskip(NEXT) | instid1(SALU_CYCLE_1)
	s_or_b32 s0, s1, s0
	s_and_not1_b32 exec_lo, exec_lo, s0
	s_cbranch_execnz .LBB49_12
; %bb.13:
	s_or_b32 exec_lo, exec_lo, s0
	s_waitcnt lgkmcnt(0)
	s_barrier
	buffer_gl0_inv
	s_load_b32 s0, s[36:37], 0x0
	s_mov_b32 s1, 0
	s_waitcnt lgkmcnt(0)
	s_add_i32 s0, s0, s15
	s_delay_alu instid0(SALU_CYCLE_1) | instskip(NEXT) | instid1(SALU_CYCLE_1)
	s_lshl_b64 s[0:1], s[0:1], 2
	s_add_u32 s0, s38, s0
	s_addc_u32 s1, s39, s1
	s_and_b32 vcc_lo, exec_lo, s42
	s_load_b32 s36, s[0:1], 0x0
	s_cbranch_vccz .LBB49_33
; %bb.14:
	s_waitcnt lgkmcnt(0)
	s_ashr_i32 s37, s36, 31
	v_lshrrev_b32_e32 v1, 5, v0
	s_lshl_b64 s[0:1], s[36:37], 2
	s_delay_alu instid0(SALU_CYCLE_1) | instskip(SKIP_1) | instid1(VALU_DEP_1)
	s_add_u32 s0, s16, s0
	s_addc_u32 s1, s17, s1
	v_subrev_nc_u32_e32 v1, s24, v1
	s_load_b64 s[0:1], s[0:1], 0x0
	s_waitcnt lgkmcnt(0)
	s_delay_alu instid0(VALU_DEP_1) | instskip(SKIP_2) | instid1(VALU_DEP_1)
	v_add_nc_u32_e32 v1, s0, v1
	s_sub_i32 s0, s1, s24
	s_mov_b32 s1, exec_lo
	v_cmpx_gt_i32_e64 s0, v1
	s_cbranch_execz .LBB49_32
; %bb.15:
	v_and_b32_e32 v2, 31, v0
	s_mov_b32 s8, 0
	s_delay_alu instid0(VALU_DEP_1)
	v_subrev_nc_u32_e32 v8, s25, v2
	s_branch .LBB49_17
.LBB49_16:                              ;   in Loop: Header=BB49_17 Depth=1
	s_or_b32 exec_lo, exec_lo, s9
	v_add_nc_u32_e32 v1, 32, v1
	s_delay_alu instid0(VALU_DEP_1) | instskip(SKIP_1) | instid1(SALU_CYCLE_1)
	v_cmp_le_i32_e32 vcc_lo, s0, v1
	s_or_b32 s8, vcc_lo, s8
	s_and_not1_b32 exec_lo, exec_lo, s8
	s_cbranch_execz .LBB49_32
.LBB49_17:                              ; =>This Loop Header: Depth=1
                                        ;     Child Loop BB49_20 Depth 2
                                        ;       Child Loop BB49_22 Depth 3
	v_ashrrev_i32_e32 v2, 31, v1
	s_mov_b32 s9, exec_lo
	s_delay_alu instid0(VALU_DEP_1) | instskip(NEXT) | instid1(VALU_DEP_1)
	v_lshlrev_b64 v[3:4], 2, v[1:2]
	v_add_co_u32 v3, vcc_lo, s18, v3
	s_delay_alu instid0(VALU_DEP_2) | instskip(SKIP_3) | instid1(VALU_DEP_1)
	v_add_co_ci_u32_e32 v4, vcc_lo, s19, v4, vcc_lo
	global_load_b32 v3, v[3:4], off
	s_waitcnt vmcnt(0)
	v_subrev_nc_u32_e32 v3, s24, v3
	v_ashrrev_i32_e32 v4, 31, v3
	s_delay_alu instid0(VALU_DEP_1) | instskip(NEXT) | instid1(VALU_DEP_1)
	v_lshlrev_b64 v[3:4], 2, v[3:4]
	v_add_co_u32 v3, vcc_lo, s22, v3
	s_delay_alu instid0(VALU_DEP_2) | instskip(SKIP_4) | instid1(VALU_DEP_1)
	v_add_co_ci_u32_e32 v4, vcc_lo, s23, v4, vcc_lo
	global_load_b64 v[3:4], v[3:4], off
	s_waitcnt vmcnt(0)
	v_subrev_nc_u32_e32 v9, s25, v4
	v_add_nc_u32_e32 v3, v3, v8
	v_cmpx_lt_i32_e64 v3, v9
	s_cbranch_execz .LBB49_16
; %bb.18:                               ;   in Loop: Header=BB49_17 Depth=1
	v_lshlrev_b64 v[10:11], 3, v[1:2]
	s_mov_b32 s15, 0
	s_delay_alu instid0(VALU_DEP_1) | instskip(NEXT) | instid1(VALU_DEP_2)
	v_add_co_u32 v10, vcc_lo, s20, v10
	v_add_co_ci_u32_e32 v11, vcc_lo, s21, v11, vcc_lo
	global_load_b64 v[11:12], v[10:11], off
	s_waitcnt vmcnt(0)
	v_mul_f32_e64 v2, v12, -s3
	v_mul_f32_e32 v10, s13, v12
	s_delay_alu instid0(VALU_DEP_2) | instskip(NEXT) | instid1(VALU_DEP_2)
	v_fmac_f32_e32 v2, s13, v11
	v_fmac_f32_e32 v10, s3, v11
	s_branch .LBB49_20
.LBB49_19:                              ;   in Loop: Header=BB49_20 Depth=2
	s_or_b32 exec_lo, exec_lo, s16
	v_add_nc_u32_e32 v3, 32, v3
	s_delay_alu instid0(VALU_DEP_1) | instskip(SKIP_1) | instid1(SALU_CYCLE_1)
	v_cmp_ge_i32_e32 vcc_lo, v3, v9
	s_or_b32 s15, vcc_lo, s15
	s_and_not1_b32 exec_lo, exec_lo, s15
	s_cbranch_execz .LBB49_16
.LBB49_20:                              ;   Parent Loop BB49_17 Depth=1
                                        ; =>  This Loop Header: Depth=2
                                        ;       Child Loop BB49_22 Depth 3
	v_ashrrev_i32_e32 v4, 31, v3
	s_mov_b32 s16, 0
	s_delay_alu instid0(VALU_DEP_1) | instskip(SKIP_1) | instid1(VALU_DEP_2)
	v_lshlrev_b64 v[11:12], 2, v[3:4]
	v_lshlrev_b64 v[13:14], 3, v[3:4]
	v_add_co_u32 v11, vcc_lo, s4, v11
	s_delay_alu instid0(VALU_DEP_3)
	v_add_co_ci_u32_e32 v12, vcc_lo, s5, v12, vcc_lo
	global_load_b32 v4, v[11:12], off
	v_add_co_u32 v11, vcc_lo, s6, v13
	v_add_co_ci_u32_e32 v12, vcc_lo, s7, v14, vcc_lo
	global_load_b64 v[13:14], v[11:12], off
	s_waitcnt vmcnt(1)
	v_subrev_nc_u32_e32 v4, s25, v4
	s_delay_alu instid0(VALU_DEP_1) | instskip(SKIP_3) | instid1(VALU_DEP_2)
	v_mul_lo_u32 v15, 0x89, v4
	s_waitcnt vmcnt(0)
	v_mul_f32_e64 v11, v14, -v10
	v_mul_f32_e32 v12, v2, v14
	v_fmac_f32_e32 v11, v2, v13
	s_delay_alu instid0(VALU_DEP_2)
	v_dual_fmac_f32 v12, v10, v13 :: v_dual_and_b32 v13, 0x7ff, v15
	s_branch .LBB49_22
.LBB49_21:                              ;   in Loop: Header=BB49_22 Depth=3
	s_or_b32 exec_lo, exec_lo, s17
	s_xor_b32 s17, s37, -1
	s_delay_alu instid0(SALU_CYCLE_1) | instskip(NEXT) | instid1(SALU_CYCLE_1)
	s_and_b32 s17, exec_lo, s17
	s_or_b32 s16, s17, s16
	s_delay_alu instid0(SALU_CYCLE_1)
	s_and_not1_b32 exec_lo, exec_lo, s16
	s_cbranch_execz .LBB49_19
.LBB49_22:                              ;   Parent Loop BB49_17 Depth=1
                                        ;     Parent Loop BB49_20 Depth=2
                                        ; =>    This Inner Loop Header: Depth=3
	s_delay_alu instid0(VALU_DEP_1)
	v_lshl_add_u32 v14, v13, 2, 0
	s_mov_b32 s17, exec_lo
                                        ; implicit-def: $sgpr37
	ds_load_b32 v15, v14
	s_waitcnt lgkmcnt(0)
	v_cmpx_ne_u32_e64 v15, v4
	s_xor_b32 s17, exec_lo, s17
	s_cbranch_execz .LBB49_30
; %bb.23:                               ;   in Loop: Header=BB49_22 Depth=3
	s_mov_b32 s38, exec_lo
                                        ; implicit-def: $sgpr37
	v_cmpx_ne_u32_e64 s33, v15
	s_xor_b32 s38, exec_lo, s38
; %bb.24:                               ;   in Loop: Header=BB49_22 Depth=3
	v_add_nc_u32_e32 v13, 1, v13
	s_mov_b32 s37, -1
                                        ; implicit-def: $vgpr14
	s_delay_alu instid0(VALU_DEP_1)
	v_and_b32_e32 v13, 0x7ff, v13
; %bb.25:                               ;   in Loop: Header=BB49_22 Depth=3
	s_and_not1_saveexec_b32 s38, s38
	s_cbranch_execz .LBB49_29
; %bb.26:                               ;   in Loop: Header=BB49_22 Depth=3
	v_mov_b32_e32 v15, s33
	s_mov_b32 s39, -1
	s_mov_b32 s42, exec_lo
	ds_cmpstore_rtn_b32 v15, v14, v4, v15
	s_waitcnt lgkmcnt(0)
	v_cmpx_eq_u32_e64 s33, v15
	s_cbranch_execz .LBB49_28
; %bb.27:                               ;   in Loop: Header=BB49_22 Depth=3
	v_lshl_add_u32 v14, v13, 2, v14
	s_xor_b32 s39, exec_lo, -1
	ds_add_f32 v14, v11 offset:8192
	ds_add_f32 v14, v12 offset:8196
.LBB49_28:                              ;   in Loop: Header=BB49_22 Depth=3
	s_or_b32 exec_lo, exec_lo, s42
	s_delay_alu instid0(SALU_CYCLE_1) | instskip(SKIP_1) | instid1(SALU_CYCLE_1)
	s_and_not1_b32 s37, s37, exec_lo
	s_and_b32 s39, s39, exec_lo
	s_or_b32 s37, s37, s39
.LBB49_29:                              ;   in Loop: Header=BB49_22 Depth=3
	s_or_b32 exec_lo, exec_lo, s38
	s_delay_alu instid0(SALU_CYCLE_1)
	s_and_b32 s37, s37, exec_lo
                                        ; implicit-def: $vgpr14
.LBB49_30:                              ;   in Loop: Header=BB49_22 Depth=3
	s_and_not1_saveexec_b32 s17, s17
	s_cbranch_execz .LBB49_21
; %bb.31:                               ;   in Loop: Header=BB49_22 Depth=3
	v_lshl_add_u32 v14, v13, 2, v14
	s_and_not1_b32 s37, s37, exec_lo
	ds_add_f32 v14, v11 offset:8192
	ds_add_f32 v14, v12 offset:8196
	s_branch .LBB49_21
.LBB49_32:
	s_or_b32 exec_lo, exec_lo, s1
.LBB49_33:
	s_delay_alu instid0(SALU_CYCLE_1)
	s_and_not1_b32 vcc_lo, exec_lo, s14
	s_cbranch_vccnz .LBB49_50
; %bb.34:
	s_waitcnt lgkmcnt(0)
	s_ashr_i32 s37, s36, 31
	v_subrev_nc_u32_e32 v1, s27, v0
	s_lshl_b64 s[0:1], s[36:37], 2
	s_delay_alu instid0(SALU_CYCLE_1)
	s_add_u32 s0, s10, s0
	s_addc_u32 s1, s11, s1
	s_load_b64 s[0:1], s[0:1], 0x0
	s_waitcnt lgkmcnt(0)
	v_add_nc_u32_e32 v1, s0, v1
	s_sub_i32 s0, s1, s27
	s_mov_b32 s1, exec_lo
	s_delay_alu instid0(VALU_DEP_1)
	v_cmpx_gt_i32_e64 s0, v1
	s_cbranch_execz .LBB49_49
; %bb.35:
	s_mov_b32 s3, 0
	s_branch .LBB49_37
.LBB49_36:                              ;   in Loop: Header=BB49_37 Depth=1
	s_or_b32 exec_lo, exec_lo, s4
	v_add_nc_u32_e32 v1, 0x400, v1
	s_delay_alu instid0(VALU_DEP_1) | instskip(SKIP_1) | instid1(SALU_CYCLE_1)
	v_cmp_le_i32_e32 vcc_lo, s0, v1
	s_or_b32 s3, vcc_lo, s3
	s_and_not1_b32 exec_lo, exec_lo, s3
	s_cbranch_execz .LBB49_49
.LBB49_37:                              ; =>This Loop Header: Depth=1
                                        ;     Child Loop BB49_39 Depth 2
	v_ashrrev_i32_e32 v2, 31, v1
	s_mov_b32 s4, 0
	s_delay_alu instid0(VALU_DEP_1) | instskip(SKIP_1) | instid1(VALU_DEP_2)
	v_lshlrev_b64 v[3:4], 2, v[1:2]
	v_lshlrev_b64 v[8:9], 3, v[1:2]
	v_add_co_u32 v3, vcc_lo, s28, v3
	s_delay_alu instid0(VALU_DEP_3) | instskip(NEXT) | instid1(VALU_DEP_3)
	v_add_co_ci_u32_e32 v4, vcc_lo, s29, v4, vcc_lo
	v_add_co_u32 v2, vcc_lo, s30, v8
	global_load_b32 v4, v[3:4], off
	v_add_co_ci_u32_e32 v3, vcc_lo, s31, v9, vcc_lo
	global_load_b64 v[8:9], v[2:3], off
	s_waitcnt vmcnt(1)
	v_subrev_nc_u32_e32 v2, s27, v4
	s_delay_alu instid0(VALU_DEP_1) | instskip(SKIP_2) | instid1(VALU_DEP_1)
	v_mul_lo_u32 v10, 0x89, v2
	s_waitcnt vmcnt(0)
	v_mul_f32_e64 v3, v9, -s12
	v_dual_mul_f32 v4, s2, v9 :: v_dual_fmac_f32 v3, s2, v8
	s_delay_alu instid0(VALU_DEP_1) | instskip(NEXT) | instid1(VALU_DEP_4)
	v_fmac_f32_e32 v4, s12, v8
	v_and_b32_e32 v8, 0x7ff, v10
	s_branch .LBB49_39
.LBB49_38:                              ;   in Loop: Header=BB49_39 Depth=2
	s_or_b32 exec_lo, exec_lo, s5
	s_xor_b32 s5, s6, -1
	s_delay_alu instid0(SALU_CYCLE_1) | instskip(NEXT) | instid1(SALU_CYCLE_1)
	s_and_b32 s5, exec_lo, s5
	s_or_b32 s4, s5, s4
	s_delay_alu instid0(SALU_CYCLE_1)
	s_and_not1_b32 exec_lo, exec_lo, s4
	s_cbranch_execz .LBB49_36
.LBB49_39:                              ;   Parent Loop BB49_37 Depth=1
                                        ; =>  This Inner Loop Header: Depth=2
	s_delay_alu instid0(VALU_DEP_1)
	v_lshl_add_u32 v9, v8, 2, 0
	s_mov_b32 s5, exec_lo
                                        ; implicit-def: $sgpr6
	ds_load_b32 v10, v9
	s_waitcnt lgkmcnt(0)
	v_cmpx_ne_u32_e64 v10, v2
	s_xor_b32 s5, exec_lo, s5
	s_cbranch_execz .LBB49_47
; %bb.40:                               ;   in Loop: Header=BB49_39 Depth=2
	s_mov_b32 s7, exec_lo
                                        ; implicit-def: $sgpr6
	v_cmpx_ne_u32_e64 s33, v10
	s_xor_b32 s7, exec_lo, s7
; %bb.41:                               ;   in Loop: Header=BB49_39 Depth=2
	v_add_nc_u32_e32 v8, 1, v8
	s_mov_b32 s6, -1
                                        ; implicit-def: $vgpr9
	s_delay_alu instid0(VALU_DEP_1)
	v_and_b32_e32 v8, 0x7ff, v8
; %bb.42:                               ;   in Loop: Header=BB49_39 Depth=2
	s_and_not1_saveexec_b32 s7, s7
	s_cbranch_execz .LBB49_46
; %bb.43:                               ;   in Loop: Header=BB49_39 Depth=2
	v_mov_b32_e32 v10, s33
	s_mov_b32 s8, -1
	s_mov_b32 s9, exec_lo
	ds_cmpstore_rtn_b32 v10, v9, v2, v10
	s_waitcnt lgkmcnt(0)
	v_cmpx_eq_u32_e64 s33, v10
	s_cbranch_execz .LBB49_45
; %bb.44:                               ;   in Loop: Header=BB49_39 Depth=2
	v_lshl_add_u32 v9, v8, 2, v9
	s_xor_b32 s8, exec_lo, -1
	ds_add_f32 v9, v3 offset:8192
	ds_add_f32 v9, v4 offset:8196
.LBB49_45:                              ;   in Loop: Header=BB49_39 Depth=2
	s_or_b32 exec_lo, exec_lo, s9
	s_delay_alu instid0(SALU_CYCLE_1) | instskip(SKIP_1) | instid1(SALU_CYCLE_1)
	s_and_not1_b32 s6, s6, exec_lo
	s_and_b32 s8, s8, exec_lo
	s_or_b32 s6, s6, s8
.LBB49_46:                              ;   in Loop: Header=BB49_39 Depth=2
	s_or_b32 exec_lo, exec_lo, s7
	s_delay_alu instid0(SALU_CYCLE_1)
	s_and_b32 s6, s6, exec_lo
                                        ; implicit-def: $vgpr9
.LBB49_47:                              ;   in Loop: Header=BB49_39 Depth=2
	s_and_not1_saveexec_b32 s5, s5
	s_cbranch_execz .LBB49_38
; %bb.48:                               ;   in Loop: Header=BB49_39 Depth=2
	v_lshl_add_u32 v9, v8, 2, v9
	s_and_not1_b32 s6, s6, exec_lo
	ds_add_f32 v9, v3 offset:8192
	ds_add_f32 v9, v4 offset:8196
	s_branch .LBB49_38
.LBB49_49:
	s_or_b32 exec_lo, exec_lo, s1
.LBB49_50:
	v_mbcnt_lo_u32_b32 v1, -1, 0
	v_lshrrev_b32_e32 v2, 4, v0
	v_cmp_eq_u32_e32 vcc_lo, 0x3ff, v0
	v_cmp_lt_u32_e64 s0, 63, v0
	v_cmp_lt_u32_e64 s1, 0x7f, v0
	v_xor_b32_e32 v1, 63, v1
	v_dual_mov_b32 v8, 0 :: v_dual_and_b32 v3, 60, v2
	v_cmp_lt_u32_e64 s2, 0xbf, v0
	v_cmp_lt_u32_e64 s3, 0xff, v0
	s_delay_alu instid0(VALU_DEP_4) | instskip(NEXT) | instid1(VALU_DEP_4)
	v_lshrrev_b64 v[1:2], v1, -1
	v_dual_mov_b32 v9, 0 :: v_dual_add_nc_u32 v4, 0, v3
	v_cmp_lt_u32_e64 s4, 0x13f, v0
	v_cmp_lt_u32_e64 s5, 0x17f, v0
	;; [unrolled: 1-line block ×11, first 2 shown]
	s_mov_b32 s16, 0
	s_waitcnt lgkmcnt(0)
	s_barrier
	buffer_gl0_inv
	s_branch .LBB49_52
.LBB49_51:                              ;   in Loop: Header=BB49_52 Depth=1
	s_or_b32 exec_lo, exec_lo, s15
	s_waitcnt lgkmcnt(0)
	s_barrier
	buffer_gl0_inv
	ds_load_b32 v2, v8 offset:24636
	v_add_co_u32 v6, s15, 0x400, v6
	s_delay_alu instid0(VALU_DEP_1) | instskip(SKIP_3) | instid1(SALU_CYCLE_1)
	s_xor_b32 s15, s15, -1
	v_add_nc_u32_e32 v7, 0x2000, v7
	v_add_nc_u32_e32 v5, 0x1000, v5
	s_and_b32 s15, exec_lo, s15
	s_or_b32 s16, s15, s16
	s_waitcnt lgkmcnt(0)
	v_add_nc_u32_e32 v9, v2, v9
	s_and_not1_b32 exec_lo, exec_lo, s16
	s_cbranch_execz .LBB49_86
.LBB49_52:                              ; =>This Inner Loop Header: Depth=1
	ds_load_b32 v10, v5
	ds_load_2addr_b32 v[2:3], v7 offset1:1
	s_waitcnt lgkmcnt(0)
	s_barrier
	buffer_gl0_inv
	v_cmp_gt_i32_e64 s15, s33, v10
	s_delay_alu instid0(VALU_DEP_1) | instskip(NEXT) | instid1(SALU_CYCLE_1)
	s_bcnt1_i32_b32 s17, s15
	v_dual_mov_b32 v12, s17 :: v_dual_and_b32 v11, s15, v1
	s_delay_alu instid0(VALU_DEP_1)
	v_bcnt_u32_b32 v11, v11, 0
	ds_store_b32 v4, v12 offset:24576
	s_waitcnt lgkmcnt(0)
	s_barrier
	buffer_gl0_inv
	s_and_saveexec_b32 s17, s0
	s_cbranch_execnz .LBB49_69
; %bb.53:                               ;   in Loop: Header=BB49_52 Depth=1
	s_or_b32 exec_lo, exec_lo, s17
	s_and_saveexec_b32 s17, s1
	s_cbranch_execnz .LBB49_70
.LBB49_54:                              ;   in Loop: Header=BB49_52 Depth=1
	s_or_b32 exec_lo, exec_lo, s17
	s_and_saveexec_b32 s17, s2
	s_cbranch_execnz .LBB49_71
.LBB49_55:                              ;   in Loop: Header=BB49_52 Depth=1
	s_or_b32 exec_lo, exec_lo, s17
	s_and_saveexec_b32 s17, s3
	s_cbranch_execnz .LBB49_72
.LBB49_56:                              ;   in Loop: Header=BB49_52 Depth=1
	s_or_b32 exec_lo, exec_lo, s17
	s_and_saveexec_b32 s17, s4
	s_cbranch_execnz .LBB49_73
.LBB49_57:                              ;   in Loop: Header=BB49_52 Depth=1
	s_or_b32 exec_lo, exec_lo, s17
	s_and_saveexec_b32 s17, s5
	s_cbranch_execnz .LBB49_74
.LBB49_58:                              ;   in Loop: Header=BB49_52 Depth=1
	s_or_b32 exec_lo, exec_lo, s17
	s_and_saveexec_b32 s17, s6
	s_cbranch_execnz .LBB49_75
.LBB49_59:                              ;   in Loop: Header=BB49_52 Depth=1
	s_or_b32 exec_lo, exec_lo, s17
	s_and_saveexec_b32 s17, s7
	s_cbranch_execnz .LBB49_76
.LBB49_60:                              ;   in Loop: Header=BB49_52 Depth=1
	s_or_b32 exec_lo, exec_lo, s17
	s_and_saveexec_b32 s17, s8
	s_cbranch_execnz .LBB49_77
.LBB49_61:                              ;   in Loop: Header=BB49_52 Depth=1
	s_or_b32 exec_lo, exec_lo, s17
	s_and_saveexec_b32 s17, s9
	s_cbranch_execnz .LBB49_78
.LBB49_62:                              ;   in Loop: Header=BB49_52 Depth=1
	s_or_b32 exec_lo, exec_lo, s17
	s_and_saveexec_b32 s17, s10
	s_cbranch_execnz .LBB49_79
.LBB49_63:                              ;   in Loop: Header=BB49_52 Depth=1
	s_or_b32 exec_lo, exec_lo, s17
	s_and_saveexec_b32 s17, s11
	s_cbranch_execnz .LBB49_80
.LBB49_64:                              ;   in Loop: Header=BB49_52 Depth=1
	s_or_b32 exec_lo, exec_lo, s17
	s_and_saveexec_b32 s17, s12
	s_cbranch_execnz .LBB49_81
.LBB49_65:                              ;   in Loop: Header=BB49_52 Depth=1
	s_or_b32 exec_lo, exec_lo, s17
	s_and_saveexec_b32 s17, s13
	s_cbranch_execnz .LBB49_82
.LBB49_66:                              ;   in Loop: Header=BB49_52 Depth=1
	s_or_b32 exec_lo, exec_lo, s17
	s_and_saveexec_b32 s17, s14
	s_cbranch_execnz .LBB49_83
.LBB49_67:                              ;   in Loop: Header=BB49_52 Depth=1
	s_or_b32 exec_lo, exec_lo, s17
	s_and_saveexec_b32 s17, s15
	s_cbranch_execnz .LBB49_84
.LBB49_68:                              ;   in Loop: Header=BB49_52 Depth=1
	s_or_b32 exec_lo, exec_lo, s17
	s_and_saveexec_b32 s15, vcc_lo
	s_cbranch_execz .LBB49_51
	s_branch .LBB49_85
.LBB49_69:                              ;   in Loop: Header=BB49_52 Depth=1
	ds_load_b32 v12, v8 offset:24576
	s_waitcnt lgkmcnt(0)
	v_add_nc_u32_e32 v11, v12, v11
	s_or_b32 exec_lo, exec_lo, s17
	s_and_saveexec_b32 s17, s1
	s_cbranch_execz .LBB49_54
.LBB49_70:                              ;   in Loop: Header=BB49_52 Depth=1
	ds_load_b32 v12, v8 offset:24580
	s_waitcnt lgkmcnt(0)
	v_add_nc_u32_e32 v11, v12, v11
	s_or_b32 exec_lo, exec_lo, s17
	s_and_saveexec_b32 s17, s2
	s_cbranch_execz .LBB49_55
.LBB49_71:                              ;   in Loop: Header=BB49_52 Depth=1
	ds_load_b32 v12, v8 offset:24584
	s_waitcnt lgkmcnt(0)
	v_add_nc_u32_e32 v11, v12, v11
	s_or_b32 exec_lo, exec_lo, s17
	s_and_saveexec_b32 s17, s3
	s_cbranch_execz .LBB49_56
.LBB49_72:                              ;   in Loop: Header=BB49_52 Depth=1
	ds_load_b32 v12, v8 offset:24588
	s_waitcnt lgkmcnt(0)
	v_add_nc_u32_e32 v11, v12, v11
	s_or_b32 exec_lo, exec_lo, s17
	s_and_saveexec_b32 s17, s4
	s_cbranch_execz .LBB49_57
.LBB49_73:                              ;   in Loop: Header=BB49_52 Depth=1
	ds_load_b32 v12, v8 offset:24592
	s_waitcnt lgkmcnt(0)
	v_add_nc_u32_e32 v11, v12, v11
	s_or_b32 exec_lo, exec_lo, s17
	s_and_saveexec_b32 s17, s5
	s_cbranch_execz .LBB49_58
.LBB49_74:                              ;   in Loop: Header=BB49_52 Depth=1
	ds_load_b32 v12, v8 offset:24596
	s_waitcnt lgkmcnt(0)
	v_add_nc_u32_e32 v11, v12, v11
	s_or_b32 exec_lo, exec_lo, s17
	s_and_saveexec_b32 s17, s6
	s_cbranch_execz .LBB49_59
.LBB49_75:                              ;   in Loop: Header=BB49_52 Depth=1
	ds_load_b32 v12, v8 offset:24600
	s_waitcnt lgkmcnt(0)
	v_add_nc_u32_e32 v11, v12, v11
	s_or_b32 exec_lo, exec_lo, s17
	s_and_saveexec_b32 s17, s7
	s_cbranch_execz .LBB49_60
.LBB49_76:                              ;   in Loop: Header=BB49_52 Depth=1
	ds_load_b32 v12, v8 offset:24604
	s_waitcnt lgkmcnt(0)
	v_add_nc_u32_e32 v11, v12, v11
	s_or_b32 exec_lo, exec_lo, s17
	s_and_saveexec_b32 s17, s8
	s_cbranch_execz .LBB49_61
.LBB49_77:                              ;   in Loop: Header=BB49_52 Depth=1
	ds_load_b32 v12, v8 offset:24608
	s_waitcnt lgkmcnt(0)
	v_add_nc_u32_e32 v11, v12, v11
	s_or_b32 exec_lo, exec_lo, s17
	s_and_saveexec_b32 s17, s9
	s_cbranch_execz .LBB49_62
.LBB49_78:                              ;   in Loop: Header=BB49_52 Depth=1
	ds_load_b32 v12, v8 offset:24612
	s_waitcnt lgkmcnt(0)
	v_add_nc_u32_e32 v11, v12, v11
	s_or_b32 exec_lo, exec_lo, s17
	s_and_saveexec_b32 s17, s10
	s_cbranch_execz .LBB49_63
.LBB49_79:                              ;   in Loop: Header=BB49_52 Depth=1
	ds_load_b32 v12, v8 offset:24616
	s_waitcnt lgkmcnt(0)
	v_add_nc_u32_e32 v11, v12, v11
	s_or_b32 exec_lo, exec_lo, s17
	s_and_saveexec_b32 s17, s11
	s_cbranch_execz .LBB49_64
.LBB49_80:                              ;   in Loop: Header=BB49_52 Depth=1
	ds_load_b32 v12, v8 offset:24620
	s_waitcnt lgkmcnt(0)
	v_add_nc_u32_e32 v11, v12, v11
	s_or_b32 exec_lo, exec_lo, s17
	s_and_saveexec_b32 s17, s12
	s_cbranch_execz .LBB49_65
.LBB49_81:                              ;   in Loop: Header=BB49_52 Depth=1
	ds_load_b32 v12, v8 offset:24624
	s_waitcnt lgkmcnt(0)
	v_add_nc_u32_e32 v11, v12, v11
	s_or_b32 exec_lo, exec_lo, s17
	s_and_saveexec_b32 s17, s13
	s_cbranch_execz .LBB49_66
.LBB49_82:                              ;   in Loop: Header=BB49_52 Depth=1
	ds_load_b32 v12, v8 offset:24628
	s_waitcnt lgkmcnt(0)
	v_add_nc_u32_e32 v11, v12, v11
	s_or_b32 exec_lo, exec_lo, s17
	s_and_saveexec_b32 s17, s14
	s_cbranch_execz .LBB49_67
.LBB49_83:                              ;   in Loop: Header=BB49_52 Depth=1
	ds_load_b32 v12, v8 offset:24632
	s_waitcnt lgkmcnt(0)
	v_add_nc_u32_e32 v11, v12, v11
	s_or_b32 exec_lo, exec_lo, s17
	s_and_saveexec_b32 s17, s15
	s_cbranch_execz .LBB49_68
.LBB49_84:                              ;   in Loop: Header=BB49_52 Depth=1
	s_delay_alu instid0(VALU_DEP_1) | instskip(NEXT) | instid1(VALU_DEP_1)
	v_add3_u32 v12, v9, -1, v11
	v_lshlrev_b32_e32 v13, 3, v12
	v_lshl_add_u32 v12, v12, 2, 0
	s_delay_alu instid0(VALU_DEP_2)
	v_add3_u32 v13, 0, v13, 0x2000
	ds_store_b32 v12, v10
	ds_store_2addr_b32 v13, v2, v3 offset1:1
	s_or_b32 exec_lo, exec_lo, s17
	s_and_saveexec_b32 s15, vcc_lo
	s_cbranch_execz .LBB49_51
.LBB49_85:                              ;   in Loop: Header=BB49_52 Depth=1
	ds_store_b32 v8, v11 offset:24636
	s_branch .LBB49_51
.LBB49_86:
	s_or_b32 exec_lo, exec_lo, s16
	s_ashr_i32 s37, s36, 31
	s_mov_b32 s3, exec_lo
	s_lshl_b64 s[0:1], s[36:37], 2
	s_delay_alu instid0(SALU_CYCLE_1) | instskip(SKIP_4) | instid1(SALU_CYCLE_1)
	s_add_u32 s0, s40, s0
	s_addc_u32 s1, s41, s1
	s_load_b64 s[0:1], s[0:1], 0x0
	s_waitcnt lgkmcnt(0)
	s_sub_i32 s2, s1, s0
	v_cmpx_gt_i32_e64 s2, v0
	s_cbranch_execz .LBB49_96
; %bb.87:
	s_sub_i32 s3, s0, s26
	s_sub_i32 s0, s0, s1
	s_and_b32 s1, s2, 7
	s_cmp_lt_u32 s0, -7
	s_mov_b32 s7, 0
	s_cselect_b32 s4, -1, 0
	s_and_b32 s5, s2, -8
	s_cmp_lg_u32 s1, 0
	s_cselect_b32 s6, -1, 0
	s_branch .LBB49_89
.LBB49_88:                              ;   in Loop: Header=BB49_89 Depth=1
	s_waitcnt lgkmcnt(1)
	s_delay_alu instid0(VALU_DEP_1) | instskip(SKIP_1) | instid1(VALU_DEP_2)
	v_ashrrev_i32_e32 v4, 31, v3
	v_add_nc_u32_e32 v0, 0x400, v0
	v_lshlrev_b64 v[3:4], 3, v[3:4]
	s_delay_alu instid0(VALU_DEP_2) | instskip(SKIP_1) | instid1(VALU_DEP_2)
	v_cmp_le_i32_e32 vcc_lo, s2, v0
	s_or_b32 s7, vcc_lo, s7
	v_add_co_u32 v3, s0, s34, v3
	s_delay_alu instid0(VALU_DEP_1)
	v_add_co_ci_u32_e64 v4, s0, s35, v4, s0
	s_waitcnt lgkmcnt(0)
	global_store_b64 v[3:4], v[1:2], off
	s_and_not1_b32 exec_lo, exec_lo, s7
	s_cbranch_execz .LBB49_96
.LBB49_89:                              ; =>This Loop Header: Depth=1
                                        ;     Child Loop BB49_91 Depth 2
                                        ;     Child Loop BB49_95 Depth 2
	v_lshlrev_b32_e32 v1, 2, v0
	s_and_not1_b32 vcc_lo, exec_lo, s4
	s_mov_b32 s0, 0
	s_delay_alu instid0(VALU_DEP_1) | instskip(NEXT) | instid1(VALU_DEP_1)
	v_dual_mov_b32 v3, s3 :: v_dual_add_nc_u32 v2, 0, v1
	v_add3_u32 v1, v2, v1, 0x2000
	ds_load_b32 v4, v2
	ds_load_2addr_b32 v[1:2], v1 offset1:1
	s_cbranch_vccnz .LBB49_93
; %bb.90:                               ;   in Loop: Header=BB49_89 Depth=1
	v_mov_b32_e32 v3, s3
	s_mov_b32 s8, 0
	s_set_inst_prefetch_distance 0x1
	.p2align	6
.LBB49_91:                              ;   Parent Loop BB49_89 Depth=1
                                        ; =>  This Inner Loop Header: Depth=2
	v_mov_b32_e32 v11, s8
	s_add_i32 s0, s0, 8
	s_add_i32 s8, s8, 32
	s_cmp_eq_u32 s5, s0
	ds_load_2addr_b32 v[5:6], v11 offset1:1
	ds_load_2addr_b32 v[7:8], v11 offset0:2 offset1:3
	ds_load_2addr_b32 v[9:10], v11 offset0:4 offset1:5
	;; [unrolled: 1-line block ×3, first 2 shown]
	s_waitcnt lgkmcnt(3)
	v_cmp_gt_i32_e32 vcc_lo, v4, v5
	v_cndmask_b32_e64 v5, 0, 1, vcc_lo
	s_waitcnt lgkmcnt(2)
	v_cmp_gt_i32_e32 vcc_lo, v4, v7
	v_cndmask_b32_e64 v7, 0, 1, vcc_lo
	v_cmp_gt_i32_e32 vcc_lo, v4, v6
	v_add_co_ci_u32_e32 v3, vcc_lo, v3, v5, vcc_lo
	s_waitcnt lgkmcnt(1)
	v_cmp_gt_i32_e32 vcc_lo, v4, v9
	v_cndmask_b32_e64 v5, 0, 1, vcc_lo
	v_cmp_gt_i32_e32 vcc_lo, v4, v8
	v_add_co_ci_u32_e32 v3, vcc_lo, v3, v7, vcc_lo
	;; [unrolled: 5-line block ×3, first 2 shown]
	v_cmp_gt_i32_e32 vcc_lo, v4, v12
	s_delay_alu instid0(VALU_DEP_2)
	v_add_co_ci_u32_e32 v3, vcc_lo, v3, v6, vcc_lo
	s_cbranch_scc0 .LBB49_91
; %bb.92:                               ;   in Loop: Header=BB49_89 Depth=1
	s_set_inst_prefetch_distance 0x2
	s_mov_b32 s0, s5
.LBB49_93:                              ;   in Loop: Header=BB49_89 Depth=1
	s_and_not1_b32 vcc_lo, exec_lo, s6
	s_cbranch_vccnz .LBB49_88
; %bb.94:                               ;   in Loop: Header=BB49_89 Depth=1
	s_lshl_b32 s0, s0, 2
	s_mov_b32 s8, s1
	s_add_i32 s0, s0, 0
.LBB49_95:                              ;   Parent Loop BB49_89 Depth=1
                                        ; =>  This Inner Loop Header: Depth=2
	s_delay_alu instid0(SALU_CYCLE_1)
	v_mov_b32_e32 v5, s0
	s_add_i32 s8, s8, -1
	s_add_i32 s0, s0, 4
	s_cmp_lg_u32 s8, 0
	ds_load_b32 v5, v5
	s_waitcnt lgkmcnt(0)
	v_cmp_gt_i32_e32 vcc_lo, v4, v5
	v_add_co_ci_u32_e32 v3, vcc_lo, 0, v3, vcc_lo
	s_cbranch_scc1 .LBB49_95
	s_branch .LBB49_88
.LBB49_96:
	s_nop 0
	s_sendmsg sendmsg(MSG_DEALLOC_VGPRS)
	s_endpgm
	.section	.rodata,"a",@progbits
	.p2align	6, 0x0
	.amdhsa_kernel _ZN9rocsparseL41csrgemm_numeric_fill_block_per_row_kernelILj1024ELj32ELj2048ELj137ELj64Eii21rocsparse_complex_numIfEEEvT5_PKS3_S5_NS_24const_host_device_scalarIT6_EEPKT4_S5_PKS7_SB_S5_SD_S8_SB_S5_SD_SB_S5_PS7_21rocsparse_index_base_SF_SF_SF_bbb
		.amdhsa_group_segment_fixed_size 0
		.amdhsa_private_segment_fixed_size 0
		.amdhsa_kernarg_size 156
		.amdhsa_user_sgpr_count 15
		.amdhsa_user_sgpr_dispatch_ptr 0
		.amdhsa_user_sgpr_queue_ptr 0
		.amdhsa_user_sgpr_kernarg_segment_ptr 1
		.amdhsa_user_sgpr_dispatch_id 0
		.amdhsa_user_sgpr_private_segment_size 0
		.amdhsa_wavefront_size32 1
		.amdhsa_uses_dynamic_stack 0
		.amdhsa_enable_private_segment 0
		.amdhsa_system_sgpr_workgroup_id_x 1
		.amdhsa_system_sgpr_workgroup_id_y 0
		.amdhsa_system_sgpr_workgroup_id_z 0
		.amdhsa_system_sgpr_workgroup_info 0
		.amdhsa_system_vgpr_workitem_id 0
		.amdhsa_next_free_vgpr 16
		.amdhsa_next_free_sgpr 43
		.amdhsa_reserve_vcc 1
		.amdhsa_float_round_mode_32 0
		.amdhsa_float_round_mode_16_64 0
		.amdhsa_float_denorm_mode_32 3
		.amdhsa_float_denorm_mode_16_64 3
		.amdhsa_dx10_clamp 1
		.amdhsa_ieee_mode 1
		.amdhsa_fp16_overflow 0
		.amdhsa_workgroup_processor_mode 1
		.amdhsa_memory_ordered 1
		.amdhsa_forward_progress 0
		.amdhsa_shared_vgpr_count 0
		.amdhsa_exception_fp_ieee_invalid_op 0
		.amdhsa_exception_fp_denorm_src 0
		.amdhsa_exception_fp_ieee_div_zero 0
		.amdhsa_exception_fp_ieee_overflow 0
		.amdhsa_exception_fp_ieee_underflow 0
		.amdhsa_exception_fp_ieee_inexact 0
		.amdhsa_exception_int_div_zero 0
	.end_amdhsa_kernel
	.section	.text._ZN9rocsparseL41csrgemm_numeric_fill_block_per_row_kernelILj1024ELj32ELj2048ELj137ELj64Eii21rocsparse_complex_numIfEEEvT5_PKS3_S5_NS_24const_host_device_scalarIT6_EEPKT4_S5_PKS7_SB_S5_SD_S8_SB_S5_SD_SB_S5_PS7_21rocsparse_index_base_SF_SF_SF_bbb,"axG",@progbits,_ZN9rocsparseL41csrgemm_numeric_fill_block_per_row_kernelILj1024ELj32ELj2048ELj137ELj64Eii21rocsparse_complex_numIfEEEvT5_PKS3_S5_NS_24const_host_device_scalarIT6_EEPKT4_S5_PKS7_SB_S5_SD_S8_SB_S5_SD_SB_S5_PS7_21rocsparse_index_base_SF_SF_SF_bbb,comdat
.Lfunc_end49:
	.size	_ZN9rocsparseL41csrgemm_numeric_fill_block_per_row_kernelILj1024ELj32ELj2048ELj137ELj64Eii21rocsparse_complex_numIfEEEvT5_PKS3_S5_NS_24const_host_device_scalarIT6_EEPKT4_S5_PKS7_SB_S5_SD_S8_SB_S5_SD_SB_S5_PS7_21rocsparse_index_base_SF_SF_SF_bbb, .Lfunc_end49-_ZN9rocsparseL41csrgemm_numeric_fill_block_per_row_kernelILj1024ELj32ELj2048ELj137ELj64Eii21rocsparse_complex_numIfEEEvT5_PKS3_S5_NS_24const_host_device_scalarIT6_EEPKT4_S5_PKS7_SB_S5_SD_S8_SB_S5_SD_SB_S5_PS7_21rocsparse_index_base_SF_SF_SF_bbb
                                        ; -- End function
	.section	.AMDGPU.csdata,"",@progbits
; Kernel info:
; codeLenInByte = 3332
; NumSgprs: 45
; NumVgprs: 16
; ScratchSize: 0
; MemoryBound: 0
; FloatMode: 240
; IeeeMode: 1
; LDSByteSize: 0 bytes/workgroup (compile time only)
; SGPRBlocks: 5
; VGPRBlocks: 1
; NumSGPRsForWavesPerEU: 45
; NumVGPRsForWavesPerEU: 16
; Occupancy: 16
; WaveLimiterHint : 1
; COMPUTE_PGM_RSRC2:SCRATCH_EN: 0
; COMPUTE_PGM_RSRC2:USER_SGPR: 15
; COMPUTE_PGM_RSRC2:TRAP_HANDLER: 0
; COMPUTE_PGM_RSRC2:TGID_X_EN: 1
; COMPUTE_PGM_RSRC2:TGID_Y_EN: 0
; COMPUTE_PGM_RSRC2:TGID_Z_EN: 0
; COMPUTE_PGM_RSRC2:TIDIG_COMP_CNT: 0
	.section	.text._ZN9rocsparseL41csrgemm_numeric_fill_block_per_row_kernelILj1024ELj64ELj4096ELj137ELj32Eii21rocsparse_complex_numIfEEEvT5_PKS3_S5_NS_24const_host_device_scalarIT6_EEPKT4_S5_PKS7_SB_S5_SD_S8_SB_S5_SD_SB_S5_PS7_21rocsparse_index_base_SF_SF_SF_bbb,"axG",@progbits,_ZN9rocsparseL41csrgemm_numeric_fill_block_per_row_kernelILj1024ELj64ELj4096ELj137ELj32Eii21rocsparse_complex_numIfEEEvT5_PKS3_S5_NS_24const_host_device_scalarIT6_EEPKT4_S5_PKS7_SB_S5_SD_S8_SB_S5_SD_SB_S5_PS7_21rocsparse_index_base_SF_SF_SF_bbb,comdat
	.globl	_ZN9rocsparseL41csrgemm_numeric_fill_block_per_row_kernelILj1024ELj64ELj4096ELj137ELj32Eii21rocsparse_complex_numIfEEEvT5_PKS3_S5_NS_24const_host_device_scalarIT6_EEPKT4_S5_PKS7_SB_S5_SD_S8_SB_S5_SD_SB_S5_PS7_21rocsparse_index_base_SF_SF_SF_bbb ; -- Begin function _ZN9rocsparseL41csrgemm_numeric_fill_block_per_row_kernelILj1024ELj64ELj4096ELj137ELj32Eii21rocsparse_complex_numIfEEEvT5_PKS3_S5_NS_24const_host_device_scalarIT6_EEPKT4_S5_PKS7_SB_S5_SD_S8_SB_S5_SD_SB_S5_PS7_21rocsparse_index_base_SF_SF_SF_bbb
	.p2align	8
	.type	_ZN9rocsparseL41csrgemm_numeric_fill_block_per_row_kernelILj1024ELj64ELj4096ELj137ELj32Eii21rocsparse_complex_numIfEEEvT5_PKS3_S5_NS_24const_host_device_scalarIT6_EEPKT4_S5_PKS7_SB_S5_SD_S8_SB_S5_SD_SB_S5_PS7_21rocsparse_index_base_SF_SF_SF_bbb,@function
_ZN9rocsparseL41csrgemm_numeric_fill_block_per_row_kernelILj1024ELj64ELj4096ELj137ELj32Eii21rocsparse_complex_numIfEEEvT5_PKS3_S5_NS_24const_host_device_scalarIT6_EEPKT4_S5_PKS7_SB_S5_SD_S8_SB_S5_SD_SB_S5_PS7_21rocsparse_index_base_SF_SF_SF_bbb: ; @_ZN9rocsparseL41csrgemm_numeric_fill_block_per_row_kernelILj1024ELj64ELj4096ELj137ELj32Eii21rocsparse_complex_numIfEEEvT5_PKS3_S5_NS_24const_host_device_scalarIT6_EEPKT4_S5_PKS7_SB_S5_SD_S8_SB_S5_SD_SB_S5_PS7_21rocsparse_index_base_SF_SF_SF_bbb
; %bb.0:
	s_clause 0x7
	s_load_b32 s12, s[0:1], 0x98
	s_load_b64 s[40:41], s[0:1], 0x70
	s_load_b128 s[24:27], s[0:1], 0x60
	s_load_b256 s[4:11], s[0:1], 0x40
	s_load_b128 s[28:31], s[0:1], 0x8
	s_load_b256 s[16:23], s[0:1], 0x20
	s_load_b64 s[34:35], s[0:1], 0x80
	s_load_b128 s[36:39], s[0:1], 0x88
	s_mov_b32 s3, 0
	s_mov_b32 s13, 0
	s_waitcnt lgkmcnt(0)
	s_bitcmp1_b32 s12, 0
	s_cselect_b32 s43, -1, 0
	s_bitcmp1_b32 s12, 16
	s_cselect_b32 s2, -1, 0
	s_delay_alu instid0(SALU_CYCLE_1) | instskip(SKIP_2) | instid1(VALU_DEP_1)
	s_xor_b32 s14, s2, -1
	s_bitcmp0_b32 s12, 0
	v_cndmask_b32_e64 v1, 0, 1, s14
	v_cmp_ne_u32_e32 vcc_lo, 1, v1
	s_cbranch_scc1 .LBB50_5
; %bb.1:
	s_load_b64 s[2:3], s[0:1], 0x18
	s_and_b32 vcc_lo, exec_lo, vcc_lo
	s_waitcnt lgkmcnt(0)
	s_mov_b32 s13, s2
	s_cbranch_vccnz .LBB50_3
; %bb.2:
	s_load_b32 s13, s[2:3], 0x0
.LBB50_3:
	s_and_not1_b32 vcc_lo, exec_lo, s14
	s_cbranch_vccnz .LBB50_5
; %bb.4:
	s_load_b32 s3, s[2:3], 0x4
.LBB50_5:
	s_bitcmp1_b32 s12, 8
	s_cselect_b32 s14, -1, 0
	s_bfe_u32 s2, s12, 0x10008
	s_mov_b32 s12, 0
	s_cmp_eq_u32 s2, 0
	s_mov_b32 s2, 0
	s_cbranch_scc1 .LBB50_11
; %bb.6:
	v_cmp_ne_u32_e32 vcc_lo, 1, v1
	s_mov_b32 s2, s8
	s_cbranch_vccnz .LBB50_8
; %bb.7:
	s_load_b32 s2, s[8:9], 0x0
.LBB50_8:
	v_cmp_ne_u32_e32 vcc_lo, 1, v1
	s_cbranch_vccnz .LBB50_10
; %bb.9:
	s_load_b32 s9, s[8:9], 0x4
.LBB50_10:
	s_waitcnt lgkmcnt(0)
	s_mov_b32 s12, s9
.LBB50_11:
	s_load_b32 s33, s[0:1], 0x0
	v_lshl_add_u32 v5, v0, 2, 0
	v_lshlrev_b32_e32 v1, 3, v0
	v_or_b32_e32 v6, 0xfffffc00, v0
	s_mov_b32 s0, 0
	s_delay_alu instid0(VALU_DEP_3) | instskip(NEXT) | instid1(VALU_DEP_3)
	v_mov_b32_e32 v2, v5
	v_add3_u32 v7, v1, 0, 0x4000
	v_mov_b32_e32 v1, 0
	s_delay_alu instid0(VALU_DEP_2)
	v_dual_mov_b32 v3, v6 :: v_dual_mov_b32 v8, v7
	s_waitcnt lgkmcnt(0)
	v_mov_b32_e32 v4, s33
.LBB50_12:                              ; =>This Inner Loop Header: Depth=1
	s_delay_alu instid0(VALU_DEP_2)
	v_add_nc_u32_e32 v3, 0x400, v3
	ds_store_b32 v2, v4
	ds_store_2addr_b32 v8, v1, v1 offset1:1
	v_add_nc_u32_e32 v8, 0x2000, v8
	v_add_nc_u32_e32 v2, 0x1000, v2
	v_cmp_lt_u32_e32 vcc_lo, 0xbff, v3
	s_or_b32 s0, vcc_lo, s0
	s_delay_alu instid0(SALU_CYCLE_1)
	s_and_not1_b32 exec_lo, exec_lo, s0
	s_cbranch_execnz .LBB50_12
; %bb.13:
	s_or_b32 exec_lo, exec_lo, s0
	s_waitcnt lgkmcnt(0)
	s_barrier
	buffer_gl0_inv
	s_load_b32 s0, s[28:29], 0x0
	s_mov_b32 s1, 0
	s_waitcnt lgkmcnt(0)
	s_add_i32 s0, s0, s15
	s_delay_alu instid0(SALU_CYCLE_1) | instskip(NEXT) | instid1(SALU_CYCLE_1)
	s_lshl_b64 s[0:1], s[0:1], 2
	s_add_u32 s0, s30, s0
	s_addc_u32 s1, s31, s1
	s_and_b32 vcc_lo, exec_lo, s43
	s_load_b32 s42, s[0:1], 0x0
	s_cbranch_vccz .LBB50_33
; %bb.14:
	s_waitcnt lgkmcnt(0)
	s_ashr_i32 s43, s42, 31
	v_lshrrev_b32_e32 v1, 6, v0
	s_lshl_b64 s[0:1], s[42:43], 2
	s_delay_alu instid0(SALU_CYCLE_1) | instskip(SKIP_1) | instid1(VALU_DEP_1)
	s_add_u32 s0, s16, s0
	s_addc_u32 s1, s17, s1
	v_subrev_nc_u32_e32 v1, s36, v1
	s_load_b64 s[0:1], s[0:1], 0x0
	s_waitcnt lgkmcnt(0)
	s_delay_alu instid0(VALU_DEP_1) | instskip(SKIP_2) | instid1(VALU_DEP_1)
	v_add_nc_u32_e32 v1, s0, v1
	s_sub_i32 s0, s1, s36
	s_mov_b32 s1, exec_lo
	v_cmpx_gt_i32_e64 s0, v1
	s_cbranch_execz .LBB50_32
; %bb.15:
	v_and_b32_e32 v2, 63, v0
	s_mov_b32 s8, 0
	s_delay_alu instid0(VALU_DEP_1)
	v_subrev_nc_u32_e32 v8, s37, v2
	s_branch .LBB50_17
.LBB50_16:                              ;   in Loop: Header=BB50_17 Depth=1
	s_or_b32 exec_lo, exec_lo, s9
	v_add_nc_u32_e32 v1, 16, v1
	s_delay_alu instid0(VALU_DEP_1) | instskip(SKIP_1) | instid1(SALU_CYCLE_1)
	v_cmp_le_i32_e32 vcc_lo, s0, v1
	s_or_b32 s8, vcc_lo, s8
	s_and_not1_b32 exec_lo, exec_lo, s8
	s_cbranch_execz .LBB50_32
.LBB50_17:                              ; =>This Loop Header: Depth=1
                                        ;     Child Loop BB50_20 Depth 2
                                        ;       Child Loop BB50_22 Depth 3
	v_ashrrev_i32_e32 v2, 31, v1
	s_mov_b32 s9, exec_lo
	s_delay_alu instid0(VALU_DEP_1) | instskip(NEXT) | instid1(VALU_DEP_1)
	v_lshlrev_b64 v[3:4], 2, v[1:2]
	v_add_co_u32 v3, vcc_lo, s18, v3
	s_delay_alu instid0(VALU_DEP_2) | instskip(SKIP_3) | instid1(VALU_DEP_1)
	v_add_co_ci_u32_e32 v4, vcc_lo, s19, v4, vcc_lo
	global_load_b32 v3, v[3:4], off
	s_waitcnt vmcnt(0)
	v_subrev_nc_u32_e32 v3, s36, v3
	v_ashrrev_i32_e32 v4, 31, v3
	s_delay_alu instid0(VALU_DEP_1) | instskip(NEXT) | instid1(VALU_DEP_1)
	v_lshlrev_b64 v[3:4], 2, v[3:4]
	v_add_co_u32 v3, vcc_lo, s22, v3
	s_delay_alu instid0(VALU_DEP_2) | instskip(SKIP_4) | instid1(VALU_DEP_1)
	v_add_co_ci_u32_e32 v4, vcc_lo, s23, v4, vcc_lo
	global_load_b64 v[3:4], v[3:4], off
	s_waitcnt vmcnt(0)
	v_subrev_nc_u32_e32 v9, s37, v4
	v_add_nc_u32_e32 v3, v3, v8
	v_cmpx_lt_i32_e64 v3, v9
	s_cbranch_execz .LBB50_16
; %bb.18:                               ;   in Loop: Header=BB50_17 Depth=1
	v_lshlrev_b64 v[10:11], 3, v[1:2]
	s_mov_b32 s15, 0
	s_delay_alu instid0(VALU_DEP_1) | instskip(NEXT) | instid1(VALU_DEP_2)
	v_add_co_u32 v10, vcc_lo, s20, v10
	v_add_co_ci_u32_e32 v11, vcc_lo, s21, v11, vcc_lo
	global_load_b64 v[11:12], v[10:11], off
	s_waitcnt vmcnt(0)
	v_mul_f32_e64 v2, v12, -s3
	v_mul_f32_e32 v10, s13, v12
	s_delay_alu instid0(VALU_DEP_2) | instskip(NEXT) | instid1(VALU_DEP_2)
	v_fmac_f32_e32 v2, s13, v11
	v_fmac_f32_e32 v10, s3, v11
	s_branch .LBB50_20
.LBB50_19:                              ;   in Loop: Header=BB50_20 Depth=2
	s_or_b32 exec_lo, exec_lo, s16
	v_add_nc_u32_e32 v3, 64, v3
	s_delay_alu instid0(VALU_DEP_1) | instskip(SKIP_1) | instid1(SALU_CYCLE_1)
	v_cmp_ge_i32_e32 vcc_lo, v3, v9
	s_or_b32 s15, vcc_lo, s15
	s_and_not1_b32 exec_lo, exec_lo, s15
	s_cbranch_execz .LBB50_16
.LBB50_20:                              ;   Parent Loop BB50_17 Depth=1
                                        ; =>  This Loop Header: Depth=2
                                        ;       Child Loop BB50_22 Depth 3
	v_ashrrev_i32_e32 v4, 31, v3
	s_mov_b32 s16, 0
	s_delay_alu instid0(VALU_DEP_1) | instskip(SKIP_1) | instid1(VALU_DEP_2)
	v_lshlrev_b64 v[11:12], 2, v[3:4]
	v_lshlrev_b64 v[13:14], 3, v[3:4]
	v_add_co_u32 v11, vcc_lo, s4, v11
	s_delay_alu instid0(VALU_DEP_3)
	v_add_co_ci_u32_e32 v12, vcc_lo, s5, v12, vcc_lo
	global_load_b32 v4, v[11:12], off
	v_add_co_u32 v11, vcc_lo, s6, v13
	v_add_co_ci_u32_e32 v12, vcc_lo, s7, v14, vcc_lo
	global_load_b64 v[13:14], v[11:12], off
	s_waitcnt vmcnt(1)
	v_subrev_nc_u32_e32 v4, s37, v4
	s_delay_alu instid0(VALU_DEP_1) | instskip(SKIP_3) | instid1(VALU_DEP_2)
	v_mul_lo_u32 v15, 0x89, v4
	s_waitcnt vmcnt(0)
	v_mul_f32_e64 v11, v14, -v10
	v_mul_f32_e32 v12, v2, v14
	v_fmac_f32_e32 v11, v2, v13
	s_delay_alu instid0(VALU_DEP_2)
	v_dual_fmac_f32 v12, v10, v13 :: v_dual_and_b32 v13, 0xfff, v15
	s_branch .LBB50_22
.LBB50_21:                              ;   in Loop: Header=BB50_22 Depth=3
	s_or_b32 exec_lo, exec_lo, s17
	s_xor_b32 s17, s28, -1
	s_delay_alu instid0(SALU_CYCLE_1) | instskip(NEXT) | instid1(SALU_CYCLE_1)
	s_and_b32 s17, exec_lo, s17
	s_or_b32 s16, s17, s16
	s_delay_alu instid0(SALU_CYCLE_1)
	s_and_not1_b32 exec_lo, exec_lo, s16
	s_cbranch_execz .LBB50_19
.LBB50_22:                              ;   Parent Loop BB50_17 Depth=1
                                        ;     Parent Loop BB50_20 Depth=2
                                        ; =>    This Inner Loop Header: Depth=3
	s_delay_alu instid0(VALU_DEP_1)
	v_lshl_add_u32 v14, v13, 2, 0
	s_mov_b32 s17, exec_lo
                                        ; implicit-def: $sgpr28
	ds_load_b32 v15, v14
	s_waitcnt lgkmcnt(0)
	v_cmpx_ne_u32_e64 v15, v4
	s_xor_b32 s17, exec_lo, s17
	s_cbranch_execz .LBB50_30
; %bb.23:                               ;   in Loop: Header=BB50_22 Depth=3
	s_mov_b32 s29, exec_lo
                                        ; implicit-def: $sgpr28
	v_cmpx_ne_u32_e64 s33, v15
	s_xor_b32 s29, exec_lo, s29
; %bb.24:                               ;   in Loop: Header=BB50_22 Depth=3
	v_add_nc_u32_e32 v13, 1, v13
	s_mov_b32 s28, -1
                                        ; implicit-def: $vgpr14
	s_delay_alu instid0(VALU_DEP_1)
	v_and_b32_e32 v13, 0xfff, v13
; %bb.25:                               ;   in Loop: Header=BB50_22 Depth=3
	s_and_not1_saveexec_b32 s29, s29
	s_cbranch_execz .LBB50_29
; %bb.26:                               ;   in Loop: Header=BB50_22 Depth=3
	v_mov_b32_e32 v15, s33
	s_mov_b32 s30, -1
	s_mov_b32 s31, exec_lo
	ds_cmpstore_rtn_b32 v15, v14, v4, v15
	s_waitcnt lgkmcnt(0)
	v_cmpx_eq_u32_e64 s33, v15
	s_cbranch_execz .LBB50_28
; %bb.27:                               ;   in Loop: Header=BB50_22 Depth=3
	v_lshl_add_u32 v14, v13, 2, v14
	s_xor_b32 s30, exec_lo, -1
	ds_add_f32 v14, v11 offset:16384
	ds_add_f32 v14, v12 offset:16388
.LBB50_28:                              ;   in Loop: Header=BB50_22 Depth=3
	s_or_b32 exec_lo, exec_lo, s31
	s_delay_alu instid0(SALU_CYCLE_1) | instskip(SKIP_1) | instid1(SALU_CYCLE_1)
	s_and_not1_b32 s28, s28, exec_lo
	s_and_b32 s30, s30, exec_lo
	s_or_b32 s28, s28, s30
.LBB50_29:                              ;   in Loop: Header=BB50_22 Depth=3
	s_or_b32 exec_lo, exec_lo, s29
	s_delay_alu instid0(SALU_CYCLE_1)
	s_and_b32 s28, s28, exec_lo
                                        ; implicit-def: $vgpr14
.LBB50_30:                              ;   in Loop: Header=BB50_22 Depth=3
	s_and_not1_saveexec_b32 s17, s17
	s_cbranch_execz .LBB50_21
; %bb.31:                               ;   in Loop: Header=BB50_22 Depth=3
	v_lshl_add_u32 v14, v13, 2, v14
	s_and_not1_b32 s28, s28, exec_lo
	ds_add_f32 v14, v11 offset:16384
	ds_add_f32 v14, v12 offset:16388
	s_branch .LBB50_21
.LBB50_32:
	s_or_b32 exec_lo, exec_lo, s1
.LBB50_33:
	s_delay_alu instid0(SALU_CYCLE_1)
	s_and_not1_b32 vcc_lo, exec_lo, s14
	s_cbranch_vccnz .LBB50_50
; %bb.34:
	s_waitcnt lgkmcnt(0)
	s_ashr_i32 s43, s42, 31
	v_subrev_nc_u32_e32 v1, s39, v0
	s_lshl_b64 s[0:1], s[42:43], 2
	s_delay_alu instid0(SALU_CYCLE_1)
	s_add_u32 s0, s10, s0
	s_addc_u32 s1, s11, s1
	s_load_b64 s[0:1], s[0:1], 0x0
	s_waitcnt lgkmcnt(0)
	v_add_nc_u32_e32 v1, s0, v1
	s_sub_i32 s0, s1, s39
	s_mov_b32 s1, exec_lo
	s_delay_alu instid0(VALU_DEP_1)
	v_cmpx_gt_i32_e64 s0, v1
	s_cbranch_execz .LBB50_49
; %bb.35:
	s_mov_b32 s3, 0
	s_branch .LBB50_37
.LBB50_36:                              ;   in Loop: Header=BB50_37 Depth=1
	s_or_b32 exec_lo, exec_lo, s4
	v_add_nc_u32_e32 v1, 0x400, v1
	s_delay_alu instid0(VALU_DEP_1) | instskip(SKIP_1) | instid1(SALU_CYCLE_1)
	v_cmp_le_i32_e32 vcc_lo, s0, v1
	s_or_b32 s3, vcc_lo, s3
	s_and_not1_b32 exec_lo, exec_lo, s3
	s_cbranch_execz .LBB50_49
.LBB50_37:                              ; =>This Loop Header: Depth=1
                                        ;     Child Loop BB50_39 Depth 2
	v_ashrrev_i32_e32 v2, 31, v1
	s_mov_b32 s4, 0
	s_delay_alu instid0(VALU_DEP_1) | instskip(SKIP_1) | instid1(VALU_DEP_2)
	v_lshlrev_b64 v[3:4], 2, v[1:2]
	v_lshlrev_b64 v[8:9], 3, v[1:2]
	v_add_co_u32 v3, vcc_lo, s24, v3
	s_delay_alu instid0(VALU_DEP_3) | instskip(NEXT) | instid1(VALU_DEP_3)
	v_add_co_ci_u32_e32 v4, vcc_lo, s25, v4, vcc_lo
	v_add_co_u32 v2, vcc_lo, s26, v8
	global_load_b32 v4, v[3:4], off
	v_add_co_ci_u32_e32 v3, vcc_lo, s27, v9, vcc_lo
	global_load_b64 v[8:9], v[2:3], off
	s_waitcnt vmcnt(1)
	v_subrev_nc_u32_e32 v2, s39, v4
	s_delay_alu instid0(VALU_DEP_1) | instskip(SKIP_2) | instid1(VALU_DEP_1)
	v_mul_lo_u32 v10, 0x89, v2
	s_waitcnt vmcnt(0)
	v_mul_f32_e64 v3, v9, -s12
	v_dual_mul_f32 v4, s2, v9 :: v_dual_fmac_f32 v3, s2, v8
	s_delay_alu instid0(VALU_DEP_1) | instskip(NEXT) | instid1(VALU_DEP_4)
	v_fmac_f32_e32 v4, s12, v8
	v_and_b32_e32 v8, 0xfff, v10
	s_branch .LBB50_39
.LBB50_38:                              ;   in Loop: Header=BB50_39 Depth=2
	s_or_b32 exec_lo, exec_lo, s5
	s_xor_b32 s5, s6, -1
	s_delay_alu instid0(SALU_CYCLE_1) | instskip(NEXT) | instid1(SALU_CYCLE_1)
	s_and_b32 s5, exec_lo, s5
	s_or_b32 s4, s5, s4
	s_delay_alu instid0(SALU_CYCLE_1)
	s_and_not1_b32 exec_lo, exec_lo, s4
	s_cbranch_execz .LBB50_36
.LBB50_39:                              ;   Parent Loop BB50_37 Depth=1
                                        ; =>  This Inner Loop Header: Depth=2
	s_delay_alu instid0(VALU_DEP_1)
	v_lshl_add_u32 v9, v8, 2, 0
	s_mov_b32 s5, exec_lo
                                        ; implicit-def: $sgpr6
	ds_load_b32 v10, v9
	s_waitcnt lgkmcnt(0)
	v_cmpx_ne_u32_e64 v10, v2
	s_xor_b32 s5, exec_lo, s5
	s_cbranch_execz .LBB50_47
; %bb.40:                               ;   in Loop: Header=BB50_39 Depth=2
	s_mov_b32 s7, exec_lo
                                        ; implicit-def: $sgpr6
	v_cmpx_ne_u32_e64 s33, v10
	s_xor_b32 s7, exec_lo, s7
; %bb.41:                               ;   in Loop: Header=BB50_39 Depth=2
	v_add_nc_u32_e32 v8, 1, v8
	s_mov_b32 s6, -1
                                        ; implicit-def: $vgpr9
	s_delay_alu instid0(VALU_DEP_1)
	v_and_b32_e32 v8, 0xfff, v8
; %bb.42:                               ;   in Loop: Header=BB50_39 Depth=2
	s_and_not1_saveexec_b32 s7, s7
	s_cbranch_execz .LBB50_46
; %bb.43:                               ;   in Loop: Header=BB50_39 Depth=2
	v_mov_b32_e32 v10, s33
	s_mov_b32 s8, -1
	s_mov_b32 s9, exec_lo
	ds_cmpstore_rtn_b32 v10, v9, v2, v10
	s_waitcnt lgkmcnt(0)
	v_cmpx_eq_u32_e64 s33, v10
	s_cbranch_execz .LBB50_45
; %bb.44:                               ;   in Loop: Header=BB50_39 Depth=2
	v_lshl_add_u32 v9, v8, 2, v9
	s_xor_b32 s8, exec_lo, -1
	ds_add_f32 v9, v3 offset:16384
	ds_add_f32 v9, v4 offset:16388
.LBB50_45:                              ;   in Loop: Header=BB50_39 Depth=2
	s_or_b32 exec_lo, exec_lo, s9
	s_delay_alu instid0(SALU_CYCLE_1) | instskip(SKIP_1) | instid1(SALU_CYCLE_1)
	s_and_not1_b32 s6, s6, exec_lo
	s_and_b32 s8, s8, exec_lo
	s_or_b32 s6, s6, s8
.LBB50_46:                              ;   in Loop: Header=BB50_39 Depth=2
	s_or_b32 exec_lo, exec_lo, s7
	s_delay_alu instid0(SALU_CYCLE_1)
	s_and_b32 s6, s6, exec_lo
                                        ; implicit-def: $vgpr9
.LBB50_47:                              ;   in Loop: Header=BB50_39 Depth=2
	s_and_not1_saveexec_b32 s5, s5
	s_cbranch_execz .LBB50_38
; %bb.48:                               ;   in Loop: Header=BB50_39 Depth=2
	v_lshl_add_u32 v9, v8, 2, v9
	s_and_not1_b32 s6, s6, exec_lo
	ds_add_f32 v9, v3 offset:16384
	ds_add_f32 v9, v4 offset:16388
	s_branch .LBB50_38
.LBB50_49:
	s_or_b32 exec_lo, exec_lo, s1
.LBB50_50:
	v_mbcnt_lo_u32_b32 v1, -1, 0
	v_lshrrev_b32_e32 v2, 3, v0
	v_cmp_eq_u32_e32 vcc_lo, 0x3ff, v0
	v_cmp_lt_u32_e64 s0, 31, v0
	v_cmp_lt_u32_e64 s1, 63, v0
	v_xor_b32_e32 v1, 63, v1
	v_dual_mov_b32 v8, 0 :: v_dual_and_b32 v3, 0x7c, v2
	v_cmp_lt_u32_e64 s2, 0x5f, v0
	v_cmp_lt_u32_e64 s3, 0x7f, v0
	s_delay_alu instid0(VALU_DEP_4) | instskip(NEXT) | instid1(VALU_DEP_4)
	v_lshrrev_b64 v[1:2], v1, -1
	v_dual_mov_b32 v9, 0 :: v_dual_add_nc_u32 v4, 0, v3
	v_cmp_lt_u32_e64 s4, 0x9f, v0
	v_cmp_lt_u32_e64 s5, 0xbf, v0
	;; [unrolled: 1-line block ×27, first 2 shown]
	s_mov_b32 s36, 0
	s_waitcnt lgkmcnt(0)
	s_barrier
	buffer_gl0_inv
	s_branch .LBB50_52
.LBB50_51:                              ;   in Loop: Header=BB50_52 Depth=1
	s_or_b32 exec_lo, exec_lo, s31
	s_waitcnt lgkmcnt(0)
	s_barrier
	buffer_gl0_inv
	ds_load_b32 v2, v8 offset:49276
	v_add_nc_u32_e32 v6, 0x400, v6
	v_add_nc_u32_e32 v7, 0x2000, v7
	v_add_nc_u32_e32 v5, 0x1000, v5
	s_delay_alu instid0(VALU_DEP_3) | instskip(NEXT) | instid1(VALU_DEP_1)
	v_cmp_lt_u32_e64 s31, 0xbff, v6
	s_or_b32 s36, s31, s36
	s_waitcnt lgkmcnt(0)
	v_add_nc_u32_e32 v9, v2, v9
	s_and_not1_b32 exec_lo, exec_lo, s36
	s_cbranch_execz .LBB50_118
.LBB50_52:                              ; =>This Inner Loop Header: Depth=1
	ds_load_b32 v10, v5
	ds_load_2addr_b32 v[2:3], v7 offset1:1
	s_waitcnt lgkmcnt(0)
	s_barrier
	buffer_gl0_inv
	v_cmp_gt_i32_e64 s31, s33, v10
	s_delay_alu instid0(VALU_DEP_1) | instskip(NEXT) | instid1(SALU_CYCLE_1)
	s_bcnt1_i32_b32 s37, s31
	v_dual_mov_b32 v12, s37 :: v_dual_and_b32 v11, s31, v1
	s_delay_alu instid0(VALU_DEP_1)
	v_bcnt_u32_b32 v11, v11, 0
	ds_store_b32 v4, v12 offset:49152
	s_waitcnt lgkmcnt(0)
	s_barrier
	buffer_gl0_inv
	s_and_saveexec_b32 s37, s0
	s_cbranch_execnz .LBB50_85
; %bb.53:                               ;   in Loop: Header=BB50_52 Depth=1
	s_or_b32 exec_lo, exec_lo, s37
	s_and_saveexec_b32 s37, s1
	s_cbranch_execnz .LBB50_86
.LBB50_54:                              ;   in Loop: Header=BB50_52 Depth=1
	s_or_b32 exec_lo, exec_lo, s37
	s_and_saveexec_b32 s37, s2
	s_cbranch_execnz .LBB50_87
.LBB50_55:                              ;   in Loop: Header=BB50_52 Depth=1
	s_or_b32 exec_lo, exec_lo, s37
	s_and_saveexec_b32 s37, s3
	s_cbranch_execnz .LBB50_88
.LBB50_56:                              ;   in Loop: Header=BB50_52 Depth=1
	s_or_b32 exec_lo, exec_lo, s37
	s_and_saveexec_b32 s37, s4
	s_cbranch_execnz .LBB50_89
.LBB50_57:                              ;   in Loop: Header=BB50_52 Depth=1
	s_or_b32 exec_lo, exec_lo, s37
	s_and_saveexec_b32 s37, s5
	s_cbranch_execnz .LBB50_90
.LBB50_58:                              ;   in Loop: Header=BB50_52 Depth=1
	s_or_b32 exec_lo, exec_lo, s37
	s_and_saveexec_b32 s37, s6
	s_cbranch_execnz .LBB50_91
.LBB50_59:                              ;   in Loop: Header=BB50_52 Depth=1
	s_or_b32 exec_lo, exec_lo, s37
	s_and_saveexec_b32 s37, s7
	s_cbranch_execnz .LBB50_92
.LBB50_60:                              ;   in Loop: Header=BB50_52 Depth=1
	s_or_b32 exec_lo, exec_lo, s37
	s_and_saveexec_b32 s37, s8
	s_cbranch_execnz .LBB50_93
.LBB50_61:                              ;   in Loop: Header=BB50_52 Depth=1
	s_or_b32 exec_lo, exec_lo, s37
	s_and_saveexec_b32 s37, s9
	s_cbranch_execnz .LBB50_94
.LBB50_62:                              ;   in Loop: Header=BB50_52 Depth=1
	s_or_b32 exec_lo, exec_lo, s37
	s_and_saveexec_b32 s37, s10
	s_cbranch_execnz .LBB50_95
.LBB50_63:                              ;   in Loop: Header=BB50_52 Depth=1
	s_or_b32 exec_lo, exec_lo, s37
	s_and_saveexec_b32 s37, s11
	s_cbranch_execnz .LBB50_96
.LBB50_64:                              ;   in Loop: Header=BB50_52 Depth=1
	s_or_b32 exec_lo, exec_lo, s37
	s_and_saveexec_b32 s37, s12
	s_cbranch_execnz .LBB50_97
.LBB50_65:                              ;   in Loop: Header=BB50_52 Depth=1
	s_or_b32 exec_lo, exec_lo, s37
	s_and_saveexec_b32 s37, s13
	s_cbranch_execnz .LBB50_98
.LBB50_66:                              ;   in Loop: Header=BB50_52 Depth=1
	s_or_b32 exec_lo, exec_lo, s37
	s_and_saveexec_b32 s37, s14
	s_cbranch_execnz .LBB50_99
.LBB50_67:                              ;   in Loop: Header=BB50_52 Depth=1
	s_or_b32 exec_lo, exec_lo, s37
	s_and_saveexec_b32 s37, s15
	s_cbranch_execnz .LBB50_100
.LBB50_68:                              ;   in Loop: Header=BB50_52 Depth=1
	s_or_b32 exec_lo, exec_lo, s37
	s_and_saveexec_b32 s37, s16
	s_cbranch_execnz .LBB50_101
.LBB50_69:                              ;   in Loop: Header=BB50_52 Depth=1
	s_or_b32 exec_lo, exec_lo, s37
	s_and_saveexec_b32 s37, s17
	s_cbranch_execnz .LBB50_102
.LBB50_70:                              ;   in Loop: Header=BB50_52 Depth=1
	s_or_b32 exec_lo, exec_lo, s37
	s_and_saveexec_b32 s37, s18
	s_cbranch_execnz .LBB50_103
.LBB50_71:                              ;   in Loop: Header=BB50_52 Depth=1
	s_or_b32 exec_lo, exec_lo, s37
	s_and_saveexec_b32 s37, s19
	s_cbranch_execnz .LBB50_104
.LBB50_72:                              ;   in Loop: Header=BB50_52 Depth=1
	s_or_b32 exec_lo, exec_lo, s37
	s_and_saveexec_b32 s37, s20
	s_cbranch_execnz .LBB50_105
.LBB50_73:                              ;   in Loop: Header=BB50_52 Depth=1
	s_or_b32 exec_lo, exec_lo, s37
	s_and_saveexec_b32 s37, s21
	s_cbranch_execnz .LBB50_106
.LBB50_74:                              ;   in Loop: Header=BB50_52 Depth=1
	s_or_b32 exec_lo, exec_lo, s37
	s_and_saveexec_b32 s37, s22
	s_cbranch_execnz .LBB50_107
.LBB50_75:                              ;   in Loop: Header=BB50_52 Depth=1
	s_or_b32 exec_lo, exec_lo, s37
	s_and_saveexec_b32 s37, s23
	s_cbranch_execnz .LBB50_108
.LBB50_76:                              ;   in Loop: Header=BB50_52 Depth=1
	s_or_b32 exec_lo, exec_lo, s37
	s_and_saveexec_b32 s37, s24
	s_cbranch_execnz .LBB50_109
.LBB50_77:                              ;   in Loop: Header=BB50_52 Depth=1
	s_or_b32 exec_lo, exec_lo, s37
	s_and_saveexec_b32 s37, s25
	s_cbranch_execnz .LBB50_110
.LBB50_78:                              ;   in Loop: Header=BB50_52 Depth=1
	s_or_b32 exec_lo, exec_lo, s37
	s_and_saveexec_b32 s37, s26
	s_cbranch_execnz .LBB50_111
.LBB50_79:                              ;   in Loop: Header=BB50_52 Depth=1
	s_or_b32 exec_lo, exec_lo, s37
	s_and_saveexec_b32 s37, s27
	s_cbranch_execnz .LBB50_112
.LBB50_80:                              ;   in Loop: Header=BB50_52 Depth=1
	s_or_b32 exec_lo, exec_lo, s37
	s_and_saveexec_b32 s37, s28
	s_cbranch_execnz .LBB50_113
.LBB50_81:                              ;   in Loop: Header=BB50_52 Depth=1
	s_or_b32 exec_lo, exec_lo, s37
	s_and_saveexec_b32 s37, s29
	s_cbranch_execnz .LBB50_114
.LBB50_82:                              ;   in Loop: Header=BB50_52 Depth=1
	s_or_b32 exec_lo, exec_lo, s37
	s_and_saveexec_b32 s37, s30
	s_cbranch_execnz .LBB50_115
.LBB50_83:                              ;   in Loop: Header=BB50_52 Depth=1
	s_or_b32 exec_lo, exec_lo, s37
	s_and_saveexec_b32 s37, s31
	s_cbranch_execnz .LBB50_116
.LBB50_84:                              ;   in Loop: Header=BB50_52 Depth=1
	s_or_b32 exec_lo, exec_lo, s37
	s_and_saveexec_b32 s31, vcc_lo
	s_cbranch_execz .LBB50_51
	s_branch .LBB50_117
.LBB50_85:                              ;   in Loop: Header=BB50_52 Depth=1
	ds_load_b32 v12, v8 offset:49152
	s_waitcnt lgkmcnt(0)
	v_add_nc_u32_e32 v11, v12, v11
	s_or_b32 exec_lo, exec_lo, s37
	s_and_saveexec_b32 s37, s1
	s_cbranch_execz .LBB50_54
.LBB50_86:                              ;   in Loop: Header=BB50_52 Depth=1
	ds_load_b32 v12, v8 offset:49156
	s_waitcnt lgkmcnt(0)
	v_add_nc_u32_e32 v11, v12, v11
	s_or_b32 exec_lo, exec_lo, s37
	s_and_saveexec_b32 s37, s2
	s_cbranch_execz .LBB50_55
.LBB50_87:                              ;   in Loop: Header=BB50_52 Depth=1
	ds_load_b32 v12, v8 offset:49160
	s_waitcnt lgkmcnt(0)
	v_add_nc_u32_e32 v11, v12, v11
	s_or_b32 exec_lo, exec_lo, s37
	s_and_saveexec_b32 s37, s3
	s_cbranch_execz .LBB50_56
.LBB50_88:                              ;   in Loop: Header=BB50_52 Depth=1
	ds_load_b32 v12, v8 offset:49164
	s_waitcnt lgkmcnt(0)
	v_add_nc_u32_e32 v11, v12, v11
	s_or_b32 exec_lo, exec_lo, s37
	s_and_saveexec_b32 s37, s4
	s_cbranch_execz .LBB50_57
.LBB50_89:                              ;   in Loop: Header=BB50_52 Depth=1
	ds_load_b32 v12, v8 offset:49168
	s_waitcnt lgkmcnt(0)
	v_add_nc_u32_e32 v11, v12, v11
	s_or_b32 exec_lo, exec_lo, s37
	s_and_saveexec_b32 s37, s5
	s_cbranch_execz .LBB50_58
.LBB50_90:                              ;   in Loop: Header=BB50_52 Depth=1
	ds_load_b32 v12, v8 offset:49172
	s_waitcnt lgkmcnt(0)
	v_add_nc_u32_e32 v11, v12, v11
	s_or_b32 exec_lo, exec_lo, s37
	s_and_saveexec_b32 s37, s6
	s_cbranch_execz .LBB50_59
.LBB50_91:                              ;   in Loop: Header=BB50_52 Depth=1
	ds_load_b32 v12, v8 offset:49176
	s_waitcnt lgkmcnt(0)
	v_add_nc_u32_e32 v11, v12, v11
	s_or_b32 exec_lo, exec_lo, s37
	s_and_saveexec_b32 s37, s7
	s_cbranch_execz .LBB50_60
.LBB50_92:                              ;   in Loop: Header=BB50_52 Depth=1
	ds_load_b32 v12, v8 offset:49180
	s_waitcnt lgkmcnt(0)
	v_add_nc_u32_e32 v11, v12, v11
	s_or_b32 exec_lo, exec_lo, s37
	s_and_saveexec_b32 s37, s8
	s_cbranch_execz .LBB50_61
.LBB50_93:                              ;   in Loop: Header=BB50_52 Depth=1
	ds_load_b32 v12, v8 offset:49184
	s_waitcnt lgkmcnt(0)
	v_add_nc_u32_e32 v11, v12, v11
	s_or_b32 exec_lo, exec_lo, s37
	s_and_saveexec_b32 s37, s9
	s_cbranch_execz .LBB50_62
.LBB50_94:                              ;   in Loop: Header=BB50_52 Depth=1
	ds_load_b32 v12, v8 offset:49188
	s_waitcnt lgkmcnt(0)
	v_add_nc_u32_e32 v11, v12, v11
	s_or_b32 exec_lo, exec_lo, s37
	s_and_saveexec_b32 s37, s10
	s_cbranch_execz .LBB50_63
.LBB50_95:                              ;   in Loop: Header=BB50_52 Depth=1
	ds_load_b32 v12, v8 offset:49192
	s_waitcnt lgkmcnt(0)
	v_add_nc_u32_e32 v11, v12, v11
	s_or_b32 exec_lo, exec_lo, s37
	s_and_saveexec_b32 s37, s11
	s_cbranch_execz .LBB50_64
.LBB50_96:                              ;   in Loop: Header=BB50_52 Depth=1
	ds_load_b32 v12, v8 offset:49196
	s_waitcnt lgkmcnt(0)
	v_add_nc_u32_e32 v11, v12, v11
	s_or_b32 exec_lo, exec_lo, s37
	s_and_saveexec_b32 s37, s12
	s_cbranch_execz .LBB50_65
.LBB50_97:                              ;   in Loop: Header=BB50_52 Depth=1
	ds_load_b32 v12, v8 offset:49200
	s_waitcnt lgkmcnt(0)
	v_add_nc_u32_e32 v11, v12, v11
	s_or_b32 exec_lo, exec_lo, s37
	s_and_saveexec_b32 s37, s13
	s_cbranch_execz .LBB50_66
.LBB50_98:                              ;   in Loop: Header=BB50_52 Depth=1
	ds_load_b32 v12, v8 offset:49204
	s_waitcnt lgkmcnt(0)
	v_add_nc_u32_e32 v11, v12, v11
	s_or_b32 exec_lo, exec_lo, s37
	s_and_saveexec_b32 s37, s14
	s_cbranch_execz .LBB50_67
.LBB50_99:                              ;   in Loop: Header=BB50_52 Depth=1
	ds_load_b32 v12, v8 offset:49208
	s_waitcnt lgkmcnt(0)
	v_add_nc_u32_e32 v11, v12, v11
	s_or_b32 exec_lo, exec_lo, s37
	s_and_saveexec_b32 s37, s15
	s_cbranch_execz .LBB50_68
.LBB50_100:                             ;   in Loop: Header=BB50_52 Depth=1
	ds_load_b32 v12, v8 offset:49212
	s_waitcnt lgkmcnt(0)
	v_add_nc_u32_e32 v11, v12, v11
	s_or_b32 exec_lo, exec_lo, s37
	s_and_saveexec_b32 s37, s16
	s_cbranch_execz .LBB50_69
.LBB50_101:                             ;   in Loop: Header=BB50_52 Depth=1
	ds_load_b32 v12, v8 offset:49216
	s_waitcnt lgkmcnt(0)
	v_add_nc_u32_e32 v11, v12, v11
	s_or_b32 exec_lo, exec_lo, s37
	s_and_saveexec_b32 s37, s17
	s_cbranch_execz .LBB50_70
.LBB50_102:                             ;   in Loop: Header=BB50_52 Depth=1
	ds_load_b32 v12, v8 offset:49220
	s_waitcnt lgkmcnt(0)
	v_add_nc_u32_e32 v11, v12, v11
	s_or_b32 exec_lo, exec_lo, s37
	s_and_saveexec_b32 s37, s18
	s_cbranch_execz .LBB50_71
.LBB50_103:                             ;   in Loop: Header=BB50_52 Depth=1
	ds_load_b32 v12, v8 offset:49224
	s_waitcnt lgkmcnt(0)
	v_add_nc_u32_e32 v11, v12, v11
	s_or_b32 exec_lo, exec_lo, s37
	s_and_saveexec_b32 s37, s19
	s_cbranch_execz .LBB50_72
.LBB50_104:                             ;   in Loop: Header=BB50_52 Depth=1
	ds_load_b32 v12, v8 offset:49228
	s_waitcnt lgkmcnt(0)
	v_add_nc_u32_e32 v11, v12, v11
	s_or_b32 exec_lo, exec_lo, s37
	s_and_saveexec_b32 s37, s20
	s_cbranch_execz .LBB50_73
.LBB50_105:                             ;   in Loop: Header=BB50_52 Depth=1
	ds_load_b32 v12, v8 offset:49232
	s_waitcnt lgkmcnt(0)
	v_add_nc_u32_e32 v11, v12, v11
	s_or_b32 exec_lo, exec_lo, s37
	s_and_saveexec_b32 s37, s21
	s_cbranch_execz .LBB50_74
.LBB50_106:                             ;   in Loop: Header=BB50_52 Depth=1
	ds_load_b32 v12, v8 offset:49236
	s_waitcnt lgkmcnt(0)
	v_add_nc_u32_e32 v11, v12, v11
	s_or_b32 exec_lo, exec_lo, s37
	s_and_saveexec_b32 s37, s22
	s_cbranch_execz .LBB50_75
.LBB50_107:                             ;   in Loop: Header=BB50_52 Depth=1
	ds_load_b32 v12, v8 offset:49240
	s_waitcnt lgkmcnt(0)
	v_add_nc_u32_e32 v11, v12, v11
	s_or_b32 exec_lo, exec_lo, s37
	s_and_saveexec_b32 s37, s23
	s_cbranch_execz .LBB50_76
.LBB50_108:                             ;   in Loop: Header=BB50_52 Depth=1
	ds_load_b32 v12, v8 offset:49244
	s_waitcnt lgkmcnt(0)
	v_add_nc_u32_e32 v11, v12, v11
	s_or_b32 exec_lo, exec_lo, s37
	s_and_saveexec_b32 s37, s24
	s_cbranch_execz .LBB50_77
.LBB50_109:                             ;   in Loop: Header=BB50_52 Depth=1
	ds_load_b32 v12, v8 offset:49248
	s_waitcnt lgkmcnt(0)
	v_add_nc_u32_e32 v11, v12, v11
	s_or_b32 exec_lo, exec_lo, s37
	s_and_saveexec_b32 s37, s25
	s_cbranch_execz .LBB50_78
.LBB50_110:                             ;   in Loop: Header=BB50_52 Depth=1
	ds_load_b32 v12, v8 offset:49252
	s_waitcnt lgkmcnt(0)
	v_add_nc_u32_e32 v11, v12, v11
	s_or_b32 exec_lo, exec_lo, s37
	s_and_saveexec_b32 s37, s26
	s_cbranch_execz .LBB50_79
.LBB50_111:                             ;   in Loop: Header=BB50_52 Depth=1
	ds_load_b32 v12, v8 offset:49256
	s_waitcnt lgkmcnt(0)
	v_add_nc_u32_e32 v11, v12, v11
	s_or_b32 exec_lo, exec_lo, s37
	s_and_saveexec_b32 s37, s27
	s_cbranch_execz .LBB50_80
.LBB50_112:                             ;   in Loop: Header=BB50_52 Depth=1
	ds_load_b32 v12, v8 offset:49260
	s_waitcnt lgkmcnt(0)
	v_add_nc_u32_e32 v11, v12, v11
	s_or_b32 exec_lo, exec_lo, s37
	s_and_saveexec_b32 s37, s28
	s_cbranch_execz .LBB50_81
.LBB50_113:                             ;   in Loop: Header=BB50_52 Depth=1
	ds_load_b32 v12, v8 offset:49264
	s_waitcnt lgkmcnt(0)
	v_add_nc_u32_e32 v11, v12, v11
	s_or_b32 exec_lo, exec_lo, s37
	s_and_saveexec_b32 s37, s29
	s_cbranch_execz .LBB50_82
.LBB50_114:                             ;   in Loop: Header=BB50_52 Depth=1
	ds_load_b32 v12, v8 offset:49268
	s_waitcnt lgkmcnt(0)
	v_add_nc_u32_e32 v11, v12, v11
	s_or_b32 exec_lo, exec_lo, s37
	s_and_saveexec_b32 s37, s30
	s_cbranch_execz .LBB50_83
.LBB50_115:                             ;   in Loop: Header=BB50_52 Depth=1
	ds_load_b32 v12, v8 offset:49272
	s_waitcnt lgkmcnt(0)
	v_add_nc_u32_e32 v11, v12, v11
	s_or_b32 exec_lo, exec_lo, s37
	s_and_saveexec_b32 s37, s31
	s_cbranch_execz .LBB50_84
.LBB50_116:                             ;   in Loop: Header=BB50_52 Depth=1
	s_delay_alu instid0(VALU_DEP_1) | instskip(NEXT) | instid1(VALU_DEP_1)
	v_add3_u32 v12, v9, -1, v11
	v_lshlrev_b32_e32 v13, 3, v12
	v_lshl_add_u32 v12, v12, 2, 0
	s_delay_alu instid0(VALU_DEP_2)
	v_add3_u32 v13, 0, v13, 0x4000
	ds_store_b32 v12, v10
	ds_store_2addr_b32 v13, v2, v3 offset1:1
	s_or_b32 exec_lo, exec_lo, s37
	s_and_saveexec_b32 s31, vcc_lo
	s_cbranch_execz .LBB50_51
.LBB50_117:                             ;   in Loop: Header=BB50_52 Depth=1
	ds_store_b32 v8, v11 offset:49276
	s_branch .LBB50_51
.LBB50_118:
	s_or_b32 exec_lo, exec_lo, s36
	s_ashr_i32 s43, s42, 31
	s_mov_b32 s3, exec_lo
	s_lshl_b64 s[0:1], s[42:43], 2
	s_delay_alu instid0(SALU_CYCLE_1) | instskip(SKIP_4) | instid1(SALU_CYCLE_1)
	s_add_u32 s0, s40, s0
	s_addc_u32 s1, s41, s1
	s_load_b64 s[0:1], s[0:1], 0x0
	s_waitcnt lgkmcnt(0)
	s_sub_i32 s2, s1, s0
	v_cmpx_gt_i32_e64 s2, v0
	s_cbranch_execz .LBB50_128
; %bb.119:
	s_sub_i32 s3, s0, s38
	s_sub_i32 s0, s0, s1
	s_and_b32 s1, s2, 7
	s_cmp_lt_u32 s0, -7
	s_mov_b32 s7, 0
	s_cselect_b32 s4, -1, 0
	s_and_b32 s5, s2, -8
	s_cmp_lg_u32 s1, 0
	s_cselect_b32 s6, -1, 0
	s_branch .LBB50_121
.LBB50_120:                             ;   in Loop: Header=BB50_121 Depth=1
	s_waitcnt lgkmcnt(1)
	s_delay_alu instid0(VALU_DEP_1) | instskip(SKIP_1) | instid1(VALU_DEP_2)
	v_ashrrev_i32_e32 v4, 31, v3
	v_add_nc_u32_e32 v0, 0x400, v0
	v_lshlrev_b64 v[3:4], 3, v[3:4]
	s_delay_alu instid0(VALU_DEP_2) | instskip(SKIP_1) | instid1(VALU_DEP_2)
	v_cmp_le_i32_e32 vcc_lo, s2, v0
	s_or_b32 s7, vcc_lo, s7
	v_add_co_u32 v3, s0, s34, v3
	s_delay_alu instid0(VALU_DEP_1)
	v_add_co_ci_u32_e64 v4, s0, s35, v4, s0
	s_waitcnt lgkmcnt(0)
	global_store_b64 v[3:4], v[1:2], off
	s_and_not1_b32 exec_lo, exec_lo, s7
	s_cbranch_execz .LBB50_128
.LBB50_121:                             ; =>This Loop Header: Depth=1
                                        ;     Child Loop BB50_123 Depth 2
                                        ;     Child Loop BB50_127 Depth 2
	v_lshlrev_b32_e32 v1, 2, v0
	s_and_not1_b32 vcc_lo, exec_lo, s4
	s_mov_b32 s0, 0
	s_delay_alu instid0(VALU_DEP_1) | instskip(NEXT) | instid1(VALU_DEP_1)
	v_dual_mov_b32 v3, s3 :: v_dual_add_nc_u32 v2, 0, v1
	v_add3_u32 v1, v2, v1, 0x4000
	ds_load_b32 v4, v2
	ds_load_2addr_b32 v[1:2], v1 offset1:1
	s_cbranch_vccnz .LBB50_125
; %bb.122:                              ;   in Loop: Header=BB50_121 Depth=1
	v_mov_b32_e32 v3, s3
	s_mov_b32 s8, 0
	s_set_inst_prefetch_distance 0x1
	.p2align	6
.LBB50_123:                             ;   Parent Loop BB50_121 Depth=1
                                        ; =>  This Inner Loop Header: Depth=2
	v_mov_b32_e32 v11, s8
	s_add_i32 s0, s0, 8
	s_add_i32 s8, s8, 32
	s_cmp_eq_u32 s5, s0
	ds_load_2addr_b32 v[5:6], v11 offset1:1
	ds_load_2addr_b32 v[7:8], v11 offset0:2 offset1:3
	ds_load_2addr_b32 v[9:10], v11 offset0:4 offset1:5
	;; [unrolled: 1-line block ×3, first 2 shown]
	s_waitcnt lgkmcnt(3)
	v_cmp_gt_i32_e32 vcc_lo, v4, v5
	v_cndmask_b32_e64 v5, 0, 1, vcc_lo
	s_waitcnt lgkmcnt(2)
	v_cmp_gt_i32_e32 vcc_lo, v4, v7
	v_cndmask_b32_e64 v7, 0, 1, vcc_lo
	v_cmp_gt_i32_e32 vcc_lo, v4, v6
	v_add_co_ci_u32_e32 v3, vcc_lo, v3, v5, vcc_lo
	s_waitcnt lgkmcnt(1)
	v_cmp_gt_i32_e32 vcc_lo, v4, v9
	v_cndmask_b32_e64 v5, 0, 1, vcc_lo
	v_cmp_gt_i32_e32 vcc_lo, v4, v8
	v_add_co_ci_u32_e32 v3, vcc_lo, v3, v7, vcc_lo
	;; [unrolled: 5-line block ×3, first 2 shown]
	v_cmp_gt_i32_e32 vcc_lo, v4, v12
	s_delay_alu instid0(VALU_DEP_2)
	v_add_co_ci_u32_e32 v3, vcc_lo, v3, v6, vcc_lo
	s_cbranch_scc0 .LBB50_123
; %bb.124:                              ;   in Loop: Header=BB50_121 Depth=1
	s_set_inst_prefetch_distance 0x2
	s_mov_b32 s0, s5
.LBB50_125:                             ;   in Loop: Header=BB50_121 Depth=1
	s_and_not1_b32 vcc_lo, exec_lo, s6
	s_cbranch_vccnz .LBB50_120
; %bb.126:                              ;   in Loop: Header=BB50_121 Depth=1
	s_lshl_b32 s0, s0, 2
	s_mov_b32 s8, s1
	s_add_i32 s0, s0, 0
.LBB50_127:                             ;   Parent Loop BB50_121 Depth=1
                                        ; =>  This Inner Loop Header: Depth=2
	s_delay_alu instid0(SALU_CYCLE_1)
	v_mov_b32_e32 v5, s0
	s_add_i32 s8, s8, -1
	s_add_i32 s0, s0, 4
	s_cmp_lg_u32 s8, 0
	ds_load_b32 v5, v5
	s_waitcnt lgkmcnt(0)
	v_cmp_gt_i32_e32 vcc_lo, v4, v5
	v_add_co_ci_u32_e32 v3, vcc_lo, 0, v3, vcc_lo
	s_cbranch_scc1 .LBB50_127
	s_branch .LBB50_120
.LBB50_128:
	s_nop 0
	s_sendmsg sendmsg(MSG_DEALLOC_VGPRS)
	s_endpgm
	.section	.rodata,"a",@progbits
	.p2align	6, 0x0
	.amdhsa_kernel _ZN9rocsparseL41csrgemm_numeric_fill_block_per_row_kernelILj1024ELj64ELj4096ELj137ELj32Eii21rocsparse_complex_numIfEEEvT5_PKS3_S5_NS_24const_host_device_scalarIT6_EEPKT4_S5_PKS7_SB_S5_SD_S8_SB_S5_SD_SB_S5_PS7_21rocsparse_index_base_SF_SF_SF_bbb
		.amdhsa_group_segment_fixed_size 0
		.amdhsa_private_segment_fixed_size 0
		.amdhsa_kernarg_size 156
		.amdhsa_user_sgpr_count 15
		.amdhsa_user_sgpr_dispatch_ptr 0
		.amdhsa_user_sgpr_queue_ptr 0
		.amdhsa_user_sgpr_kernarg_segment_ptr 1
		.amdhsa_user_sgpr_dispatch_id 0
		.amdhsa_user_sgpr_private_segment_size 0
		.amdhsa_wavefront_size32 1
		.amdhsa_uses_dynamic_stack 0
		.amdhsa_enable_private_segment 0
		.amdhsa_system_sgpr_workgroup_id_x 1
		.amdhsa_system_sgpr_workgroup_id_y 0
		.amdhsa_system_sgpr_workgroup_id_z 0
		.amdhsa_system_sgpr_workgroup_info 0
		.amdhsa_system_vgpr_workitem_id 0
		.amdhsa_next_free_vgpr 16
		.amdhsa_next_free_sgpr 44
		.amdhsa_reserve_vcc 1
		.amdhsa_float_round_mode_32 0
		.amdhsa_float_round_mode_16_64 0
		.amdhsa_float_denorm_mode_32 3
		.amdhsa_float_denorm_mode_16_64 3
		.amdhsa_dx10_clamp 1
		.amdhsa_ieee_mode 1
		.amdhsa_fp16_overflow 0
		.amdhsa_workgroup_processor_mode 1
		.amdhsa_memory_ordered 1
		.amdhsa_forward_progress 0
		.amdhsa_shared_vgpr_count 0
		.amdhsa_exception_fp_ieee_invalid_op 0
		.amdhsa_exception_fp_denorm_src 0
		.amdhsa_exception_fp_ieee_div_zero 0
		.amdhsa_exception_fp_ieee_overflow 0
		.amdhsa_exception_fp_ieee_underflow 0
		.amdhsa_exception_fp_ieee_inexact 0
		.amdhsa_exception_int_div_zero 0
	.end_amdhsa_kernel
	.section	.text._ZN9rocsparseL41csrgemm_numeric_fill_block_per_row_kernelILj1024ELj64ELj4096ELj137ELj32Eii21rocsparse_complex_numIfEEEvT5_PKS3_S5_NS_24const_host_device_scalarIT6_EEPKT4_S5_PKS7_SB_S5_SD_S8_SB_S5_SD_SB_S5_PS7_21rocsparse_index_base_SF_SF_SF_bbb,"axG",@progbits,_ZN9rocsparseL41csrgemm_numeric_fill_block_per_row_kernelILj1024ELj64ELj4096ELj137ELj32Eii21rocsparse_complex_numIfEEEvT5_PKS3_S5_NS_24const_host_device_scalarIT6_EEPKT4_S5_PKS7_SB_S5_SD_S8_SB_S5_SD_SB_S5_PS7_21rocsparse_index_base_SF_SF_SF_bbb,comdat
.Lfunc_end50:
	.size	_ZN9rocsparseL41csrgemm_numeric_fill_block_per_row_kernelILj1024ELj64ELj4096ELj137ELj32Eii21rocsparse_complex_numIfEEEvT5_PKS3_S5_NS_24const_host_device_scalarIT6_EEPKT4_S5_PKS7_SB_S5_SD_S8_SB_S5_SD_SB_S5_PS7_21rocsparse_index_base_SF_SF_SF_bbb, .Lfunc_end50-_ZN9rocsparseL41csrgemm_numeric_fill_block_per_row_kernelILj1024ELj64ELj4096ELj137ELj32Eii21rocsparse_complex_numIfEEEvT5_PKS3_S5_NS_24const_host_device_scalarIT6_EEPKT4_S5_PKS7_SB_S5_SD_S8_SB_S5_SD_SB_S5_PS7_21rocsparse_index_base_SF_SF_SF_bbb
                                        ; -- End function
	.section	.AMDGPU.csdata,"",@progbits
; Kernel info:
; codeLenInByte = 4160
; NumSgprs: 46
; NumVgprs: 16
; ScratchSize: 0
; MemoryBound: 0
; FloatMode: 240
; IeeeMode: 1
; LDSByteSize: 0 bytes/workgroup (compile time only)
; SGPRBlocks: 5
; VGPRBlocks: 1
; NumSGPRsForWavesPerEU: 46
; NumVGPRsForWavesPerEU: 16
; Occupancy: 16
; WaveLimiterHint : 1
; COMPUTE_PGM_RSRC2:SCRATCH_EN: 0
; COMPUTE_PGM_RSRC2:USER_SGPR: 15
; COMPUTE_PGM_RSRC2:TRAP_HANDLER: 0
; COMPUTE_PGM_RSRC2:TGID_X_EN: 1
; COMPUTE_PGM_RSRC2:TGID_Y_EN: 0
; COMPUTE_PGM_RSRC2:TGID_Z_EN: 0
; COMPUTE_PGM_RSRC2:TIDIG_COMP_CNT: 0
	.section	.text._ZN9rocsparseL41csrgemm_numeric_fill_block_per_row_kernelILj1024ELj64ELj4096ELj137ELj64Eii21rocsparse_complex_numIfEEEvT5_PKS3_S5_NS_24const_host_device_scalarIT6_EEPKT4_S5_PKS7_SB_S5_SD_S8_SB_S5_SD_SB_S5_PS7_21rocsparse_index_base_SF_SF_SF_bbb,"axG",@progbits,_ZN9rocsparseL41csrgemm_numeric_fill_block_per_row_kernelILj1024ELj64ELj4096ELj137ELj64Eii21rocsparse_complex_numIfEEEvT5_PKS3_S5_NS_24const_host_device_scalarIT6_EEPKT4_S5_PKS7_SB_S5_SD_S8_SB_S5_SD_SB_S5_PS7_21rocsparse_index_base_SF_SF_SF_bbb,comdat
	.globl	_ZN9rocsparseL41csrgemm_numeric_fill_block_per_row_kernelILj1024ELj64ELj4096ELj137ELj64Eii21rocsparse_complex_numIfEEEvT5_PKS3_S5_NS_24const_host_device_scalarIT6_EEPKT4_S5_PKS7_SB_S5_SD_S8_SB_S5_SD_SB_S5_PS7_21rocsparse_index_base_SF_SF_SF_bbb ; -- Begin function _ZN9rocsparseL41csrgemm_numeric_fill_block_per_row_kernelILj1024ELj64ELj4096ELj137ELj64Eii21rocsparse_complex_numIfEEEvT5_PKS3_S5_NS_24const_host_device_scalarIT6_EEPKT4_S5_PKS7_SB_S5_SD_S8_SB_S5_SD_SB_S5_PS7_21rocsparse_index_base_SF_SF_SF_bbb
	.p2align	8
	.type	_ZN9rocsparseL41csrgemm_numeric_fill_block_per_row_kernelILj1024ELj64ELj4096ELj137ELj64Eii21rocsparse_complex_numIfEEEvT5_PKS3_S5_NS_24const_host_device_scalarIT6_EEPKT4_S5_PKS7_SB_S5_SD_S8_SB_S5_SD_SB_S5_PS7_21rocsparse_index_base_SF_SF_SF_bbb,@function
_ZN9rocsparseL41csrgemm_numeric_fill_block_per_row_kernelILj1024ELj64ELj4096ELj137ELj64Eii21rocsparse_complex_numIfEEEvT5_PKS3_S5_NS_24const_host_device_scalarIT6_EEPKT4_S5_PKS7_SB_S5_SD_S8_SB_S5_SD_SB_S5_PS7_21rocsparse_index_base_SF_SF_SF_bbb: ; @_ZN9rocsparseL41csrgemm_numeric_fill_block_per_row_kernelILj1024ELj64ELj4096ELj137ELj64Eii21rocsparse_complex_numIfEEEvT5_PKS3_S5_NS_24const_host_device_scalarIT6_EEPKT4_S5_PKS7_SB_S5_SD_S8_SB_S5_SD_SB_S5_PS7_21rocsparse_index_base_SF_SF_SF_bbb
; %bb.0:
	s_clause 0x7
	s_load_b32 s12, s[0:1], 0x98
	s_load_b64 s[40:41], s[0:1], 0x70
	s_load_b128 s[28:31], s[0:1], 0x60
	s_load_b256 s[4:11], s[0:1], 0x40
	s_load_b128 s[36:39], s[0:1], 0x8
	s_load_b256 s[16:23], s[0:1], 0x20
	s_load_b64 s[34:35], s[0:1], 0x80
	s_load_b128 s[24:27], s[0:1], 0x88
	s_mov_b32 s3, 0
	s_mov_b32 s13, 0
	s_waitcnt lgkmcnt(0)
	s_bitcmp1_b32 s12, 0
	s_cselect_b32 s42, -1, 0
	s_bitcmp1_b32 s12, 16
	s_cselect_b32 s2, -1, 0
	s_delay_alu instid0(SALU_CYCLE_1) | instskip(SKIP_2) | instid1(VALU_DEP_1)
	s_xor_b32 s14, s2, -1
	s_bitcmp0_b32 s12, 0
	v_cndmask_b32_e64 v1, 0, 1, s14
	v_cmp_ne_u32_e32 vcc_lo, 1, v1
	s_cbranch_scc1 .LBB51_5
; %bb.1:
	s_load_b64 s[2:3], s[0:1], 0x18
	s_and_b32 vcc_lo, exec_lo, vcc_lo
	s_waitcnt lgkmcnt(0)
	s_mov_b32 s13, s2
	s_cbranch_vccnz .LBB51_3
; %bb.2:
	s_load_b32 s13, s[2:3], 0x0
.LBB51_3:
	s_and_not1_b32 vcc_lo, exec_lo, s14
	s_cbranch_vccnz .LBB51_5
; %bb.4:
	s_load_b32 s3, s[2:3], 0x4
.LBB51_5:
	s_bitcmp1_b32 s12, 8
	s_cselect_b32 s14, -1, 0
	s_bfe_u32 s2, s12, 0x10008
	s_mov_b32 s12, 0
	s_cmp_eq_u32 s2, 0
	s_mov_b32 s2, 0
	s_cbranch_scc1 .LBB51_11
; %bb.6:
	v_cmp_ne_u32_e32 vcc_lo, 1, v1
	s_mov_b32 s2, s8
	s_cbranch_vccnz .LBB51_8
; %bb.7:
	s_load_b32 s2, s[8:9], 0x0
.LBB51_8:
	v_cmp_ne_u32_e32 vcc_lo, 1, v1
	s_cbranch_vccnz .LBB51_10
; %bb.9:
	s_load_b32 s9, s[8:9], 0x4
.LBB51_10:
	s_waitcnt lgkmcnt(0)
	s_mov_b32 s12, s9
.LBB51_11:
	s_load_b32 s33, s[0:1], 0x0
	v_lshl_add_u32 v5, v0, 2, 0
	v_lshlrev_b32_e32 v1, 3, v0
	v_or_b32_e32 v6, 0xfffffc00, v0
	s_mov_b32 s0, 0
	s_delay_alu instid0(VALU_DEP_3) | instskip(NEXT) | instid1(VALU_DEP_3)
	v_mov_b32_e32 v2, v5
	v_add3_u32 v7, v1, 0, 0x4000
	v_mov_b32_e32 v1, 0
	s_delay_alu instid0(VALU_DEP_2)
	v_dual_mov_b32 v3, v6 :: v_dual_mov_b32 v8, v7
	s_waitcnt lgkmcnt(0)
	v_mov_b32_e32 v4, s33
.LBB51_12:                              ; =>This Inner Loop Header: Depth=1
	s_delay_alu instid0(VALU_DEP_2)
	v_add_nc_u32_e32 v3, 0x400, v3
	ds_store_b32 v2, v4
	ds_store_2addr_b32 v8, v1, v1 offset1:1
	v_add_nc_u32_e32 v8, 0x2000, v8
	v_add_nc_u32_e32 v2, 0x1000, v2
	v_cmp_lt_u32_e32 vcc_lo, 0xbff, v3
	s_or_b32 s0, vcc_lo, s0
	s_delay_alu instid0(SALU_CYCLE_1)
	s_and_not1_b32 exec_lo, exec_lo, s0
	s_cbranch_execnz .LBB51_12
; %bb.13:
	s_or_b32 exec_lo, exec_lo, s0
	s_waitcnt lgkmcnt(0)
	s_barrier
	buffer_gl0_inv
	s_load_b32 s0, s[36:37], 0x0
	s_mov_b32 s1, 0
	v_lshrrev_b32_e32 v8, 6, v0
	s_waitcnt lgkmcnt(0)
	s_add_i32 s0, s0, s15
	s_delay_alu instid0(SALU_CYCLE_1) | instskip(NEXT) | instid1(SALU_CYCLE_1)
	s_lshl_b64 s[0:1], s[0:1], 2
	s_add_u32 s0, s38, s0
	s_addc_u32 s1, s39, s1
	s_and_b32 vcc_lo, exec_lo, s42
	s_load_b32 s36, s[0:1], 0x0
	s_cbranch_vccz .LBB51_33
; %bb.14:
	s_waitcnt lgkmcnt(0)
	s_ashr_i32 s37, s36, 31
	v_subrev_nc_u32_e32 v1, s24, v8
	s_lshl_b64 s[0:1], s[36:37], 2
	s_delay_alu instid0(SALU_CYCLE_1)
	s_add_u32 s0, s16, s0
	s_addc_u32 s1, s17, s1
	s_load_b64 s[0:1], s[0:1], 0x0
	s_waitcnt lgkmcnt(0)
	v_add_nc_u32_e32 v1, s0, v1
	s_sub_i32 s0, s1, s24
	s_mov_b32 s1, exec_lo
	s_delay_alu instid0(VALU_DEP_1)
	v_cmpx_gt_i32_e64 s0, v1
	s_cbranch_execz .LBB51_32
; %bb.15:
	v_and_b32_e32 v2, 63, v0
	s_mov_b32 s8, 0
	s_delay_alu instid0(VALU_DEP_1)
	v_subrev_nc_u32_e32 v9, s25, v2
	s_branch .LBB51_17
.LBB51_16:                              ;   in Loop: Header=BB51_17 Depth=1
	s_or_b32 exec_lo, exec_lo, s9
	v_add_nc_u32_e32 v1, 16, v1
	s_delay_alu instid0(VALU_DEP_1) | instskip(SKIP_1) | instid1(SALU_CYCLE_1)
	v_cmp_le_i32_e32 vcc_lo, s0, v1
	s_or_b32 s8, vcc_lo, s8
	s_and_not1_b32 exec_lo, exec_lo, s8
	s_cbranch_execz .LBB51_32
.LBB51_17:                              ; =>This Loop Header: Depth=1
                                        ;     Child Loop BB51_20 Depth 2
                                        ;       Child Loop BB51_22 Depth 3
	v_ashrrev_i32_e32 v2, 31, v1
	s_mov_b32 s9, exec_lo
	s_delay_alu instid0(VALU_DEP_1) | instskip(NEXT) | instid1(VALU_DEP_1)
	v_lshlrev_b64 v[3:4], 2, v[1:2]
	v_add_co_u32 v3, vcc_lo, s18, v3
	s_delay_alu instid0(VALU_DEP_2) | instskip(SKIP_3) | instid1(VALU_DEP_1)
	v_add_co_ci_u32_e32 v4, vcc_lo, s19, v4, vcc_lo
	global_load_b32 v3, v[3:4], off
	s_waitcnt vmcnt(0)
	v_subrev_nc_u32_e32 v3, s24, v3
	v_ashrrev_i32_e32 v4, 31, v3
	s_delay_alu instid0(VALU_DEP_1) | instskip(NEXT) | instid1(VALU_DEP_1)
	v_lshlrev_b64 v[3:4], 2, v[3:4]
	v_add_co_u32 v3, vcc_lo, s22, v3
	s_delay_alu instid0(VALU_DEP_2) | instskip(SKIP_4) | instid1(VALU_DEP_1)
	v_add_co_ci_u32_e32 v4, vcc_lo, s23, v4, vcc_lo
	global_load_b64 v[3:4], v[3:4], off
	s_waitcnt vmcnt(0)
	v_subrev_nc_u32_e32 v10, s25, v4
	v_add_nc_u32_e32 v3, v3, v9
	v_cmpx_lt_i32_e64 v3, v10
	s_cbranch_execz .LBB51_16
; %bb.18:                               ;   in Loop: Header=BB51_17 Depth=1
	v_lshlrev_b64 v[11:12], 3, v[1:2]
	s_mov_b32 s15, 0
	s_delay_alu instid0(VALU_DEP_1) | instskip(NEXT) | instid1(VALU_DEP_2)
	v_add_co_u32 v11, vcc_lo, s20, v11
	v_add_co_ci_u32_e32 v12, vcc_lo, s21, v12, vcc_lo
	global_load_b64 v[12:13], v[11:12], off
	s_waitcnt vmcnt(0)
	v_mul_f32_e64 v2, v13, -s3
	s_delay_alu instid0(VALU_DEP_1) | instskip(NEXT) | instid1(VALU_DEP_1)
	v_dual_mul_f32 v11, s13, v13 :: v_dual_fmac_f32 v2, s13, v12
	v_fmac_f32_e32 v11, s3, v12
	s_branch .LBB51_20
.LBB51_19:                              ;   in Loop: Header=BB51_20 Depth=2
	s_or_b32 exec_lo, exec_lo, s16
	v_add_nc_u32_e32 v3, 64, v3
	s_delay_alu instid0(VALU_DEP_1) | instskip(SKIP_1) | instid1(SALU_CYCLE_1)
	v_cmp_ge_i32_e32 vcc_lo, v3, v10
	s_or_b32 s15, vcc_lo, s15
	s_and_not1_b32 exec_lo, exec_lo, s15
	s_cbranch_execz .LBB51_16
.LBB51_20:                              ;   Parent Loop BB51_17 Depth=1
                                        ; =>  This Loop Header: Depth=2
                                        ;       Child Loop BB51_22 Depth 3
	v_ashrrev_i32_e32 v4, 31, v3
	s_mov_b32 s16, 0
	s_delay_alu instid0(VALU_DEP_1) | instskip(SKIP_1) | instid1(VALU_DEP_2)
	v_lshlrev_b64 v[12:13], 2, v[3:4]
	v_lshlrev_b64 v[14:15], 3, v[3:4]
	v_add_co_u32 v12, vcc_lo, s4, v12
	s_delay_alu instid0(VALU_DEP_3)
	v_add_co_ci_u32_e32 v13, vcc_lo, s5, v13, vcc_lo
	global_load_b32 v4, v[12:13], off
	v_add_co_u32 v12, vcc_lo, s6, v14
	v_add_co_ci_u32_e32 v13, vcc_lo, s7, v15, vcc_lo
	global_load_b64 v[14:15], v[12:13], off
	s_waitcnt vmcnt(1)
	v_subrev_nc_u32_e32 v4, s25, v4
	s_delay_alu instid0(VALU_DEP_1) | instskip(SKIP_3) | instid1(VALU_DEP_2)
	v_mul_lo_u32 v16, 0x89, v4
	s_waitcnt vmcnt(0)
	v_mul_f32_e64 v12, v15, -v11
	v_mul_f32_e32 v13, v2, v15
	v_fmac_f32_e32 v12, v2, v14
	s_delay_alu instid0(VALU_DEP_2)
	v_dual_fmac_f32 v13, v11, v14 :: v_dual_and_b32 v14, 0xfff, v16
	s_branch .LBB51_22
.LBB51_21:                              ;   in Loop: Header=BB51_22 Depth=3
	s_or_b32 exec_lo, exec_lo, s17
	s_xor_b32 s17, s37, -1
	s_delay_alu instid0(SALU_CYCLE_1) | instskip(NEXT) | instid1(SALU_CYCLE_1)
	s_and_b32 s17, exec_lo, s17
	s_or_b32 s16, s17, s16
	s_delay_alu instid0(SALU_CYCLE_1)
	s_and_not1_b32 exec_lo, exec_lo, s16
	s_cbranch_execz .LBB51_19
.LBB51_22:                              ;   Parent Loop BB51_17 Depth=1
                                        ;     Parent Loop BB51_20 Depth=2
                                        ; =>    This Inner Loop Header: Depth=3
	s_delay_alu instid0(VALU_DEP_1)
	v_lshl_add_u32 v15, v14, 2, 0
	s_mov_b32 s17, exec_lo
                                        ; implicit-def: $sgpr37
	ds_load_b32 v16, v15
	s_waitcnt lgkmcnt(0)
	v_cmpx_ne_u32_e64 v16, v4
	s_xor_b32 s17, exec_lo, s17
	s_cbranch_execz .LBB51_30
; %bb.23:                               ;   in Loop: Header=BB51_22 Depth=3
	s_mov_b32 s38, exec_lo
                                        ; implicit-def: $sgpr37
	v_cmpx_ne_u32_e64 s33, v16
	s_xor_b32 s38, exec_lo, s38
; %bb.24:                               ;   in Loop: Header=BB51_22 Depth=3
	v_add_nc_u32_e32 v14, 1, v14
	s_mov_b32 s37, -1
                                        ; implicit-def: $vgpr15
	s_delay_alu instid0(VALU_DEP_1)
	v_and_b32_e32 v14, 0xfff, v14
; %bb.25:                               ;   in Loop: Header=BB51_22 Depth=3
	s_and_not1_saveexec_b32 s38, s38
	s_cbranch_execz .LBB51_29
; %bb.26:                               ;   in Loop: Header=BB51_22 Depth=3
	v_mov_b32_e32 v16, s33
	s_mov_b32 s39, -1
	s_mov_b32 s42, exec_lo
	ds_cmpstore_rtn_b32 v16, v15, v4, v16
	s_waitcnt lgkmcnt(0)
	v_cmpx_eq_u32_e64 s33, v16
	s_cbranch_execz .LBB51_28
; %bb.27:                               ;   in Loop: Header=BB51_22 Depth=3
	v_lshl_add_u32 v15, v14, 2, v15
	s_xor_b32 s39, exec_lo, -1
	ds_add_f32 v15, v12 offset:16384
	ds_add_f32 v15, v13 offset:16388
.LBB51_28:                              ;   in Loop: Header=BB51_22 Depth=3
	s_or_b32 exec_lo, exec_lo, s42
	s_delay_alu instid0(SALU_CYCLE_1) | instskip(SKIP_1) | instid1(SALU_CYCLE_1)
	s_and_not1_b32 s37, s37, exec_lo
	s_and_b32 s39, s39, exec_lo
	s_or_b32 s37, s37, s39
.LBB51_29:                              ;   in Loop: Header=BB51_22 Depth=3
	s_or_b32 exec_lo, exec_lo, s38
	s_delay_alu instid0(SALU_CYCLE_1)
	s_and_b32 s37, s37, exec_lo
                                        ; implicit-def: $vgpr15
.LBB51_30:                              ;   in Loop: Header=BB51_22 Depth=3
	s_and_not1_saveexec_b32 s17, s17
	s_cbranch_execz .LBB51_21
; %bb.31:                               ;   in Loop: Header=BB51_22 Depth=3
	v_lshl_add_u32 v15, v14, 2, v15
	s_and_not1_b32 s37, s37, exec_lo
	ds_add_f32 v15, v12 offset:16384
	ds_add_f32 v15, v13 offset:16388
	s_branch .LBB51_21
.LBB51_32:
	s_or_b32 exec_lo, exec_lo, s1
.LBB51_33:
	s_delay_alu instid0(SALU_CYCLE_1)
	s_and_not1_b32 vcc_lo, exec_lo, s14
	s_cbranch_vccnz .LBB51_50
; %bb.34:
	s_waitcnt lgkmcnt(0)
	s_ashr_i32 s37, s36, 31
	v_subrev_nc_u32_e32 v1, s27, v0
	s_lshl_b64 s[0:1], s[36:37], 2
	s_delay_alu instid0(SALU_CYCLE_1)
	s_add_u32 s0, s10, s0
	s_addc_u32 s1, s11, s1
	s_load_b64 s[0:1], s[0:1], 0x0
	s_waitcnt lgkmcnt(0)
	v_add_nc_u32_e32 v1, s0, v1
	s_sub_i32 s0, s1, s27
	s_mov_b32 s1, exec_lo
	s_delay_alu instid0(VALU_DEP_1)
	v_cmpx_gt_i32_e64 s0, v1
	s_cbranch_execz .LBB51_49
; %bb.35:
	s_mov_b32 s3, 0
	s_branch .LBB51_37
.LBB51_36:                              ;   in Loop: Header=BB51_37 Depth=1
	s_or_b32 exec_lo, exec_lo, s4
	v_add_nc_u32_e32 v1, 0x400, v1
	s_delay_alu instid0(VALU_DEP_1) | instskip(SKIP_1) | instid1(SALU_CYCLE_1)
	v_cmp_le_i32_e32 vcc_lo, s0, v1
	s_or_b32 s3, vcc_lo, s3
	s_and_not1_b32 exec_lo, exec_lo, s3
	s_cbranch_execz .LBB51_49
.LBB51_37:                              ; =>This Loop Header: Depth=1
                                        ;     Child Loop BB51_39 Depth 2
	v_ashrrev_i32_e32 v2, 31, v1
	s_mov_b32 s4, 0
	s_delay_alu instid0(VALU_DEP_1) | instskip(SKIP_1) | instid1(VALU_DEP_2)
	v_lshlrev_b64 v[3:4], 2, v[1:2]
	v_lshlrev_b64 v[9:10], 3, v[1:2]
	v_add_co_u32 v3, vcc_lo, s28, v3
	s_delay_alu instid0(VALU_DEP_3) | instskip(NEXT) | instid1(VALU_DEP_3)
	v_add_co_ci_u32_e32 v4, vcc_lo, s29, v4, vcc_lo
	v_add_co_u32 v2, vcc_lo, s30, v9
	global_load_b32 v4, v[3:4], off
	v_add_co_ci_u32_e32 v3, vcc_lo, s31, v10, vcc_lo
	global_load_b64 v[9:10], v[2:3], off
	s_waitcnt vmcnt(1)
	v_subrev_nc_u32_e32 v2, s27, v4
	s_delay_alu instid0(VALU_DEP_1) | instskip(SKIP_2) | instid1(VALU_DEP_1)
	v_mul_lo_u32 v11, 0x89, v2
	s_waitcnt vmcnt(0)
	v_mul_f32_e64 v3, v10, -s12
	v_dual_mul_f32 v4, s2, v10 :: v_dual_fmac_f32 v3, s2, v9
	s_delay_alu instid0(VALU_DEP_1)
	v_dual_fmac_f32 v4, s12, v9 :: v_dual_and_b32 v9, 0xfff, v11
	s_branch .LBB51_39
.LBB51_38:                              ;   in Loop: Header=BB51_39 Depth=2
	s_or_b32 exec_lo, exec_lo, s5
	s_xor_b32 s5, s6, -1
	s_delay_alu instid0(SALU_CYCLE_1) | instskip(NEXT) | instid1(SALU_CYCLE_1)
	s_and_b32 s5, exec_lo, s5
	s_or_b32 s4, s5, s4
	s_delay_alu instid0(SALU_CYCLE_1)
	s_and_not1_b32 exec_lo, exec_lo, s4
	s_cbranch_execz .LBB51_36
.LBB51_39:                              ;   Parent Loop BB51_37 Depth=1
                                        ; =>  This Inner Loop Header: Depth=2
	s_delay_alu instid0(VALU_DEP_1)
	v_lshl_add_u32 v10, v9, 2, 0
	s_mov_b32 s5, exec_lo
                                        ; implicit-def: $sgpr6
	ds_load_b32 v11, v10
	s_waitcnt lgkmcnt(0)
	v_cmpx_ne_u32_e64 v11, v2
	s_xor_b32 s5, exec_lo, s5
	s_cbranch_execz .LBB51_47
; %bb.40:                               ;   in Loop: Header=BB51_39 Depth=2
	s_mov_b32 s7, exec_lo
                                        ; implicit-def: $sgpr6
	v_cmpx_ne_u32_e64 s33, v11
	s_xor_b32 s7, exec_lo, s7
; %bb.41:                               ;   in Loop: Header=BB51_39 Depth=2
	v_add_nc_u32_e32 v9, 1, v9
	s_mov_b32 s6, -1
                                        ; implicit-def: $vgpr10
	s_delay_alu instid0(VALU_DEP_1)
	v_and_b32_e32 v9, 0xfff, v9
; %bb.42:                               ;   in Loop: Header=BB51_39 Depth=2
	s_and_not1_saveexec_b32 s7, s7
	s_cbranch_execz .LBB51_46
; %bb.43:                               ;   in Loop: Header=BB51_39 Depth=2
	v_mov_b32_e32 v11, s33
	s_mov_b32 s8, -1
	s_mov_b32 s9, exec_lo
	ds_cmpstore_rtn_b32 v11, v10, v2, v11
	s_waitcnt lgkmcnt(0)
	v_cmpx_eq_u32_e64 s33, v11
	s_cbranch_execz .LBB51_45
; %bb.44:                               ;   in Loop: Header=BB51_39 Depth=2
	v_lshl_add_u32 v10, v9, 2, v10
	s_xor_b32 s8, exec_lo, -1
	ds_add_f32 v10, v3 offset:16384
	ds_add_f32 v10, v4 offset:16388
.LBB51_45:                              ;   in Loop: Header=BB51_39 Depth=2
	s_or_b32 exec_lo, exec_lo, s9
	s_delay_alu instid0(SALU_CYCLE_1) | instskip(SKIP_1) | instid1(SALU_CYCLE_1)
	s_and_not1_b32 s6, s6, exec_lo
	s_and_b32 s8, s8, exec_lo
	s_or_b32 s6, s6, s8
.LBB51_46:                              ;   in Loop: Header=BB51_39 Depth=2
	s_or_b32 exec_lo, exec_lo, s7
	s_delay_alu instid0(SALU_CYCLE_1)
	s_and_b32 s6, s6, exec_lo
                                        ; implicit-def: $vgpr10
.LBB51_47:                              ;   in Loop: Header=BB51_39 Depth=2
	s_and_not1_saveexec_b32 s5, s5
	s_cbranch_execz .LBB51_38
; %bb.48:                               ;   in Loop: Header=BB51_39 Depth=2
	v_lshl_add_u32 v10, v9, 2, v10
	s_and_not1_b32 s6, s6, exec_lo
	ds_add_f32 v10, v3 offset:16384
	ds_add_f32 v10, v4 offset:16388
	s_branch .LBB51_38
.LBB51_49:
	s_or_b32 exec_lo, exec_lo, s1
.LBB51_50:
	v_mbcnt_lo_u32_b32 v1, -1, 0
	v_lshl_add_u32 v4, v8, 2, 0
	v_cmp_eq_u32_e32 vcc_lo, 0x3ff, v0
	v_cmp_lt_u32_e64 s0, 63, v0
	v_cmp_lt_u32_e64 s1, 0x7f, v0
	v_xor_b32_e32 v1, 63, v1
	v_cmp_lt_u32_e64 s2, 0xbf, v0
	v_cmp_lt_u32_e64 s3, 0xff, v0
	;; [unrolled: 1-line block ×4, first 2 shown]
	v_lshrrev_b64 v[1:2], v1, -1
	v_cmp_lt_u32_e64 s6, 0x1bf, v0
	v_cmp_lt_u32_e64 s7, 0x1ff, v0
	v_cmp_lt_u32_e64 s8, 0x23f, v0
	v_cmp_lt_u32_e64 s9, 0x27f, v0
	v_cmp_lt_u32_e64 s10, 0x2bf, v0
	v_cmp_lt_u32_e64 s11, 0x2ff, v0
	v_cmp_lt_u32_e64 s12, 0x33f, v0
	v_cmp_lt_u32_e64 s13, 0x37f, v0
	v_cmp_lt_u32_e64 s14, 0x3bf, v0
	v_dual_mov_b32 v8, 0 :: v_dual_mov_b32 v9, 0
	s_mov_b32 s16, 0
	s_waitcnt lgkmcnt(0)
	s_barrier
	buffer_gl0_inv
	s_branch .LBB51_52
.LBB51_51:                              ;   in Loop: Header=BB51_52 Depth=1
	s_or_b32 exec_lo, exec_lo, s15
	s_waitcnt lgkmcnt(0)
	s_barrier
	buffer_gl0_inv
	ds_load_b32 v2, v8 offset:49212
	v_add_nc_u32_e32 v6, 0x400, v6
	v_add_nc_u32_e32 v7, 0x2000, v7
	;; [unrolled: 1-line block ×3, first 2 shown]
	s_delay_alu instid0(VALU_DEP_3) | instskip(NEXT) | instid1(VALU_DEP_1)
	v_cmp_lt_u32_e64 s15, 0xbff, v6
	s_or_b32 s16, s15, s16
	s_waitcnt lgkmcnt(0)
	v_add_nc_u32_e32 v9, v2, v9
	s_and_not1_b32 exec_lo, exec_lo, s16
	s_cbranch_execz .LBB51_86
.LBB51_52:                              ; =>This Inner Loop Header: Depth=1
	ds_load_b32 v10, v5
	ds_load_2addr_b32 v[2:3], v7 offset1:1
	s_waitcnt lgkmcnt(0)
	s_barrier
	buffer_gl0_inv
	v_cmp_gt_i32_e64 s15, s33, v10
	s_delay_alu instid0(VALU_DEP_1) | instskip(NEXT) | instid1(SALU_CYCLE_1)
	s_bcnt1_i32_b32 s17, s15
	v_dual_mov_b32 v12, s17 :: v_dual_and_b32 v11, s15, v1
	s_delay_alu instid0(VALU_DEP_1)
	v_bcnt_u32_b32 v11, v11, 0
	ds_store_b32 v4, v12 offset:49152
	s_waitcnt lgkmcnt(0)
	s_barrier
	buffer_gl0_inv
	s_and_saveexec_b32 s17, s0
	s_cbranch_execnz .LBB51_69
; %bb.53:                               ;   in Loop: Header=BB51_52 Depth=1
	s_or_b32 exec_lo, exec_lo, s17
	s_and_saveexec_b32 s17, s1
	s_cbranch_execnz .LBB51_70
.LBB51_54:                              ;   in Loop: Header=BB51_52 Depth=1
	s_or_b32 exec_lo, exec_lo, s17
	s_and_saveexec_b32 s17, s2
	s_cbranch_execnz .LBB51_71
.LBB51_55:                              ;   in Loop: Header=BB51_52 Depth=1
	s_or_b32 exec_lo, exec_lo, s17
	s_and_saveexec_b32 s17, s3
	s_cbranch_execnz .LBB51_72
.LBB51_56:                              ;   in Loop: Header=BB51_52 Depth=1
	s_or_b32 exec_lo, exec_lo, s17
	s_and_saveexec_b32 s17, s4
	s_cbranch_execnz .LBB51_73
.LBB51_57:                              ;   in Loop: Header=BB51_52 Depth=1
	s_or_b32 exec_lo, exec_lo, s17
	s_and_saveexec_b32 s17, s5
	s_cbranch_execnz .LBB51_74
.LBB51_58:                              ;   in Loop: Header=BB51_52 Depth=1
	s_or_b32 exec_lo, exec_lo, s17
	s_and_saveexec_b32 s17, s6
	s_cbranch_execnz .LBB51_75
.LBB51_59:                              ;   in Loop: Header=BB51_52 Depth=1
	s_or_b32 exec_lo, exec_lo, s17
	s_and_saveexec_b32 s17, s7
	s_cbranch_execnz .LBB51_76
.LBB51_60:                              ;   in Loop: Header=BB51_52 Depth=1
	s_or_b32 exec_lo, exec_lo, s17
	s_and_saveexec_b32 s17, s8
	s_cbranch_execnz .LBB51_77
.LBB51_61:                              ;   in Loop: Header=BB51_52 Depth=1
	s_or_b32 exec_lo, exec_lo, s17
	s_and_saveexec_b32 s17, s9
	s_cbranch_execnz .LBB51_78
.LBB51_62:                              ;   in Loop: Header=BB51_52 Depth=1
	s_or_b32 exec_lo, exec_lo, s17
	s_and_saveexec_b32 s17, s10
	s_cbranch_execnz .LBB51_79
.LBB51_63:                              ;   in Loop: Header=BB51_52 Depth=1
	s_or_b32 exec_lo, exec_lo, s17
	s_and_saveexec_b32 s17, s11
	s_cbranch_execnz .LBB51_80
.LBB51_64:                              ;   in Loop: Header=BB51_52 Depth=1
	s_or_b32 exec_lo, exec_lo, s17
	s_and_saveexec_b32 s17, s12
	s_cbranch_execnz .LBB51_81
.LBB51_65:                              ;   in Loop: Header=BB51_52 Depth=1
	s_or_b32 exec_lo, exec_lo, s17
	s_and_saveexec_b32 s17, s13
	s_cbranch_execnz .LBB51_82
.LBB51_66:                              ;   in Loop: Header=BB51_52 Depth=1
	s_or_b32 exec_lo, exec_lo, s17
	s_and_saveexec_b32 s17, s14
	s_cbranch_execnz .LBB51_83
.LBB51_67:                              ;   in Loop: Header=BB51_52 Depth=1
	s_or_b32 exec_lo, exec_lo, s17
	s_and_saveexec_b32 s17, s15
	s_cbranch_execnz .LBB51_84
.LBB51_68:                              ;   in Loop: Header=BB51_52 Depth=1
	s_or_b32 exec_lo, exec_lo, s17
	s_and_saveexec_b32 s15, vcc_lo
	s_cbranch_execz .LBB51_51
	s_branch .LBB51_85
.LBB51_69:                              ;   in Loop: Header=BB51_52 Depth=1
	ds_load_b32 v12, v8 offset:49152
	s_waitcnt lgkmcnt(0)
	v_add_nc_u32_e32 v11, v12, v11
	s_or_b32 exec_lo, exec_lo, s17
	s_and_saveexec_b32 s17, s1
	s_cbranch_execz .LBB51_54
.LBB51_70:                              ;   in Loop: Header=BB51_52 Depth=1
	ds_load_b32 v12, v8 offset:49156
	s_waitcnt lgkmcnt(0)
	v_add_nc_u32_e32 v11, v12, v11
	s_or_b32 exec_lo, exec_lo, s17
	s_and_saveexec_b32 s17, s2
	s_cbranch_execz .LBB51_55
.LBB51_71:                              ;   in Loop: Header=BB51_52 Depth=1
	ds_load_b32 v12, v8 offset:49160
	s_waitcnt lgkmcnt(0)
	v_add_nc_u32_e32 v11, v12, v11
	s_or_b32 exec_lo, exec_lo, s17
	s_and_saveexec_b32 s17, s3
	s_cbranch_execz .LBB51_56
.LBB51_72:                              ;   in Loop: Header=BB51_52 Depth=1
	ds_load_b32 v12, v8 offset:49164
	s_waitcnt lgkmcnt(0)
	v_add_nc_u32_e32 v11, v12, v11
	s_or_b32 exec_lo, exec_lo, s17
	s_and_saveexec_b32 s17, s4
	s_cbranch_execz .LBB51_57
.LBB51_73:                              ;   in Loop: Header=BB51_52 Depth=1
	ds_load_b32 v12, v8 offset:49168
	s_waitcnt lgkmcnt(0)
	v_add_nc_u32_e32 v11, v12, v11
	s_or_b32 exec_lo, exec_lo, s17
	s_and_saveexec_b32 s17, s5
	s_cbranch_execz .LBB51_58
.LBB51_74:                              ;   in Loop: Header=BB51_52 Depth=1
	ds_load_b32 v12, v8 offset:49172
	s_waitcnt lgkmcnt(0)
	v_add_nc_u32_e32 v11, v12, v11
	s_or_b32 exec_lo, exec_lo, s17
	s_and_saveexec_b32 s17, s6
	s_cbranch_execz .LBB51_59
.LBB51_75:                              ;   in Loop: Header=BB51_52 Depth=1
	ds_load_b32 v12, v8 offset:49176
	s_waitcnt lgkmcnt(0)
	v_add_nc_u32_e32 v11, v12, v11
	s_or_b32 exec_lo, exec_lo, s17
	s_and_saveexec_b32 s17, s7
	s_cbranch_execz .LBB51_60
.LBB51_76:                              ;   in Loop: Header=BB51_52 Depth=1
	ds_load_b32 v12, v8 offset:49180
	s_waitcnt lgkmcnt(0)
	v_add_nc_u32_e32 v11, v12, v11
	s_or_b32 exec_lo, exec_lo, s17
	s_and_saveexec_b32 s17, s8
	s_cbranch_execz .LBB51_61
.LBB51_77:                              ;   in Loop: Header=BB51_52 Depth=1
	ds_load_b32 v12, v8 offset:49184
	s_waitcnt lgkmcnt(0)
	v_add_nc_u32_e32 v11, v12, v11
	s_or_b32 exec_lo, exec_lo, s17
	s_and_saveexec_b32 s17, s9
	s_cbranch_execz .LBB51_62
.LBB51_78:                              ;   in Loop: Header=BB51_52 Depth=1
	ds_load_b32 v12, v8 offset:49188
	s_waitcnt lgkmcnt(0)
	v_add_nc_u32_e32 v11, v12, v11
	s_or_b32 exec_lo, exec_lo, s17
	s_and_saveexec_b32 s17, s10
	s_cbranch_execz .LBB51_63
.LBB51_79:                              ;   in Loop: Header=BB51_52 Depth=1
	ds_load_b32 v12, v8 offset:49192
	s_waitcnt lgkmcnt(0)
	v_add_nc_u32_e32 v11, v12, v11
	s_or_b32 exec_lo, exec_lo, s17
	s_and_saveexec_b32 s17, s11
	s_cbranch_execz .LBB51_64
.LBB51_80:                              ;   in Loop: Header=BB51_52 Depth=1
	ds_load_b32 v12, v8 offset:49196
	s_waitcnt lgkmcnt(0)
	v_add_nc_u32_e32 v11, v12, v11
	s_or_b32 exec_lo, exec_lo, s17
	s_and_saveexec_b32 s17, s12
	s_cbranch_execz .LBB51_65
.LBB51_81:                              ;   in Loop: Header=BB51_52 Depth=1
	ds_load_b32 v12, v8 offset:49200
	s_waitcnt lgkmcnt(0)
	v_add_nc_u32_e32 v11, v12, v11
	s_or_b32 exec_lo, exec_lo, s17
	s_and_saveexec_b32 s17, s13
	s_cbranch_execz .LBB51_66
.LBB51_82:                              ;   in Loop: Header=BB51_52 Depth=1
	ds_load_b32 v12, v8 offset:49204
	s_waitcnt lgkmcnt(0)
	v_add_nc_u32_e32 v11, v12, v11
	s_or_b32 exec_lo, exec_lo, s17
	s_and_saveexec_b32 s17, s14
	s_cbranch_execz .LBB51_67
.LBB51_83:                              ;   in Loop: Header=BB51_52 Depth=1
	ds_load_b32 v12, v8 offset:49208
	s_waitcnt lgkmcnt(0)
	v_add_nc_u32_e32 v11, v12, v11
	s_or_b32 exec_lo, exec_lo, s17
	s_and_saveexec_b32 s17, s15
	s_cbranch_execz .LBB51_68
.LBB51_84:                              ;   in Loop: Header=BB51_52 Depth=1
	s_delay_alu instid0(VALU_DEP_1) | instskip(NEXT) | instid1(VALU_DEP_1)
	v_add3_u32 v12, v9, -1, v11
	v_lshlrev_b32_e32 v13, 3, v12
	v_lshl_add_u32 v12, v12, 2, 0
	s_delay_alu instid0(VALU_DEP_2)
	v_add3_u32 v13, 0, v13, 0x4000
	ds_store_b32 v12, v10
	ds_store_2addr_b32 v13, v2, v3 offset1:1
	s_or_b32 exec_lo, exec_lo, s17
	s_and_saveexec_b32 s15, vcc_lo
	s_cbranch_execz .LBB51_51
.LBB51_85:                              ;   in Loop: Header=BB51_52 Depth=1
	ds_store_b32 v8, v11 offset:49212
	s_branch .LBB51_51
.LBB51_86:
	s_or_b32 exec_lo, exec_lo, s16
	s_ashr_i32 s37, s36, 31
	s_mov_b32 s3, exec_lo
	s_lshl_b64 s[0:1], s[36:37], 2
	s_delay_alu instid0(SALU_CYCLE_1) | instskip(SKIP_4) | instid1(SALU_CYCLE_1)
	s_add_u32 s0, s40, s0
	s_addc_u32 s1, s41, s1
	s_load_b64 s[0:1], s[0:1], 0x0
	s_waitcnt lgkmcnt(0)
	s_sub_i32 s2, s1, s0
	v_cmpx_gt_i32_e64 s2, v0
	s_cbranch_execz .LBB51_96
; %bb.87:
	s_sub_i32 s3, s0, s26
	s_sub_i32 s0, s0, s1
	s_and_b32 s1, s2, 7
	s_cmp_lt_u32 s0, -7
	s_mov_b32 s7, 0
	s_cselect_b32 s4, -1, 0
	s_and_b32 s5, s2, -8
	s_cmp_lg_u32 s1, 0
	s_cselect_b32 s6, -1, 0
	s_branch .LBB51_89
.LBB51_88:                              ;   in Loop: Header=BB51_89 Depth=1
	s_waitcnt lgkmcnt(1)
	s_delay_alu instid0(VALU_DEP_1) | instskip(SKIP_1) | instid1(VALU_DEP_2)
	v_ashrrev_i32_e32 v4, 31, v3
	v_add_nc_u32_e32 v0, 0x400, v0
	v_lshlrev_b64 v[3:4], 3, v[3:4]
	s_delay_alu instid0(VALU_DEP_2) | instskip(SKIP_1) | instid1(VALU_DEP_2)
	v_cmp_le_i32_e32 vcc_lo, s2, v0
	s_or_b32 s7, vcc_lo, s7
	v_add_co_u32 v3, s0, s34, v3
	s_delay_alu instid0(VALU_DEP_1)
	v_add_co_ci_u32_e64 v4, s0, s35, v4, s0
	s_waitcnt lgkmcnt(0)
	global_store_b64 v[3:4], v[1:2], off
	s_and_not1_b32 exec_lo, exec_lo, s7
	s_cbranch_execz .LBB51_96
.LBB51_89:                              ; =>This Loop Header: Depth=1
                                        ;     Child Loop BB51_91 Depth 2
                                        ;     Child Loop BB51_95 Depth 2
	v_lshlrev_b32_e32 v1, 2, v0
	s_and_not1_b32 vcc_lo, exec_lo, s4
	s_mov_b32 s0, 0
	s_delay_alu instid0(VALU_DEP_1) | instskip(NEXT) | instid1(VALU_DEP_1)
	v_dual_mov_b32 v3, s3 :: v_dual_add_nc_u32 v2, 0, v1
	v_add3_u32 v1, v2, v1, 0x4000
	ds_load_b32 v4, v2
	ds_load_2addr_b32 v[1:2], v1 offset1:1
	s_cbranch_vccnz .LBB51_93
; %bb.90:                               ;   in Loop: Header=BB51_89 Depth=1
	v_mov_b32_e32 v3, s3
	s_mov_b32 s8, 0
	s_set_inst_prefetch_distance 0x1
	.p2align	6
.LBB51_91:                              ;   Parent Loop BB51_89 Depth=1
                                        ; =>  This Inner Loop Header: Depth=2
	v_mov_b32_e32 v11, s8
	s_add_i32 s0, s0, 8
	s_add_i32 s8, s8, 32
	s_cmp_eq_u32 s5, s0
	ds_load_2addr_b32 v[5:6], v11 offset1:1
	ds_load_2addr_b32 v[7:8], v11 offset0:2 offset1:3
	ds_load_2addr_b32 v[9:10], v11 offset0:4 offset1:5
	;; [unrolled: 1-line block ×3, first 2 shown]
	s_waitcnt lgkmcnt(3)
	v_cmp_gt_i32_e32 vcc_lo, v4, v5
	v_cndmask_b32_e64 v5, 0, 1, vcc_lo
	s_waitcnt lgkmcnt(2)
	v_cmp_gt_i32_e32 vcc_lo, v4, v7
	v_cndmask_b32_e64 v7, 0, 1, vcc_lo
	v_cmp_gt_i32_e32 vcc_lo, v4, v6
	v_add_co_ci_u32_e32 v3, vcc_lo, v3, v5, vcc_lo
	s_waitcnt lgkmcnt(1)
	v_cmp_gt_i32_e32 vcc_lo, v4, v9
	v_cndmask_b32_e64 v5, 0, 1, vcc_lo
	v_cmp_gt_i32_e32 vcc_lo, v4, v8
	v_add_co_ci_u32_e32 v3, vcc_lo, v3, v7, vcc_lo
	;; [unrolled: 5-line block ×3, first 2 shown]
	v_cmp_gt_i32_e32 vcc_lo, v4, v12
	s_delay_alu instid0(VALU_DEP_2)
	v_add_co_ci_u32_e32 v3, vcc_lo, v3, v6, vcc_lo
	s_cbranch_scc0 .LBB51_91
; %bb.92:                               ;   in Loop: Header=BB51_89 Depth=1
	s_set_inst_prefetch_distance 0x2
	s_mov_b32 s0, s5
.LBB51_93:                              ;   in Loop: Header=BB51_89 Depth=1
	s_and_not1_b32 vcc_lo, exec_lo, s6
	s_cbranch_vccnz .LBB51_88
; %bb.94:                               ;   in Loop: Header=BB51_89 Depth=1
	s_lshl_b32 s0, s0, 2
	s_mov_b32 s8, s1
	s_add_i32 s0, s0, 0
.LBB51_95:                              ;   Parent Loop BB51_89 Depth=1
                                        ; =>  This Inner Loop Header: Depth=2
	s_delay_alu instid0(SALU_CYCLE_1)
	v_mov_b32_e32 v5, s0
	s_add_i32 s8, s8, -1
	s_add_i32 s0, s0, 4
	s_cmp_lg_u32 s8, 0
	ds_load_b32 v5, v5
	s_waitcnt lgkmcnt(0)
	v_cmp_gt_i32_e32 vcc_lo, v4, v5
	v_add_co_ci_u32_e32 v3, vcc_lo, 0, v3, vcc_lo
	s_cbranch_scc1 .LBB51_95
	s_branch .LBB51_88
.LBB51_96:
	s_nop 0
	s_sendmsg sendmsg(MSG_DEALLOC_VGPRS)
	s_endpgm
	.section	.rodata,"a",@progbits
	.p2align	6, 0x0
	.amdhsa_kernel _ZN9rocsparseL41csrgemm_numeric_fill_block_per_row_kernelILj1024ELj64ELj4096ELj137ELj64Eii21rocsparse_complex_numIfEEEvT5_PKS3_S5_NS_24const_host_device_scalarIT6_EEPKT4_S5_PKS7_SB_S5_SD_S8_SB_S5_SD_SB_S5_PS7_21rocsparse_index_base_SF_SF_SF_bbb
		.amdhsa_group_segment_fixed_size 0
		.amdhsa_private_segment_fixed_size 0
		.amdhsa_kernarg_size 156
		.amdhsa_user_sgpr_count 15
		.amdhsa_user_sgpr_dispatch_ptr 0
		.amdhsa_user_sgpr_queue_ptr 0
		.amdhsa_user_sgpr_kernarg_segment_ptr 1
		.amdhsa_user_sgpr_dispatch_id 0
		.amdhsa_user_sgpr_private_segment_size 0
		.amdhsa_wavefront_size32 1
		.amdhsa_uses_dynamic_stack 0
		.amdhsa_enable_private_segment 0
		.amdhsa_system_sgpr_workgroup_id_x 1
		.amdhsa_system_sgpr_workgroup_id_y 0
		.amdhsa_system_sgpr_workgroup_id_z 0
		.amdhsa_system_sgpr_workgroup_info 0
		.amdhsa_system_vgpr_workitem_id 0
		.amdhsa_next_free_vgpr 17
		.amdhsa_next_free_sgpr 43
		.amdhsa_reserve_vcc 1
		.amdhsa_float_round_mode_32 0
		.amdhsa_float_round_mode_16_64 0
		.amdhsa_float_denorm_mode_32 3
		.amdhsa_float_denorm_mode_16_64 3
		.amdhsa_dx10_clamp 1
		.amdhsa_ieee_mode 1
		.amdhsa_fp16_overflow 0
		.amdhsa_workgroup_processor_mode 1
		.amdhsa_memory_ordered 1
		.amdhsa_forward_progress 0
		.amdhsa_shared_vgpr_count 0
		.amdhsa_exception_fp_ieee_invalid_op 0
		.amdhsa_exception_fp_denorm_src 0
		.amdhsa_exception_fp_ieee_div_zero 0
		.amdhsa_exception_fp_ieee_overflow 0
		.amdhsa_exception_fp_ieee_underflow 0
		.amdhsa_exception_fp_ieee_inexact 0
		.amdhsa_exception_int_div_zero 0
	.end_amdhsa_kernel
	.section	.text._ZN9rocsparseL41csrgemm_numeric_fill_block_per_row_kernelILj1024ELj64ELj4096ELj137ELj64Eii21rocsparse_complex_numIfEEEvT5_PKS3_S5_NS_24const_host_device_scalarIT6_EEPKT4_S5_PKS7_SB_S5_SD_S8_SB_S5_SD_SB_S5_PS7_21rocsparse_index_base_SF_SF_SF_bbb,"axG",@progbits,_ZN9rocsparseL41csrgemm_numeric_fill_block_per_row_kernelILj1024ELj64ELj4096ELj137ELj64Eii21rocsparse_complex_numIfEEEvT5_PKS3_S5_NS_24const_host_device_scalarIT6_EEPKT4_S5_PKS7_SB_S5_SD_S8_SB_S5_SD_SB_S5_PS7_21rocsparse_index_base_SF_SF_SF_bbb,comdat
.Lfunc_end51:
	.size	_ZN9rocsparseL41csrgemm_numeric_fill_block_per_row_kernelILj1024ELj64ELj4096ELj137ELj64Eii21rocsparse_complex_numIfEEEvT5_PKS3_S5_NS_24const_host_device_scalarIT6_EEPKT4_S5_PKS7_SB_S5_SD_S8_SB_S5_SD_SB_S5_PS7_21rocsparse_index_base_SF_SF_SF_bbb, .Lfunc_end51-_ZN9rocsparseL41csrgemm_numeric_fill_block_per_row_kernelILj1024ELj64ELj4096ELj137ELj64Eii21rocsparse_complex_numIfEEEvT5_PKS3_S5_NS_24const_host_device_scalarIT6_EEPKT4_S5_PKS7_SB_S5_SD_S8_SB_S5_SD_SB_S5_PS7_21rocsparse_index_base_SF_SF_SF_bbb
                                        ; -- End function
	.section	.AMDGPU.csdata,"",@progbits
; Kernel info:
; codeLenInByte = 3320
; NumSgprs: 45
; NumVgprs: 17
; ScratchSize: 0
; MemoryBound: 0
; FloatMode: 240
; IeeeMode: 1
; LDSByteSize: 0 bytes/workgroup (compile time only)
; SGPRBlocks: 5
; VGPRBlocks: 2
; NumSGPRsForWavesPerEU: 45
; NumVGPRsForWavesPerEU: 17
; Occupancy: 16
; WaveLimiterHint : 1
; COMPUTE_PGM_RSRC2:SCRATCH_EN: 0
; COMPUTE_PGM_RSRC2:USER_SGPR: 15
; COMPUTE_PGM_RSRC2:TRAP_HANDLER: 0
; COMPUTE_PGM_RSRC2:TGID_X_EN: 1
; COMPUTE_PGM_RSRC2:TGID_Y_EN: 0
; COMPUTE_PGM_RSRC2:TGID_Z_EN: 0
; COMPUTE_PGM_RSRC2:TIDIG_COMP_CNT: 0
	.section	.text._ZN9rocsparseL41csrgemm_numeric_fill_block_per_row_kernelILj1024ELj64ELj8192ELj137ELj32Eii21rocsparse_complex_numIfEEEvT5_PKS3_S5_NS_24const_host_device_scalarIT6_EEPKT4_S5_PKS7_SB_S5_SD_S8_SB_S5_SD_SB_S5_PS7_21rocsparse_index_base_SF_SF_SF_bbb,"axG",@progbits,_ZN9rocsparseL41csrgemm_numeric_fill_block_per_row_kernelILj1024ELj64ELj8192ELj137ELj32Eii21rocsparse_complex_numIfEEEvT5_PKS3_S5_NS_24const_host_device_scalarIT6_EEPKT4_S5_PKS7_SB_S5_SD_S8_SB_S5_SD_SB_S5_PS7_21rocsparse_index_base_SF_SF_SF_bbb,comdat
	.globl	_ZN9rocsparseL41csrgemm_numeric_fill_block_per_row_kernelILj1024ELj64ELj8192ELj137ELj32Eii21rocsparse_complex_numIfEEEvT5_PKS3_S5_NS_24const_host_device_scalarIT6_EEPKT4_S5_PKS7_SB_S5_SD_S8_SB_S5_SD_SB_S5_PS7_21rocsparse_index_base_SF_SF_SF_bbb ; -- Begin function _ZN9rocsparseL41csrgemm_numeric_fill_block_per_row_kernelILj1024ELj64ELj8192ELj137ELj32Eii21rocsparse_complex_numIfEEEvT5_PKS3_S5_NS_24const_host_device_scalarIT6_EEPKT4_S5_PKS7_SB_S5_SD_S8_SB_S5_SD_SB_S5_PS7_21rocsparse_index_base_SF_SF_SF_bbb
	.p2align	8
	.type	_ZN9rocsparseL41csrgemm_numeric_fill_block_per_row_kernelILj1024ELj64ELj8192ELj137ELj32Eii21rocsparse_complex_numIfEEEvT5_PKS3_S5_NS_24const_host_device_scalarIT6_EEPKT4_S5_PKS7_SB_S5_SD_S8_SB_S5_SD_SB_S5_PS7_21rocsparse_index_base_SF_SF_SF_bbb,@function
_ZN9rocsparseL41csrgemm_numeric_fill_block_per_row_kernelILj1024ELj64ELj8192ELj137ELj32Eii21rocsparse_complex_numIfEEEvT5_PKS3_S5_NS_24const_host_device_scalarIT6_EEPKT4_S5_PKS7_SB_S5_SD_S8_SB_S5_SD_SB_S5_PS7_21rocsparse_index_base_SF_SF_SF_bbb: ; @_ZN9rocsparseL41csrgemm_numeric_fill_block_per_row_kernelILj1024ELj64ELj8192ELj137ELj32Eii21rocsparse_complex_numIfEEEvT5_PKS3_S5_NS_24const_host_device_scalarIT6_EEPKT4_S5_PKS7_SB_S5_SD_S8_SB_S5_SD_SB_S5_PS7_21rocsparse_index_base_SF_SF_SF_bbb
; %bb.0:
	s_clause 0x7
	s_load_b32 s12, s[0:1], 0x98
	s_load_b64 s[40:41], s[0:1], 0x70
	s_load_b128 s[24:27], s[0:1], 0x60
	s_load_b256 s[4:11], s[0:1], 0x40
	s_load_b128 s[28:31], s[0:1], 0x8
	s_load_b256 s[16:23], s[0:1], 0x20
	s_load_b64 s[34:35], s[0:1], 0x80
	s_load_b128 s[36:39], s[0:1], 0x88
	s_mov_b32 s3, 0
	s_mov_b32 s13, 0
	s_waitcnt lgkmcnt(0)
	s_bitcmp1_b32 s12, 0
	s_cselect_b32 s43, -1, 0
	s_bitcmp1_b32 s12, 16
	s_cselect_b32 s2, -1, 0
	s_delay_alu instid0(SALU_CYCLE_1) | instskip(SKIP_2) | instid1(VALU_DEP_1)
	s_xor_b32 s14, s2, -1
	s_bitcmp0_b32 s12, 0
	v_cndmask_b32_e64 v1, 0, 1, s14
	v_cmp_ne_u32_e32 vcc_lo, 1, v1
	s_cbranch_scc1 .LBB52_5
; %bb.1:
	s_load_b64 s[2:3], s[0:1], 0x18
	s_and_b32 vcc_lo, exec_lo, vcc_lo
	s_waitcnt lgkmcnt(0)
	s_mov_b32 s13, s2
	s_cbranch_vccnz .LBB52_3
; %bb.2:
	s_load_b32 s13, s[2:3], 0x0
.LBB52_3:
	s_and_not1_b32 vcc_lo, exec_lo, s14
	s_cbranch_vccnz .LBB52_5
; %bb.4:
	s_load_b32 s3, s[2:3], 0x4
.LBB52_5:
	s_bitcmp1_b32 s12, 8
	s_cselect_b32 s14, -1, 0
	s_bfe_u32 s2, s12, 0x10008
	s_mov_b32 s12, 0
	s_cmp_eq_u32 s2, 0
	s_mov_b32 s2, 0
	s_cbranch_scc1 .LBB52_11
; %bb.6:
	v_cmp_ne_u32_e32 vcc_lo, 1, v1
	s_mov_b32 s2, s8
	s_cbranch_vccnz .LBB52_8
; %bb.7:
	s_load_b32 s2, s[8:9], 0x0
.LBB52_8:
	v_cmp_ne_u32_e32 vcc_lo, 1, v1
	s_cbranch_vccnz .LBB52_10
; %bb.9:
	s_load_b32 s9, s[8:9], 0x4
.LBB52_10:
	s_waitcnt lgkmcnt(0)
	s_mov_b32 s12, s9
.LBB52_11:
	s_load_b32 s33, s[0:1], 0x0
	v_lshlrev_b32_e32 v1, 2, v0
	v_dual_mov_b32 v3, 0 :: v_dual_lshlrev_b32 v6, 3, v0
	s_mov_b32 s1, 0
	s_delay_alu instid0(VALU_DEP_2) | instskip(NEXT) | instid1(VALU_DEP_2)
	v_add_nc_u32_e32 v5, 0, v1
	v_add3_u32 v2, 0, 0x8000, v6
	s_delay_alu instid0(VALU_DEP_2) | instskip(NEXT) | instid1(VALU_DEP_2)
	v_add3_u32 v1, v5, v1, 0x8000
	v_add_nc_u32_e32 v4, 0x2000, v2
	v_add_nc_u32_e32 v7, 0x4000, v2
	v_add_nc_u32_e32 v8, 0x6000, v2
	s_waitcnt lgkmcnt(0)
	v_dual_mov_b32 v12, s33 :: v_dual_add_nc_u32 v9, 0x8000, v2
	v_mov_b32_e32 v10, s33
	ds_store_2addr_b32 v1, v3, v3 offset1:1
	ds_store_2addr_b32 v4, v3, v3 offset1:1
	;; [unrolled: 1-line block ×4, first 2 shown]
	v_dual_mov_b32 v1, s33 :: v_dual_mov_b32 v4, s33
	v_dual_mov_b32 v7, s33 :: v_dual_mov_b32 v8, s33
	v_mov_b32_e32 v11, s33
	v_mov_b32_e32 v13, s33
	ds_store_2addr_stride64_b32 v5, v1, v4 offset1:16
	ds_store_2addr_stride64_b32 v5, v7, v8 offset0:32 offset1:48
	ds_store_2addr_stride64_b32 v5, v10, v11 offset0:64 offset1:80
	v_add_nc_u32_e32 v1, 0xa000, v2
	v_add_nc_u32_e32 v4, 0xc000, v2
	;; [unrolled: 1-line block ×3, first 2 shown]
	ds_store_2addr_stride64_b32 v5, v12, v13 offset0:96 offset1:112
	ds_store_2addr_b32 v9, v3, v3 offset1:1
	ds_store_2addr_b32 v1, v3, v3 offset1:1
	;; [unrolled: 1-line block ×4, first 2 shown]
	s_waitcnt lgkmcnt(0)
	s_barrier
	buffer_gl0_inv
	s_load_b32 s0, s[28:29], 0x0
	s_waitcnt lgkmcnt(0)
	s_add_i32 s0, s0, s15
	s_delay_alu instid0(SALU_CYCLE_1) | instskip(NEXT) | instid1(SALU_CYCLE_1)
	s_lshl_b64 s[0:1], s[0:1], 2
	s_add_u32 s0, s30, s0
	s_addc_u32 s1, s31, s1
	s_and_not1_b32 vcc_lo, exec_lo, s43
	s_load_b32 s42, s[0:1], 0x0
	s_cbranch_vccnz .LBB52_31
; %bb.12:
	s_waitcnt lgkmcnt(0)
	s_ashr_i32 s43, s42, 31
	v_lshrrev_b32_e32 v1, 6, v0
	s_lshl_b64 s[0:1], s[42:43], 2
	s_delay_alu instid0(SALU_CYCLE_1) | instskip(SKIP_1) | instid1(VALU_DEP_1)
	s_add_u32 s0, s16, s0
	s_addc_u32 s1, s17, s1
	v_subrev_nc_u32_e32 v1, s36, v1
	s_load_b64 s[0:1], s[0:1], 0x0
	s_waitcnt lgkmcnt(0)
	s_delay_alu instid0(VALU_DEP_1) | instskip(SKIP_2) | instid1(VALU_DEP_1)
	v_add_nc_u32_e32 v1, s0, v1
	s_sub_i32 s0, s1, s36
	s_mov_b32 s1, exec_lo
	v_cmpx_gt_i32_e64 s0, v1
	s_cbranch_execz .LBB52_30
; %bb.13:
	v_and_b32_e32 v2, 63, v0
	s_mov_b32 s8, 0
	s_delay_alu instid0(VALU_DEP_1)
	v_subrev_nc_u32_e32 v7, s37, v2
	s_branch .LBB52_15
.LBB52_14:                              ;   in Loop: Header=BB52_15 Depth=1
	s_or_b32 exec_lo, exec_lo, s9
	v_add_nc_u32_e32 v1, 16, v1
	s_delay_alu instid0(VALU_DEP_1) | instskip(SKIP_1) | instid1(SALU_CYCLE_1)
	v_cmp_le_i32_e32 vcc_lo, s0, v1
	s_or_b32 s8, vcc_lo, s8
	s_and_not1_b32 exec_lo, exec_lo, s8
	s_cbranch_execz .LBB52_30
.LBB52_15:                              ; =>This Loop Header: Depth=1
                                        ;     Child Loop BB52_18 Depth 2
                                        ;       Child Loop BB52_20 Depth 3
	v_ashrrev_i32_e32 v2, 31, v1
	s_mov_b32 s9, exec_lo
	s_delay_alu instid0(VALU_DEP_1) | instskip(NEXT) | instid1(VALU_DEP_1)
	v_lshlrev_b64 v[3:4], 2, v[1:2]
	v_add_co_u32 v3, vcc_lo, s18, v3
	s_delay_alu instid0(VALU_DEP_2) | instskip(SKIP_3) | instid1(VALU_DEP_1)
	v_add_co_ci_u32_e32 v4, vcc_lo, s19, v4, vcc_lo
	global_load_b32 v3, v[3:4], off
	s_waitcnt vmcnt(0)
	v_subrev_nc_u32_e32 v3, s36, v3
	v_ashrrev_i32_e32 v4, 31, v3
	s_delay_alu instid0(VALU_DEP_1) | instskip(NEXT) | instid1(VALU_DEP_1)
	v_lshlrev_b64 v[3:4], 2, v[3:4]
	v_add_co_u32 v3, vcc_lo, s22, v3
	s_delay_alu instid0(VALU_DEP_2) | instskip(SKIP_4) | instid1(VALU_DEP_1)
	v_add_co_ci_u32_e32 v4, vcc_lo, s23, v4, vcc_lo
	global_load_b64 v[3:4], v[3:4], off
	s_waitcnt vmcnt(0)
	v_subrev_nc_u32_e32 v8, s37, v4
	v_add_nc_u32_e32 v3, v3, v7
	v_cmpx_lt_i32_e64 v3, v8
	s_cbranch_execz .LBB52_14
; %bb.16:                               ;   in Loop: Header=BB52_15 Depth=1
	v_lshlrev_b64 v[9:10], 3, v[1:2]
	s_mov_b32 s15, 0
	s_delay_alu instid0(VALU_DEP_1) | instskip(NEXT) | instid1(VALU_DEP_2)
	v_add_co_u32 v9, vcc_lo, s20, v9
	v_add_co_ci_u32_e32 v10, vcc_lo, s21, v10, vcc_lo
	global_load_b64 v[10:11], v[9:10], off
	s_waitcnt vmcnt(0)
	v_mul_f32_e64 v2, v11, -s3
	s_delay_alu instid0(VALU_DEP_1) | instskip(NEXT) | instid1(VALU_DEP_1)
	v_dual_mul_f32 v9, s13, v11 :: v_dual_fmac_f32 v2, s13, v10
	v_fmac_f32_e32 v9, s3, v10
	s_branch .LBB52_18
.LBB52_17:                              ;   in Loop: Header=BB52_18 Depth=2
	s_or_b32 exec_lo, exec_lo, s16
	v_add_nc_u32_e32 v3, 64, v3
	s_delay_alu instid0(VALU_DEP_1) | instskip(SKIP_1) | instid1(SALU_CYCLE_1)
	v_cmp_ge_i32_e32 vcc_lo, v3, v8
	s_or_b32 s15, vcc_lo, s15
	s_and_not1_b32 exec_lo, exec_lo, s15
	s_cbranch_execz .LBB52_14
.LBB52_18:                              ;   Parent Loop BB52_15 Depth=1
                                        ; =>  This Loop Header: Depth=2
                                        ;       Child Loop BB52_20 Depth 3
	v_ashrrev_i32_e32 v4, 31, v3
	s_mov_b32 s16, 0
	s_delay_alu instid0(VALU_DEP_1) | instskip(SKIP_1) | instid1(VALU_DEP_2)
	v_lshlrev_b64 v[10:11], 2, v[3:4]
	v_lshlrev_b64 v[12:13], 3, v[3:4]
	v_add_co_u32 v10, vcc_lo, s4, v10
	s_delay_alu instid0(VALU_DEP_3)
	v_add_co_ci_u32_e32 v11, vcc_lo, s5, v11, vcc_lo
	global_load_b32 v4, v[10:11], off
	v_add_co_u32 v10, vcc_lo, s6, v12
	v_add_co_ci_u32_e32 v11, vcc_lo, s7, v13, vcc_lo
	global_load_b64 v[12:13], v[10:11], off
	s_waitcnt vmcnt(1)
	v_subrev_nc_u32_e32 v4, s37, v4
	s_delay_alu instid0(VALU_DEP_1) | instskip(SKIP_3) | instid1(VALU_DEP_2)
	v_mul_lo_u32 v14, 0x89, v4
	s_waitcnt vmcnt(0)
	v_mul_f32_e64 v10, v13, -v9
	v_mul_f32_e32 v11, v2, v13
	v_fmac_f32_e32 v10, v2, v12
	s_delay_alu instid0(VALU_DEP_2)
	v_dual_fmac_f32 v11, v9, v12 :: v_dual_and_b32 v12, 0x1fff, v14
	s_branch .LBB52_20
.LBB52_19:                              ;   in Loop: Header=BB52_20 Depth=3
	s_or_b32 exec_lo, exec_lo, s17
	s_xor_b32 s17, s28, -1
	s_delay_alu instid0(SALU_CYCLE_1) | instskip(NEXT) | instid1(SALU_CYCLE_1)
	s_and_b32 s17, exec_lo, s17
	s_or_b32 s16, s17, s16
	s_delay_alu instid0(SALU_CYCLE_1)
	s_and_not1_b32 exec_lo, exec_lo, s16
	s_cbranch_execz .LBB52_17
.LBB52_20:                              ;   Parent Loop BB52_15 Depth=1
                                        ;     Parent Loop BB52_18 Depth=2
                                        ; =>    This Inner Loop Header: Depth=3
	s_delay_alu instid0(VALU_DEP_1)
	v_lshl_add_u32 v13, v12, 2, 0
	s_mov_b32 s17, exec_lo
                                        ; implicit-def: $sgpr28
	ds_load_b32 v14, v13
	s_waitcnt lgkmcnt(0)
	v_cmpx_ne_u32_e64 v14, v4
	s_xor_b32 s17, exec_lo, s17
	s_cbranch_execz .LBB52_28
; %bb.21:                               ;   in Loop: Header=BB52_20 Depth=3
	s_mov_b32 s29, exec_lo
                                        ; implicit-def: $sgpr28
	v_cmpx_ne_u32_e64 s33, v14
	s_xor_b32 s29, exec_lo, s29
; %bb.22:                               ;   in Loop: Header=BB52_20 Depth=3
	v_add_nc_u32_e32 v12, 1, v12
	s_mov_b32 s28, -1
                                        ; implicit-def: $vgpr13
	s_delay_alu instid0(VALU_DEP_1)
	v_and_b32_e32 v12, 0x1fff, v12
; %bb.23:                               ;   in Loop: Header=BB52_20 Depth=3
	s_and_not1_saveexec_b32 s29, s29
	s_cbranch_execz .LBB52_27
; %bb.24:                               ;   in Loop: Header=BB52_20 Depth=3
	v_mov_b32_e32 v14, s33
	s_mov_b32 s30, -1
	s_mov_b32 s31, exec_lo
	ds_cmpstore_rtn_b32 v14, v13, v4, v14
	s_waitcnt lgkmcnt(0)
	v_cmpx_eq_u32_e64 s33, v14
	s_cbranch_execz .LBB52_26
; %bb.25:                               ;   in Loop: Header=BB52_20 Depth=3
	v_lshl_add_u32 v13, v12, 2, v13
	s_xor_b32 s30, exec_lo, -1
	ds_add_f32 v13, v10 offset:32768
	ds_add_f32 v13, v11 offset:32772
.LBB52_26:                              ;   in Loop: Header=BB52_20 Depth=3
	s_or_b32 exec_lo, exec_lo, s31
	s_delay_alu instid0(SALU_CYCLE_1) | instskip(SKIP_1) | instid1(SALU_CYCLE_1)
	s_and_not1_b32 s28, s28, exec_lo
	s_and_b32 s30, s30, exec_lo
	s_or_b32 s28, s28, s30
.LBB52_27:                              ;   in Loop: Header=BB52_20 Depth=3
	s_or_b32 exec_lo, exec_lo, s29
	s_delay_alu instid0(SALU_CYCLE_1)
	s_and_b32 s28, s28, exec_lo
                                        ; implicit-def: $vgpr13
.LBB52_28:                              ;   in Loop: Header=BB52_20 Depth=3
	s_and_not1_saveexec_b32 s17, s17
	s_cbranch_execz .LBB52_19
; %bb.29:                               ;   in Loop: Header=BB52_20 Depth=3
	v_lshl_add_u32 v13, v12, 2, v13
	s_and_not1_b32 s28, s28, exec_lo
	ds_add_f32 v13, v10 offset:32768
	ds_add_f32 v13, v11 offset:32772
	s_branch .LBB52_19
.LBB52_30:
	s_or_b32 exec_lo, exec_lo, s1
.LBB52_31:
	s_delay_alu instid0(SALU_CYCLE_1)
	s_and_not1_b32 vcc_lo, exec_lo, s14
	s_cbranch_vccnz .LBB52_48
; %bb.32:
	s_waitcnt lgkmcnt(0)
	s_ashr_i32 s43, s42, 31
	v_subrev_nc_u32_e32 v1, s39, v0
	s_lshl_b64 s[0:1], s[42:43], 2
	s_delay_alu instid0(SALU_CYCLE_1)
	s_add_u32 s0, s10, s0
	s_addc_u32 s1, s11, s1
	s_load_b64 s[0:1], s[0:1], 0x0
	s_waitcnt lgkmcnt(0)
	v_add_nc_u32_e32 v1, s0, v1
	s_sub_i32 s0, s1, s39
	s_mov_b32 s1, exec_lo
	s_delay_alu instid0(VALU_DEP_1)
	v_cmpx_gt_i32_e64 s0, v1
	s_cbranch_execz .LBB52_47
; %bb.33:
	s_mov_b32 s3, 0
	s_branch .LBB52_35
.LBB52_34:                              ;   in Loop: Header=BB52_35 Depth=1
	s_or_b32 exec_lo, exec_lo, s4
	v_add_nc_u32_e32 v1, 0x400, v1
	s_delay_alu instid0(VALU_DEP_1) | instskip(SKIP_1) | instid1(SALU_CYCLE_1)
	v_cmp_le_i32_e32 vcc_lo, s0, v1
	s_or_b32 s3, vcc_lo, s3
	s_and_not1_b32 exec_lo, exec_lo, s3
	s_cbranch_execz .LBB52_47
.LBB52_35:                              ; =>This Loop Header: Depth=1
                                        ;     Child Loop BB52_37 Depth 2
	v_ashrrev_i32_e32 v2, 31, v1
	s_mov_b32 s4, 0
	s_delay_alu instid0(VALU_DEP_1) | instskip(SKIP_1) | instid1(VALU_DEP_2)
	v_lshlrev_b64 v[3:4], 2, v[1:2]
	v_lshlrev_b64 v[7:8], 3, v[1:2]
	v_add_co_u32 v3, vcc_lo, s24, v3
	s_delay_alu instid0(VALU_DEP_3) | instskip(NEXT) | instid1(VALU_DEP_3)
	v_add_co_ci_u32_e32 v4, vcc_lo, s25, v4, vcc_lo
	v_add_co_u32 v2, vcc_lo, s26, v7
	global_load_b32 v4, v[3:4], off
	v_add_co_ci_u32_e32 v3, vcc_lo, s27, v8, vcc_lo
	global_load_b64 v[7:8], v[2:3], off
	s_waitcnt vmcnt(1)
	v_subrev_nc_u32_e32 v2, s39, v4
	s_delay_alu instid0(VALU_DEP_1) | instskip(SKIP_2) | instid1(VALU_DEP_1)
	v_mul_lo_u32 v9, 0x89, v2
	s_waitcnt vmcnt(0)
	v_mul_f32_e64 v3, v8, -s12
	v_dual_mul_f32 v4, s2, v8 :: v_dual_fmac_f32 v3, s2, v7
	s_delay_alu instid0(VALU_DEP_1)
	v_dual_fmac_f32 v4, s12, v7 :: v_dual_and_b32 v7, 0x1fff, v9
	s_branch .LBB52_37
.LBB52_36:                              ;   in Loop: Header=BB52_37 Depth=2
	s_or_b32 exec_lo, exec_lo, s5
	s_xor_b32 s5, s6, -1
	s_delay_alu instid0(SALU_CYCLE_1) | instskip(NEXT) | instid1(SALU_CYCLE_1)
	s_and_b32 s5, exec_lo, s5
	s_or_b32 s4, s5, s4
	s_delay_alu instid0(SALU_CYCLE_1)
	s_and_not1_b32 exec_lo, exec_lo, s4
	s_cbranch_execz .LBB52_34
.LBB52_37:                              ;   Parent Loop BB52_35 Depth=1
                                        ; =>  This Inner Loop Header: Depth=2
	s_delay_alu instid0(VALU_DEP_1)
	v_lshl_add_u32 v8, v7, 2, 0
	s_mov_b32 s5, exec_lo
                                        ; implicit-def: $sgpr6
	ds_load_b32 v9, v8
	s_waitcnt lgkmcnt(0)
	v_cmpx_ne_u32_e64 v9, v2
	s_xor_b32 s5, exec_lo, s5
	s_cbranch_execz .LBB52_45
; %bb.38:                               ;   in Loop: Header=BB52_37 Depth=2
	s_mov_b32 s7, exec_lo
                                        ; implicit-def: $sgpr6
	v_cmpx_ne_u32_e64 s33, v9
	s_xor_b32 s7, exec_lo, s7
; %bb.39:                               ;   in Loop: Header=BB52_37 Depth=2
	v_add_nc_u32_e32 v7, 1, v7
	s_mov_b32 s6, -1
                                        ; implicit-def: $vgpr8
	s_delay_alu instid0(VALU_DEP_1)
	v_and_b32_e32 v7, 0x1fff, v7
; %bb.40:                               ;   in Loop: Header=BB52_37 Depth=2
	s_and_not1_saveexec_b32 s7, s7
	s_cbranch_execz .LBB52_44
; %bb.41:                               ;   in Loop: Header=BB52_37 Depth=2
	v_mov_b32_e32 v9, s33
	s_mov_b32 s8, -1
	s_mov_b32 s9, exec_lo
	ds_cmpstore_rtn_b32 v9, v8, v2, v9
	s_waitcnt lgkmcnt(0)
	v_cmpx_eq_u32_e64 s33, v9
	s_cbranch_execz .LBB52_43
; %bb.42:                               ;   in Loop: Header=BB52_37 Depth=2
	v_lshl_add_u32 v8, v7, 2, v8
	s_xor_b32 s8, exec_lo, -1
	ds_add_f32 v8, v3 offset:32768
	ds_add_f32 v8, v4 offset:32772
.LBB52_43:                              ;   in Loop: Header=BB52_37 Depth=2
	s_or_b32 exec_lo, exec_lo, s9
	s_delay_alu instid0(SALU_CYCLE_1) | instskip(SKIP_1) | instid1(SALU_CYCLE_1)
	s_and_not1_b32 s6, s6, exec_lo
	s_and_b32 s8, s8, exec_lo
	s_or_b32 s6, s6, s8
.LBB52_44:                              ;   in Loop: Header=BB52_37 Depth=2
	s_or_b32 exec_lo, exec_lo, s7
	s_delay_alu instid0(SALU_CYCLE_1)
	s_and_b32 s6, s6, exec_lo
                                        ; implicit-def: $vgpr8
.LBB52_45:                              ;   in Loop: Header=BB52_37 Depth=2
	s_and_not1_saveexec_b32 s5, s5
	s_cbranch_execz .LBB52_36
; %bb.46:                               ;   in Loop: Header=BB52_37 Depth=2
	v_lshl_add_u32 v8, v7, 2, v8
	s_and_not1_b32 s6, s6, exec_lo
	ds_add_f32 v8, v3 offset:32768
	ds_add_f32 v8, v4 offset:32772
	s_branch .LBB52_36
.LBB52_47:
	s_or_b32 exec_lo, exec_lo, s1
.LBB52_48:
	v_mbcnt_lo_u32_b32 v1, -1, 0
	v_lshrrev_b32_e32 v2, 3, v0
	s_add_i32 s68, 0, 0x1807c
	v_cmp_eq_u32_e32 vcc_lo, 0x3ff, v0
	v_cmp_lt_u32_e64 s0, 31, v0
	v_xor_b32_e32 v1, 63, v1
	v_dual_mov_b32 v8, 0 :: v_dual_and_b32 v3, 0x7c, v2
	v_cmp_lt_u32_e64 s1, 63, v0
	v_cmp_lt_u32_e64 s2, 0x5f, v0
	s_delay_alu instid0(VALU_DEP_4) | instskip(NEXT) | instid1(VALU_DEP_4)
	v_lshrrev_b64 v[1:2], v1, -1
	v_add3_u32 v4, 0, 0x18000, v3
	v_cmp_lt_u32_e64 s3, 0x7f, v0
	v_cmp_lt_u32_e64 s4, 0x9f, v0
	;; [unrolled: 1-line block ×28, first 2 shown]
	v_add3_u32 v6, v6, 0, 0x8000
	v_or_b32_e32 v7, 0xfffffc00, v0
	v_mov_b32_e32 v9, s68
	s_mov_b32 s36, 0
	s_add_i32 s37, 0, 0x18000
	s_add_i32 s39, 0, 0x18004
	;; [unrolled: 1-line block ×31, first 2 shown]
	s_waitcnt lgkmcnt(0)
	s_barrier
	buffer_gl0_inv
	s_branch .LBB52_50
.LBB52_49:                              ;   in Loop: Header=BB52_50 Depth=1
	s_or_b32 exec_lo, exec_lo, s31
	s_waitcnt lgkmcnt(0)
	s_barrier
	buffer_gl0_inv
	ds_load_b32 v2, v9
	v_add_nc_u32_e32 v7, 0x400, v7
	v_add_nc_u32_e32 v6, 0x2000, v6
	;; [unrolled: 1-line block ×3, first 2 shown]
	s_delay_alu instid0(VALU_DEP_3) | instskip(NEXT) | instid1(VALU_DEP_1)
	v_cmp_lt_u32_e64 s31, 0x1bff, v7
	s_or_b32 s36, s31, s36
	s_waitcnt lgkmcnt(0)
	v_add_nc_u32_e32 v8, v2, v8
	s_and_not1_b32 exec_lo, exec_lo, s36
	s_cbranch_execz .LBB52_116
.LBB52_50:                              ; =>This Inner Loop Header: Depth=1
	ds_load_b32 v10, v5
	ds_load_2addr_b32 v[2:3], v6 offset1:1
	s_waitcnt lgkmcnt(0)
	s_barrier
	buffer_gl0_inv
	v_cmp_gt_i32_e64 s31, s33, v10
	s_delay_alu instid0(VALU_DEP_1) | instskip(NEXT) | instid1(SALU_CYCLE_1)
	s_bcnt1_i32_b32 s73, s31
	v_dual_mov_b32 v12, s73 :: v_dual_and_b32 v11, s31, v1
	s_delay_alu instid0(VALU_DEP_1)
	v_bcnt_u32_b32 v11, v11, 0
	ds_store_b32 v4, v12
	s_waitcnt lgkmcnt(0)
	s_barrier
	buffer_gl0_inv
	s_and_saveexec_b32 s73, s0
	s_cbranch_execnz .LBB52_83
; %bb.51:                               ;   in Loop: Header=BB52_50 Depth=1
	s_or_b32 exec_lo, exec_lo, s73
	s_and_saveexec_b32 s73, s1
	s_cbranch_execnz .LBB52_84
.LBB52_52:                              ;   in Loop: Header=BB52_50 Depth=1
	s_or_b32 exec_lo, exec_lo, s73
	s_and_saveexec_b32 s73, s2
	s_cbranch_execnz .LBB52_85
.LBB52_53:                              ;   in Loop: Header=BB52_50 Depth=1
	s_or_b32 exec_lo, exec_lo, s73
	s_and_saveexec_b32 s73, s3
	s_cbranch_execnz .LBB52_86
.LBB52_54:                              ;   in Loop: Header=BB52_50 Depth=1
	s_or_b32 exec_lo, exec_lo, s73
	s_and_saveexec_b32 s73, s4
	s_cbranch_execnz .LBB52_87
.LBB52_55:                              ;   in Loop: Header=BB52_50 Depth=1
	s_or_b32 exec_lo, exec_lo, s73
	s_and_saveexec_b32 s73, s5
	s_cbranch_execnz .LBB52_88
.LBB52_56:                              ;   in Loop: Header=BB52_50 Depth=1
	s_or_b32 exec_lo, exec_lo, s73
	s_and_saveexec_b32 s73, s6
	s_cbranch_execnz .LBB52_89
.LBB52_57:                              ;   in Loop: Header=BB52_50 Depth=1
	s_or_b32 exec_lo, exec_lo, s73
	s_and_saveexec_b32 s73, s7
	s_cbranch_execnz .LBB52_90
.LBB52_58:                              ;   in Loop: Header=BB52_50 Depth=1
	s_or_b32 exec_lo, exec_lo, s73
	s_and_saveexec_b32 s73, s8
	s_cbranch_execnz .LBB52_91
.LBB52_59:                              ;   in Loop: Header=BB52_50 Depth=1
	s_or_b32 exec_lo, exec_lo, s73
	s_and_saveexec_b32 s73, s9
	s_cbranch_execnz .LBB52_92
.LBB52_60:                              ;   in Loop: Header=BB52_50 Depth=1
	s_or_b32 exec_lo, exec_lo, s73
	s_and_saveexec_b32 s73, s10
	s_cbranch_execnz .LBB52_93
.LBB52_61:                              ;   in Loop: Header=BB52_50 Depth=1
	s_or_b32 exec_lo, exec_lo, s73
	s_and_saveexec_b32 s73, s11
	s_cbranch_execnz .LBB52_94
.LBB52_62:                              ;   in Loop: Header=BB52_50 Depth=1
	s_or_b32 exec_lo, exec_lo, s73
	s_and_saveexec_b32 s73, s12
	s_cbranch_execnz .LBB52_95
.LBB52_63:                              ;   in Loop: Header=BB52_50 Depth=1
	s_or_b32 exec_lo, exec_lo, s73
	s_and_saveexec_b32 s73, s13
	s_cbranch_execnz .LBB52_96
.LBB52_64:                              ;   in Loop: Header=BB52_50 Depth=1
	s_or_b32 exec_lo, exec_lo, s73
	s_and_saveexec_b32 s73, s14
	s_cbranch_execnz .LBB52_97
.LBB52_65:                              ;   in Loop: Header=BB52_50 Depth=1
	s_or_b32 exec_lo, exec_lo, s73
	s_and_saveexec_b32 s73, s15
	s_cbranch_execnz .LBB52_98
.LBB52_66:                              ;   in Loop: Header=BB52_50 Depth=1
	s_or_b32 exec_lo, exec_lo, s73
	s_and_saveexec_b32 s73, s16
	s_cbranch_execnz .LBB52_99
.LBB52_67:                              ;   in Loop: Header=BB52_50 Depth=1
	s_or_b32 exec_lo, exec_lo, s73
	s_and_saveexec_b32 s73, s17
	s_cbranch_execnz .LBB52_100
.LBB52_68:                              ;   in Loop: Header=BB52_50 Depth=1
	s_or_b32 exec_lo, exec_lo, s73
	s_and_saveexec_b32 s73, s18
	s_cbranch_execnz .LBB52_101
.LBB52_69:                              ;   in Loop: Header=BB52_50 Depth=1
	s_or_b32 exec_lo, exec_lo, s73
	s_and_saveexec_b32 s73, s19
	s_cbranch_execnz .LBB52_102
.LBB52_70:                              ;   in Loop: Header=BB52_50 Depth=1
	s_or_b32 exec_lo, exec_lo, s73
	s_and_saveexec_b32 s73, s20
	s_cbranch_execnz .LBB52_103
.LBB52_71:                              ;   in Loop: Header=BB52_50 Depth=1
	s_or_b32 exec_lo, exec_lo, s73
	s_and_saveexec_b32 s73, s21
	s_cbranch_execnz .LBB52_104
.LBB52_72:                              ;   in Loop: Header=BB52_50 Depth=1
	s_or_b32 exec_lo, exec_lo, s73
	s_and_saveexec_b32 s73, s22
	s_cbranch_execnz .LBB52_105
.LBB52_73:                              ;   in Loop: Header=BB52_50 Depth=1
	s_or_b32 exec_lo, exec_lo, s73
	s_and_saveexec_b32 s73, s23
	s_cbranch_execnz .LBB52_106
.LBB52_74:                              ;   in Loop: Header=BB52_50 Depth=1
	s_or_b32 exec_lo, exec_lo, s73
	s_and_saveexec_b32 s73, s24
	s_cbranch_execnz .LBB52_107
.LBB52_75:                              ;   in Loop: Header=BB52_50 Depth=1
	s_or_b32 exec_lo, exec_lo, s73
	s_and_saveexec_b32 s73, s25
	s_cbranch_execnz .LBB52_108
.LBB52_76:                              ;   in Loop: Header=BB52_50 Depth=1
	s_or_b32 exec_lo, exec_lo, s73
	s_and_saveexec_b32 s73, s26
	s_cbranch_execnz .LBB52_109
.LBB52_77:                              ;   in Loop: Header=BB52_50 Depth=1
	s_or_b32 exec_lo, exec_lo, s73
	s_and_saveexec_b32 s73, s27
	s_cbranch_execnz .LBB52_110
.LBB52_78:                              ;   in Loop: Header=BB52_50 Depth=1
	s_or_b32 exec_lo, exec_lo, s73
	s_and_saveexec_b32 s73, s28
	s_cbranch_execnz .LBB52_111
.LBB52_79:                              ;   in Loop: Header=BB52_50 Depth=1
	s_or_b32 exec_lo, exec_lo, s73
	s_and_saveexec_b32 s73, s29
	s_cbranch_execnz .LBB52_112
.LBB52_80:                              ;   in Loop: Header=BB52_50 Depth=1
	s_or_b32 exec_lo, exec_lo, s73
	s_and_saveexec_b32 s73, s30
	s_cbranch_execnz .LBB52_113
.LBB52_81:                              ;   in Loop: Header=BB52_50 Depth=1
	s_or_b32 exec_lo, exec_lo, s73
	s_and_saveexec_b32 s73, s31
	s_cbranch_execnz .LBB52_114
.LBB52_82:                              ;   in Loop: Header=BB52_50 Depth=1
	s_or_b32 exec_lo, exec_lo, s73
	s_and_saveexec_b32 s31, vcc_lo
	s_cbranch_execz .LBB52_49
	s_branch .LBB52_115
.LBB52_83:                              ;   in Loop: Header=BB52_50 Depth=1
	v_mov_b32_e32 v12, s37
	ds_load_b32 v12, v12
	s_waitcnt lgkmcnt(0)
	v_add_nc_u32_e32 v11, v12, v11
	s_or_b32 exec_lo, exec_lo, s73
	s_and_saveexec_b32 s73, s1
	s_cbranch_execz .LBB52_52
.LBB52_84:                              ;   in Loop: Header=BB52_50 Depth=1
	v_mov_b32_e32 v12, s39
	ds_load_b32 v12, v12
	s_waitcnt lgkmcnt(0)
	v_add_nc_u32_e32 v11, v12, v11
	s_or_b32 exec_lo, exec_lo, s73
	s_and_saveexec_b32 s73, s2
	s_cbranch_execz .LBB52_53
.LBB52_85:                              ;   in Loop: Header=BB52_50 Depth=1
	v_mov_b32_e32 v12, s43
	ds_load_b32 v12, v12
	s_waitcnt lgkmcnt(0)
	v_add_nc_u32_e32 v11, v12, v11
	s_or_b32 exec_lo, exec_lo, s73
	s_and_saveexec_b32 s73, s3
	s_cbranch_execz .LBB52_54
.LBB52_86:                              ;   in Loop: Header=BB52_50 Depth=1
	v_mov_b32_e32 v12, s44
	ds_load_b32 v12, v12
	s_waitcnt lgkmcnt(0)
	v_add_nc_u32_e32 v11, v12, v11
	s_or_b32 exec_lo, exec_lo, s73
	s_and_saveexec_b32 s73, s4
	s_cbranch_execz .LBB52_55
.LBB52_87:                              ;   in Loop: Header=BB52_50 Depth=1
	v_mov_b32_e32 v12, s45
	ds_load_b32 v12, v12
	s_waitcnt lgkmcnt(0)
	v_add_nc_u32_e32 v11, v12, v11
	s_or_b32 exec_lo, exec_lo, s73
	s_and_saveexec_b32 s73, s5
	s_cbranch_execz .LBB52_56
.LBB52_88:                              ;   in Loop: Header=BB52_50 Depth=1
	v_mov_b32_e32 v12, s46
	ds_load_b32 v12, v12
	s_waitcnt lgkmcnt(0)
	v_add_nc_u32_e32 v11, v12, v11
	s_or_b32 exec_lo, exec_lo, s73
	s_and_saveexec_b32 s73, s6
	s_cbranch_execz .LBB52_57
.LBB52_89:                              ;   in Loop: Header=BB52_50 Depth=1
	v_mov_b32_e32 v12, s47
	ds_load_b32 v12, v12
	s_waitcnt lgkmcnt(0)
	v_add_nc_u32_e32 v11, v12, v11
	s_or_b32 exec_lo, exec_lo, s73
	s_and_saveexec_b32 s73, s7
	s_cbranch_execz .LBB52_58
.LBB52_90:                              ;   in Loop: Header=BB52_50 Depth=1
	v_mov_b32_e32 v12, s48
	ds_load_b32 v12, v12
	s_waitcnt lgkmcnt(0)
	v_add_nc_u32_e32 v11, v12, v11
	s_or_b32 exec_lo, exec_lo, s73
	s_and_saveexec_b32 s73, s8
	s_cbranch_execz .LBB52_59
.LBB52_91:                              ;   in Loop: Header=BB52_50 Depth=1
	v_mov_b32_e32 v12, s49
	ds_load_b32 v12, v12
	s_waitcnt lgkmcnt(0)
	v_add_nc_u32_e32 v11, v12, v11
	s_or_b32 exec_lo, exec_lo, s73
	s_and_saveexec_b32 s73, s9
	s_cbranch_execz .LBB52_60
.LBB52_92:                              ;   in Loop: Header=BB52_50 Depth=1
	v_mov_b32_e32 v12, s50
	ds_load_b32 v12, v12
	s_waitcnt lgkmcnt(0)
	v_add_nc_u32_e32 v11, v12, v11
	s_or_b32 exec_lo, exec_lo, s73
	s_and_saveexec_b32 s73, s10
	s_cbranch_execz .LBB52_61
.LBB52_93:                              ;   in Loop: Header=BB52_50 Depth=1
	v_mov_b32_e32 v12, s51
	ds_load_b32 v12, v12
	s_waitcnt lgkmcnt(0)
	v_add_nc_u32_e32 v11, v12, v11
	s_or_b32 exec_lo, exec_lo, s73
	s_and_saveexec_b32 s73, s11
	s_cbranch_execz .LBB52_62
.LBB52_94:                              ;   in Loop: Header=BB52_50 Depth=1
	v_mov_b32_e32 v12, s52
	ds_load_b32 v12, v12
	s_waitcnt lgkmcnt(0)
	v_add_nc_u32_e32 v11, v12, v11
	s_or_b32 exec_lo, exec_lo, s73
	s_and_saveexec_b32 s73, s12
	s_cbranch_execz .LBB52_63
.LBB52_95:                              ;   in Loop: Header=BB52_50 Depth=1
	v_mov_b32_e32 v12, s53
	ds_load_b32 v12, v12
	s_waitcnt lgkmcnt(0)
	v_add_nc_u32_e32 v11, v12, v11
	s_or_b32 exec_lo, exec_lo, s73
	s_and_saveexec_b32 s73, s13
	s_cbranch_execz .LBB52_64
.LBB52_96:                              ;   in Loop: Header=BB52_50 Depth=1
	v_mov_b32_e32 v12, s54
	ds_load_b32 v12, v12
	s_waitcnt lgkmcnt(0)
	v_add_nc_u32_e32 v11, v12, v11
	s_or_b32 exec_lo, exec_lo, s73
	s_and_saveexec_b32 s73, s14
	s_cbranch_execz .LBB52_65
.LBB52_97:                              ;   in Loop: Header=BB52_50 Depth=1
	v_mov_b32_e32 v12, s55
	ds_load_b32 v12, v12
	s_waitcnt lgkmcnt(0)
	v_add_nc_u32_e32 v11, v12, v11
	s_or_b32 exec_lo, exec_lo, s73
	s_and_saveexec_b32 s73, s15
	s_cbranch_execz .LBB52_66
.LBB52_98:                              ;   in Loop: Header=BB52_50 Depth=1
	v_mov_b32_e32 v12, s56
	ds_load_b32 v12, v12
	s_waitcnt lgkmcnt(0)
	v_add_nc_u32_e32 v11, v12, v11
	s_or_b32 exec_lo, exec_lo, s73
	s_and_saveexec_b32 s73, s16
	s_cbranch_execz .LBB52_67
.LBB52_99:                              ;   in Loop: Header=BB52_50 Depth=1
	v_mov_b32_e32 v12, s57
	ds_load_b32 v12, v12
	s_waitcnt lgkmcnt(0)
	v_add_nc_u32_e32 v11, v12, v11
	s_or_b32 exec_lo, exec_lo, s73
	s_and_saveexec_b32 s73, s17
	s_cbranch_execz .LBB52_68
.LBB52_100:                             ;   in Loop: Header=BB52_50 Depth=1
	v_mov_b32_e32 v12, s58
	ds_load_b32 v12, v12
	s_waitcnt lgkmcnt(0)
	v_add_nc_u32_e32 v11, v12, v11
	s_or_b32 exec_lo, exec_lo, s73
	s_and_saveexec_b32 s73, s18
	s_cbranch_execz .LBB52_69
.LBB52_101:                             ;   in Loop: Header=BB52_50 Depth=1
	v_mov_b32_e32 v12, s59
	ds_load_b32 v12, v12
	s_waitcnt lgkmcnt(0)
	v_add_nc_u32_e32 v11, v12, v11
	s_or_b32 exec_lo, exec_lo, s73
	s_and_saveexec_b32 s73, s19
	s_cbranch_execz .LBB52_70
.LBB52_102:                             ;   in Loop: Header=BB52_50 Depth=1
	v_mov_b32_e32 v12, s60
	ds_load_b32 v12, v12
	s_waitcnt lgkmcnt(0)
	v_add_nc_u32_e32 v11, v12, v11
	s_or_b32 exec_lo, exec_lo, s73
	s_and_saveexec_b32 s73, s20
	s_cbranch_execz .LBB52_71
.LBB52_103:                             ;   in Loop: Header=BB52_50 Depth=1
	v_mov_b32_e32 v12, s61
	ds_load_b32 v12, v12
	s_waitcnt lgkmcnt(0)
	v_add_nc_u32_e32 v11, v12, v11
	s_or_b32 exec_lo, exec_lo, s73
	s_and_saveexec_b32 s73, s21
	s_cbranch_execz .LBB52_72
.LBB52_104:                             ;   in Loop: Header=BB52_50 Depth=1
	v_mov_b32_e32 v12, s62
	ds_load_b32 v12, v12
	s_waitcnt lgkmcnt(0)
	v_add_nc_u32_e32 v11, v12, v11
	s_or_b32 exec_lo, exec_lo, s73
	s_and_saveexec_b32 s73, s22
	s_cbranch_execz .LBB52_73
.LBB52_105:                             ;   in Loop: Header=BB52_50 Depth=1
	v_mov_b32_e32 v12, s63
	ds_load_b32 v12, v12
	s_waitcnt lgkmcnt(0)
	v_add_nc_u32_e32 v11, v12, v11
	s_or_b32 exec_lo, exec_lo, s73
	s_and_saveexec_b32 s73, s23
	s_cbranch_execz .LBB52_74
.LBB52_106:                             ;   in Loop: Header=BB52_50 Depth=1
	v_mov_b32_e32 v12, s64
	ds_load_b32 v12, v12
	s_waitcnt lgkmcnt(0)
	v_add_nc_u32_e32 v11, v12, v11
	s_or_b32 exec_lo, exec_lo, s73
	s_and_saveexec_b32 s73, s24
	s_cbranch_execz .LBB52_75
.LBB52_107:                             ;   in Loop: Header=BB52_50 Depth=1
	v_mov_b32_e32 v12, s65
	ds_load_b32 v12, v12
	s_waitcnt lgkmcnt(0)
	v_add_nc_u32_e32 v11, v12, v11
	s_or_b32 exec_lo, exec_lo, s73
	s_and_saveexec_b32 s73, s25
	s_cbranch_execz .LBB52_76
.LBB52_108:                             ;   in Loop: Header=BB52_50 Depth=1
	v_mov_b32_e32 v12, s66
	ds_load_b32 v12, v12
	s_waitcnt lgkmcnt(0)
	v_add_nc_u32_e32 v11, v12, v11
	s_or_b32 exec_lo, exec_lo, s73
	s_and_saveexec_b32 s73, s26
	s_cbranch_execz .LBB52_77
.LBB52_109:                             ;   in Loop: Header=BB52_50 Depth=1
	v_mov_b32_e32 v12, s67
	ds_load_b32 v12, v12
	s_waitcnt lgkmcnt(0)
	v_add_nc_u32_e32 v11, v12, v11
	s_or_b32 exec_lo, exec_lo, s73
	s_and_saveexec_b32 s73, s27
	s_cbranch_execz .LBB52_78
.LBB52_110:                             ;   in Loop: Header=BB52_50 Depth=1
	v_mov_b32_e32 v12, s69
	ds_load_b32 v12, v12
	s_waitcnt lgkmcnt(0)
	v_add_nc_u32_e32 v11, v12, v11
	s_or_b32 exec_lo, exec_lo, s73
	s_and_saveexec_b32 s73, s28
	s_cbranch_execz .LBB52_79
.LBB52_111:                             ;   in Loop: Header=BB52_50 Depth=1
	v_mov_b32_e32 v12, s70
	ds_load_b32 v12, v12
	s_waitcnt lgkmcnt(0)
	v_add_nc_u32_e32 v11, v12, v11
	s_or_b32 exec_lo, exec_lo, s73
	s_and_saveexec_b32 s73, s29
	s_cbranch_execz .LBB52_80
.LBB52_112:                             ;   in Loop: Header=BB52_50 Depth=1
	v_mov_b32_e32 v12, s71
	ds_load_b32 v12, v12
	s_waitcnt lgkmcnt(0)
	v_add_nc_u32_e32 v11, v12, v11
	s_or_b32 exec_lo, exec_lo, s73
	s_and_saveexec_b32 s73, s30
	s_cbranch_execz .LBB52_81
.LBB52_113:                             ;   in Loop: Header=BB52_50 Depth=1
	v_mov_b32_e32 v12, s72
	ds_load_b32 v12, v12
	s_waitcnt lgkmcnt(0)
	v_add_nc_u32_e32 v11, v12, v11
	s_or_b32 exec_lo, exec_lo, s73
	s_and_saveexec_b32 s73, s31
	s_cbranch_execz .LBB52_82
.LBB52_114:                             ;   in Loop: Header=BB52_50 Depth=1
	s_delay_alu instid0(VALU_DEP_1) | instskip(NEXT) | instid1(VALU_DEP_1)
	v_add3_u32 v12, v8, -1, v11
	v_lshlrev_b32_e32 v13, 3, v12
	v_lshl_add_u32 v12, v12, 2, 0
	s_delay_alu instid0(VALU_DEP_2)
	v_add3_u32 v13, 0, v13, 0x8000
	ds_store_b32 v12, v10
	ds_store_2addr_b32 v13, v2, v3 offset1:1
	s_or_b32 exec_lo, exec_lo, s73
	s_and_saveexec_b32 s31, vcc_lo
	s_cbranch_execz .LBB52_49
.LBB52_115:                             ;   in Loop: Header=BB52_50 Depth=1
	v_mov_b32_e32 v2, s68
	ds_store_b32 v2, v11
	s_branch .LBB52_49
.LBB52_116:
	s_or_b32 exec_lo, exec_lo, s36
	s_ashr_i32 s43, s42, 31
	s_mov_b32 s3, exec_lo
	s_lshl_b64 s[0:1], s[42:43], 2
	s_delay_alu instid0(SALU_CYCLE_1) | instskip(SKIP_4) | instid1(SALU_CYCLE_1)
	s_add_u32 s0, s40, s0
	s_addc_u32 s1, s41, s1
	s_load_b64 s[0:1], s[0:1], 0x0
	s_waitcnt lgkmcnt(0)
	s_sub_i32 s2, s1, s0
	v_cmpx_gt_i32_e64 s2, v0
	s_cbranch_execz .LBB52_126
; %bb.117:
	s_sub_i32 s3, s0, s38
	s_sub_i32 s0, s0, s1
	s_and_b32 s1, s2, 7
	s_cmp_lt_u32 s0, -7
	s_mov_b32 s7, 0
	s_cselect_b32 s4, -1, 0
	s_and_b32 s5, s2, -8
	s_cmp_lg_u32 s1, 0
	s_cselect_b32 s6, -1, 0
	s_branch .LBB52_119
.LBB52_118:                             ;   in Loop: Header=BB52_119 Depth=1
	s_waitcnt lgkmcnt(1)
	s_delay_alu instid0(VALU_DEP_1) | instskip(SKIP_1) | instid1(VALU_DEP_2)
	v_ashrrev_i32_e32 v4, 31, v3
	v_add_nc_u32_e32 v0, 0x400, v0
	v_lshlrev_b64 v[3:4], 3, v[3:4]
	s_delay_alu instid0(VALU_DEP_2) | instskip(SKIP_1) | instid1(VALU_DEP_2)
	v_cmp_le_i32_e32 vcc_lo, s2, v0
	s_or_b32 s7, vcc_lo, s7
	v_add_co_u32 v3, s0, s34, v3
	s_delay_alu instid0(VALU_DEP_1)
	v_add_co_ci_u32_e64 v4, s0, s35, v4, s0
	s_waitcnt lgkmcnt(0)
	global_store_b64 v[3:4], v[1:2], off
	s_and_not1_b32 exec_lo, exec_lo, s7
	s_cbranch_execz .LBB52_126
.LBB52_119:                             ; =>This Loop Header: Depth=1
                                        ;     Child Loop BB52_121 Depth 2
                                        ;     Child Loop BB52_125 Depth 2
	v_lshlrev_b32_e32 v1, 2, v0
	s_and_not1_b32 vcc_lo, exec_lo, s4
	s_mov_b32 s0, 0
	s_delay_alu instid0(VALU_DEP_1) | instskip(NEXT) | instid1(VALU_DEP_1)
	v_dual_mov_b32 v3, s3 :: v_dual_add_nc_u32 v2, 0, v1
	v_add3_u32 v1, v2, v1, 0x8000
	ds_load_b32 v4, v2
	ds_load_2addr_b32 v[1:2], v1 offset1:1
	s_cbranch_vccnz .LBB52_123
; %bb.120:                              ;   in Loop: Header=BB52_119 Depth=1
	v_mov_b32_e32 v3, s3
	s_mov_b32 s8, 0
	s_set_inst_prefetch_distance 0x1
	.p2align	6
.LBB52_121:                             ;   Parent Loop BB52_119 Depth=1
                                        ; =>  This Inner Loop Header: Depth=2
	v_mov_b32_e32 v11, s8
	s_add_i32 s0, s0, 8
	s_add_i32 s8, s8, 32
	s_cmp_eq_u32 s5, s0
	ds_load_2addr_b32 v[5:6], v11 offset1:1
	ds_load_2addr_b32 v[7:8], v11 offset0:2 offset1:3
	ds_load_2addr_b32 v[9:10], v11 offset0:4 offset1:5
	;; [unrolled: 1-line block ×3, first 2 shown]
	s_waitcnt lgkmcnt(3)
	v_cmp_gt_i32_e32 vcc_lo, v4, v5
	v_cndmask_b32_e64 v5, 0, 1, vcc_lo
	s_waitcnt lgkmcnt(2)
	v_cmp_gt_i32_e32 vcc_lo, v4, v7
	v_cndmask_b32_e64 v7, 0, 1, vcc_lo
	v_cmp_gt_i32_e32 vcc_lo, v4, v6
	v_add_co_ci_u32_e32 v3, vcc_lo, v3, v5, vcc_lo
	s_waitcnt lgkmcnt(1)
	v_cmp_gt_i32_e32 vcc_lo, v4, v9
	v_cndmask_b32_e64 v5, 0, 1, vcc_lo
	v_cmp_gt_i32_e32 vcc_lo, v4, v8
	v_add_co_ci_u32_e32 v3, vcc_lo, v3, v7, vcc_lo
	;; [unrolled: 5-line block ×3, first 2 shown]
	v_cmp_gt_i32_e32 vcc_lo, v4, v12
	s_delay_alu instid0(VALU_DEP_2)
	v_add_co_ci_u32_e32 v3, vcc_lo, v3, v6, vcc_lo
	s_cbranch_scc0 .LBB52_121
; %bb.122:                              ;   in Loop: Header=BB52_119 Depth=1
	s_set_inst_prefetch_distance 0x2
	s_mov_b32 s0, s5
.LBB52_123:                             ;   in Loop: Header=BB52_119 Depth=1
	s_and_not1_b32 vcc_lo, exec_lo, s6
	s_cbranch_vccnz .LBB52_118
; %bb.124:                              ;   in Loop: Header=BB52_119 Depth=1
	s_lshl_b32 s0, s0, 2
	s_mov_b32 s8, s1
	s_add_i32 s0, s0, 0
.LBB52_125:                             ;   Parent Loop BB52_119 Depth=1
                                        ; =>  This Inner Loop Header: Depth=2
	s_delay_alu instid0(SALU_CYCLE_1)
	v_mov_b32_e32 v5, s0
	s_add_i32 s8, s8, -1
	s_add_i32 s0, s0, 4
	s_cmp_lg_u32 s8, 0
	ds_load_b32 v5, v5
	s_waitcnt lgkmcnt(0)
	v_cmp_gt_i32_e32 vcc_lo, v4, v5
	v_add_co_ci_u32_e32 v3, vcc_lo, 0, v3, vcc_lo
	s_cbranch_scc1 .LBB52_125
	s_branch .LBB52_118
.LBB52_126:
	s_nop 0
	s_sendmsg sendmsg(MSG_DEALLOC_VGPRS)
	s_endpgm
	.section	.rodata,"a",@progbits
	.p2align	6, 0x0
	.amdhsa_kernel _ZN9rocsparseL41csrgemm_numeric_fill_block_per_row_kernelILj1024ELj64ELj8192ELj137ELj32Eii21rocsparse_complex_numIfEEEvT5_PKS3_S5_NS_24const_host_device_scalarIT6_EEPKT4_S5_PKS7_SB_S5_SD_S8_SB_S5_SD_SB_S5_PS7_21rocsparse_index_base_SF_SF_SF_bbb
		.amdhsa_group_segment_fixed_size 0
		.amdhsa_private_segment_fixed_size 0
		.amdhsa_kernarg_size 156
		.amdhsa_user_sgpr_count 15
		.amdhsa_user_sgpr_dispatch_ptr 0
		.amdhsa_user_sgpr_queue_ptr 0
		.amdhsa_user_sgpr_kernarg_segment_ptr 1
		.amdhsa_user_sgpr_dispatch_id 0
		.amdhsa_user_sgpr_private_segment_size 0
		.amdhsa_wavefront_size32 1
		.amdhsa_uses_dynamic_stack 0
		.amdhsa_enable_private_segment 0
		.amdhsa_system_sgpr_workgroup_id_x 1
		.amdhsa_system_sgpr_workgroup_id_y 0
		.amdhsa_system_sgpr_workgroup_id_z 0
		.amdhsa_system_sgpr_workgroup_info 0
		.amdhsa_system_vgpr_workitem_id 0
		.amdhsa_next_free_vgpr 15
		.amdhsa_next_free_sgpr 74
		.amdhsa_reserve_vcc 1
		.amdhsa_float_round_mode_32 0
		.amdhsa_float_round_mode_16_64 0
		.amdhsa_float_denorm_mode_32 3
		.amdhsa_float_denorm_mode_16_64 3
		.amdhsa_dx10_clamp 1
		.amdhsa_ieee_mode 1
		.amdhsa_fp16_overflow 0
		.amdhsa_workgroup_processor_mode 1
		.amdhsa_memory_ordered 1
		.amdhsa_forward_progress 0
		.amdhsa_shared_vgpr_count 0
		.amdhsa_exception_fp_ieee_invalid_op 0
		.amdhsa_exception_fp_denorm_src 0
		.amdhsa_exception_fp_ieee_div_zero 0
		.amdhsa_exception_fp_ieee_overflow 0
		.amdhsa_exception_fp_ieee_underflow 0
		.amdhsa_exception_fp_ieee_inexact 0
		.amdhsa_exception_int_div_zero 0
	.end_amdhsa_kernel
	.section	.text._ZN9rocsparseL41csrgemm_numeric_fill_block_per_row_kernelILj1024ELj64ELj8192ELj137ELj32Eii21rocsparse_complex_numIfEEEvT5_PKS3_S5_NS_24const_host_device_scalarIT6_EEPKT4_S5_PKS7_SB_S5_SD_S8_SB_S5_SD_SB_S5_PS7_21rocsparse_index_base_SF_SF_SF_bbb,"axG",@progbits,_ZN9rocsparseL41csrgemm_numeric_fill_block_per_row_kernelILj1024ELj64ELj8192ELj137ELj32Eii21rocsparse_complex_numIfEEEvT5_PKS3_S5_NS_24const_host_device_scalarIT6_EEPKT4_S5_PKS7_SB_S5_SD_S8_SB_S5_SD_SB_S5_PS7_21rocsparse_index_base_SF_SF_SF_bbb,comdat
.Lfunc_end52:
	.size	_ZN9rocsparseL41csrgemm_numeric_fill_block_per_row_kernelILj1024ELj64ELj8192ELj137ELj32Eii21rocsparse_complex_numIfEEEvT5_PKS3_S5_NS_24const_host_device_scalarIT6_EEPKT4_S5_PKS7_SB_S5_SD_S8_SB_S5_SD_SB_S5_PS7_21rocsparse_index_base_SF_SF_SF_bbb, .Lfunc_end52-_ZN9rocsparseL41csrgemm_numeric_fill_block_per_row_kernelILj1024ELj64ELj8192ELj137ELj32Eii21rocsparse_complex_numIfEEEvT5_PKS3_S5_NS_24const_host_device_scalarIT6_EEPKT4_S5_PKS7_SB_S5_SD_S8_SB_S5_SD_SB_S5_PS7_21rocsparse_index_base_SF_SF_SF_bbb
                                        ; -- End function
	.section	.AMDGPU.csdata,"",@progbits
; Kernel info:
; codeLenInByte = 4668
; NumSgprs: 76
; NumVgprs: 15
; ScratchSize: 0
; MemoryBound: 0
; FloatMode: 240
; IeeeMode: 1
; LDSByteSize: 0 bytes/workgroup (compile time only)
; SGPRBlocks: 9
; VGPRBlocks: 1
; NumSGPRsForWavesPerEU: 76
; NumVGPRsForWavesPerEU: 15
; Occupancy: 16
; WaveLimiterHint : 1
; COMPUTE_PGM_RSRC2:SCRATCH_EN: 0
; COMPUTE_PGM_RSRC2:USER_SGPR: 15
; COMPUTE_PGM_RSRC2:TRAP_HANDLER: 0
; COMPUTE_PGM_RSRC2:TGID_X_EN: 1
; COMPUTE_PGM_RSRC2:TGID_Y_EN: 0
; COMPUTE_PGM_RSRC2:TGID_Z_EN: 0
; COMPUTE_PGM_RSRC2:TIDIG_COMP_CNT: 0
	.section	.text._ZN9rocsparseL41csrgemm_numeric_fill_block_per_row_kernelILj1024ELj64ELj8192ELj137ELj64Eii21rocsparse_complex_numIfEEEvT5_PKS3_S5_NS_24const_host_device_scalarIT6_EEPKT4_S5_PKS7_SB_S5_SD_S8_SB_S5_SD_SB_S5_PS7_21rocsparse_index_base_SF_SF_SF_bbb,"axG",@progbits,_ZN9rocsparseL41csrgemm_numeric_fill_block_per_row_kernelILj1024ELj64ELj8192ELj137ELj64Eii21rocsparse_complex_numIfEEEvT5_PKS3_S5_NS_24const_host_device_scalarIT6_EEPKT4_S5_PKS7_SB_S5_SD_S8_SB_S5_SD_SB_S5_PS7_21rocsparse_index_base_SF_SF_SF_bbb,comdat
	.globl	_ZN9rocsparseL41csrgemm_numeric_fill_block_per_row_kernelILj1024ELj64ELj8192ELj137ELj64Eii21rocsparse_complex_numIfEEEvT5_PKS3_S5_NS_24const_host_device_scalarIT6_EEPKT4_S5_PKS7_SB_S5_SD_S8_SB_S5_SD_SB_S5_PS7_21rocsparse_index_base_SF_SF_SF_bbb ; -- Begin function _ZN9rocsparseL41csrgemm_numeric_fill_block_per_row_kernelILj1024ELj64ELj8192ELj137ELj64Eii21rocsparse_complex_numIfEEEvT5_PKS3_S5_NS_24const_host_device_scalarIT6_EEPKT4_S5_PKS7_SB_S5_SD_S8_SB_S5_SD_SB_S5_PS7_21rocsparse_index_base_SF_SF_SF_bbb
	.p2align	8
	.type	_ZN9rocsparseL41csrgemm_numeric_fill_block_per_row_kernelILj1024ELj64ELj8192ELj137ELj64Eii21rocsparse_complex_numIfEEEvT5_PKS3_S5_NS_24const_host_device_scalarIT6_EEPKT4_S5_PKS7_SB_S5_SD_S8_SB_S5_SD_SB_S5_PS7_21rocsparse_index_base_SF_SF_SF_bbb,@function
_ZN9rocsparseL41csrgemm_numeric_fill_block_per_row_kernelILj1024ELj64ELj8192ELj137ELj64Eii21rocsparse_complex_numIfEEEvT5_PKS3_S5_NS_24const_host_device_scalarIT6_EEPKT4_S5_PKS7_SB_S5_SD_S8_SB_S5_SD_SB_S5_PS7_21rocsparse_index_base_SF_SF_SF_bbb: ; @_ZN9rocsparseL41csrgemm_numeric_fill_block_per_row_kernelILj1024ELj64ELj8192ELj137ELj64Eii21rocsparse_complex_numIfEEEvT5_PKS3_S5_NS_24const_host_device_scalarIT6_EEPKT4_S5_PKS7_SB_S5_SD_S8_SB_S5_SD_SB_S5_PS7_21rocsparse_index_base_SF_SF_SF_bbb
; %bb.0:
	s_clause 0x7
	s_load_b32 s12, s[0:1], 0x98
	s_load_b64 s[40:41], s[0:1], 0x70
	s_load_b128 s[28:31], s[0:1], 0x60
	s_load_b256 s[4:11], s[0:1], 0x40
	s_load_b128 s[36:39], s[0:1], 0x8
	s_load_b256 s[16:23], s[0:1], 0x20
	s_load_b64 s[34:35], s[0:1], 0x80
	s_load_b128 s[24:27], s[0:1], 0x88
	s_mov_b32 s3, 0
	s_mov_b32 s13, 0
	s_waitcnt lgkmcnt(0)
	s_bitcmp1_b32 s12, 0
	s_cselect_b32 s42, -1, 0
	s_bitcmp1_b32 s12, 16
	s_cselect_b32 s2, -1, 0
	s_delay_alu instid0(SALU_CYCLE_1) | instskip(SKIP_2) | instid1(VALU_DEP_1)
	s_xor_b32 s14, s2, -1
	s_bitcmp0_b32 s12, 0
	v_cndmask_b32_e64 v1, 0, 1, s14
	v_cmp_ne_u32_e32 vcc_lo, 1, v1
	s_cbranch_scc1 .LBB53_5
; %bb.1:
	s_load_b64 s[2:3], s[0:1], 0x18
	s_and_b32 vcc_lo, exec_lo, vcc_lo
	s_waitcnt lgkmcnt(0)
	s_mov_b32 s13, s2
	s_cbranch_vccnz .LBB53_3
; %bb.2:
	s_load_b32 s13, s[2:3], 0x0
.LBB53_3:
	s_and_not1_b32 vcc_lo, exec_lo, s14
	s_cbranch_vccnz .LBB53_5
; %bb.4:
	s_load_b32 s3, s[2:3], 0x4
.LBB53_5:
	s_bitcmp1_b32 s12, 8
	s_cselect_b32 s14, -1, 0
	s_bfe_u32 s2, s12, 0x10008
	s_mov_b32 s12, 0
	s_cmp_eq_u32 s2, 0
	s_mov_b32 s2, 0
	s_cbranch_scc1 .LBB53_11
; %bb.6:
	v_cmp_ne_u32_e32 vcc_lo, 1, v1
	s_mov_b32 s2, s8
	s_cbranch_vccnz .LBB53_8
; %bb.7:
	s_load_b32 s2, s[8:9], 0x0
.LBB53_8:
	v_cmp_ne_u32_e32 vcc_lo, 1, v1
	s_cbranch_vccnz .LBB53_10
; %bb.9:
	s_load_b32 s9, s[8:9], 0x4
.LBB53_10:
	s_waitcnt lgkmcnt(0)
	s_mov_b32 s12, s9
.LBB53_11:
	s_load_b32 s33, s[0:1], 0x0
	v_lshlrev_b32_e32 v1, 2, v0
	v_dual_mov_b32 v3, 0 :: v_dual_lshlrev_b32 v6, 3, v0
	s_mov_b32 s1, 0
	s_delay_alu instid0(VALU_DEP_2) | instskip(NEXT) | instid1(VALU_DEP_2)
	v_add_nc_u32_e32 v5, 0, v1
	v_add3_u32 v2, 0, 0x8000, v6
	s_delay_alu instid0(VALU_DEP_2) | instskip(NEXT) | instid1(VALU_DEP_2)
	v_add3_u32 v1, v5, v1, 0x8000
	v_add_nc_u32_e32 v4, 0x2000, v2
	v_add_nc_u32_e32 v7, 0x4000, v2
	;; [unrolled: 1-line block ×3, first 2 shown]
	s_waitcnt lgkmcnt(0)
	v_dual_mov_b32 v12, s33 :: v_dual_add_nc_u32 v9, 0x8000, v2
	v_mov_b32_e32 v10, s33
	ds_store_2addr_b32 v1, v3, v3 offset1:1
	ds_store_2addr_b32 v4, v3, v3 offset1:1
	;; [unrolled: 1-line block ×4, first 2 shown]
	v_dual_mov_b32 v1, s33 :: v_dual_mov_b32 v4, s33
	v_dual_mov_b32 v7, s33 :: v_dual_mov_b32 v8, s33
	v_mov_b32_e32 v11, s33
	v_mov_b32_e32 v13, s33
	ds_store_2addr_stride64_b32 v5, v1, v4 offset1:16
	ds_store_2addr_stride64_b32 v5, v7, v8 offset0:32 offset1:48
	ds_store_2addr_stride64_b32 v5, v10, v11 offset0:64 offset1:80
	v_add_nc_u32_e32 v1, 0xa000, v2
	v_add_nc_u32_e32 v4, 0xc000, v2
	;; [unrolled: 1-line block ×3, first 2 shown]
	ds_store_2addr_stride64_b32 v5, v12, v13 offset0:96 offset1:112
	ds_store_2addr_b32 v9, v3, v3 offset1:1
	ds_store_2addr_b32 v1, v3, v3 offset1:1
	;; [unrolled: 1-line block ×4, first 2 shown]
	s_waitcnt lgkmcnt(0)
	s_barrier
	buffer_gl0_inv
	s_load_b32 s0, s[36:37], 0x0
	v_lshrrev_b32_e32 v7, 6, v0
	s_waitcnt lgkmcnt(0)
	s_add_i32 s0, s0, s15
	s_delay_alu instid0(SALU_CYCLE_1) | instskip(NEXT) | instid1(SALU_CYCLE_1)
	s_lshl_b64 s[0:1], s[0:1], 2
	s_add_u32 s0, s38, s0
	s_addc_u32 s1, s39, s1
	s_and_not1_b32 vcc_lo, exec_lo, s42
	s_load_b32 s36, s[0:1], 0x0
	s_cbranch_vccnz .LBB53_31
; %bb.12:
	s_waitcnt lgkmcnt(0)
	s_ashr_i32 s37, s36, 31
	v_subrev_nc_u32_e32 v1, s24, v7
	s_lshl_b64 s[0:1], s[36:37], 2
	s_delay_alu instid0(SALU_CYCLE_1)
	s_add_u32 s0, s16, s0
	s_addc_u32 s1, s17, s1
	s_load_b64 s[0:1], s[0:1], 0x0
	s_waitcnt lgkmcnt(0)
	v_add_nc_u32_e32 v1, s0, v1
	s_sub_i32 s0, s1, s24
	s_mov_b32 s1, exec_lo
	s_delay_alu instid0(VALU_DEP_1)
	v_cmpx_gt_i32_e64 s0, v1
	s_cbranch_execz .LBB53_30
; %bb.13:
	v_and_b32_e32 v2, 63, v0
	s_mov_b32 s8, 0
	s_delay_alu instid0(VALU_DEP_1)
	v_subrev_nc_u32_e32 v8, s25, v2
	s_branch .LBB53_15
.LBB53_14:                              ;   in Loop: Header=BB53_15 Depth=1
	s_or_b32 exec_lo, exec_lo, s9
	v_add_nc_u32_e32 v1, 16, v1
	s_delay_alu instid0(VALU_DEP_1) | instskip(SKIP_1) | instid1(SALU_CYCLE_1)
	v_cmp_le_i32_e32 vcc_lo, s0, v1
	s_or_b32 s8, vcc_lo, s8
	s_and_not1_b32 exec_lo, exec_lo, s8
	s_cbranch_execz .LBB53_30
.LBB53_15:                              ; =>This Loop Header: Depth=1
                                        ;     Child Loop BB53_18 Depth 2
                                        ;       Child Loop BB53_20 Depth 3
	v_ashrrev_i32_e32 v2, 31, v1
	s_mov_b32 s9, exec_lo
	s_delay_alu instid0(VALU_DEP_1) | instskip(NEXT) | instid1(VALU_DEP_1)
	v_lshlrev_b64 v[3:4], 2, v[1:2]
	v_add_co_u32 v3, vcc_lo, s18, v3
	s_delay_alu instid0(VALU_DEP_2) | instskip(SKIP_3) | instid1(VALU_DEP_1)
	v_add_co_ci_u32_e32 v4, vcc_lo, s19, v4, vcc_lo
	global_load_b32 v3, v[3:4], off
	s_waitcnt vmcnt(0)
	v_subrev_nc_u32_e32 v3, s24, v3
	v_ashrrev_i32_e32 v4, 31, v3
	s_delay_alu instid0(VALU_DEP_1) | instskip(NEXT) | instid1(VALU_DEP_1)
	v_lshlrev_b64 v[3:4], 2, v[3:4]
	v_add_co_u32 v3, vcc_lo, s22, v3
	s_delay_alu instid0(VALU_DEP_2) | instskip(SKIP_4) | instid1(VALU_DEP_1)
	v_add_co_ci_u32_e32 v4, vcc_lo, s23, v4, vcc_lo
	global_load_b64 v[3:4], v[3:4], off
	s_waitcnt vmcnt(0)
	v_subrev_nc_u32_e32 v9, s25, v4
	v_add_nc_u32_e32 v3, v3, v8
	v_cmpx_lt_i32_e64 v3, v9
	s_cbranch_execz .LBB53_14
; %bb.16:                               ;   in Loop: Header=BB53_15 Depth=1
	v_lshlrev_b64 v[10:11], 3, v[1:2]
	s_mov_b32 s15, 0
	s_delay_alu instid0(VALU_DEP_1) | instskip(NEXT) | instid1(VALU_DEP_2)
	v_add_co_u32 v10, vcc_lo, s20, v10
	v_add_co_ci_u32_e32 v11, vcc_lo, s21, v11, vcc_lo
	global_load_b64 v[11:12], v[10:11], off
	s_waitcnt vmcnt(0)
	v_mul_f32_e64 v2, v12, -s3
	v_mul_f32_e32 v10, s13, v12
	s_delay_alu instid0(VALU_DEP_2) | instskip(NEXT) | instid1(VALU_DEP_2)
	v_fmac_f32_e32 v2, s13, v11
	v_fmac_f32_e32 v10, s3, v11
	s_branch .LBB53_18
.LBB53_17:                              ;   in Loop: Header=BB53_18 Depth=2
	s_or_b32 exec_lo, exec_lo, s16
	v_add_nc_u32_e32 v3, 64, v3
	s_delay_alu instid0(VALU_DEP_1) | instskip(SKIP_1) | instid1(SALU_CYCLE_1)
	v_cmp_ge_i32_e32 vcc_lo, v3, v9
	s_or_b32 s15, vcc_lo, s15
	s_and_not1_b32 exec_lo, exec_lo, s15
	s_cbranch_execz .LBB53_14
.LBB53_18:                              ;   Parent Loop BB53_15 Depth=1
                                        ; =>  This Loop Header: Depth=2
                                        ;       Child Loop BB53_20 Depth 3
	v_ashrrev_i32_e32 v4, 31, v3
	s_mov_b32 s16, 0
	s_delay_alu instid0(VALU_DEP_1) | instskip(SKIP_1) | instid1(VALU_DEP_2)
	v_lshlrev_b64 v[11:12], 2, v[3:4]
	v_lshlrev_b64 v[13:14], 3, v[3:4]
	v_add_co_u32 v11, vcc_lo, s4, v11
	s_delay_alu instid0(VALU_DEP_3)
	v_add_co_ci_u32_e32 v12, vcc_lo, s5, v12, vcc_lo
	global_load_b32 v4, v[11:12], off
	v_add_co_u32 v11, vcc_lo, s6, v13
	v_add_co_ci_u32_e32 v12, vcc_lo, s7, v14, vcc_lo
	global_load_b64 v[13:14], v[11:12], off
	s_waitcnt vmcnt(1)
	v_subrev_nc_u32_e32 v4, s25, v4
	s_delay_alu instid0(VALU_DEP_1) | instskip(SKIP_3) | instid1(VALU_DEP_2)
	v_mul_lo_u32 v15, 0x89, v4
	s_waitcnt vmcnt(0)
	v_mul_f32_e64 v11, v14, -v10
	v_mul_f32_e32 v12, v2, v14
	v_fmac_f32_e32 v11, v2, v13
	s_delay_alu instid0(VALU_DEP_2)
	v_dual_fmac_f32 v12, v10, v13 :: v_dual_and_b32 v13, 0x1fff, v15
	s_branch .LBB53_20
.LBB53_19:                              ;   in Loop: Header=BB53_20 Depth=3
	s_or_b32 exec_lo, exec_lo, s17
	s_xor_b32 s17, s37, -1
	s_delay_alu instid0(SALU_CYCLE_1) | instskip(NEXT) | instid1(SALU_CYCLE_1)
	s_and_b32 s17, exec_lo, s17
	s_or_b32 s16, s17, s16
	s_delay_alu instid0(SALU_CYCLE_1)
	s_and_not1_b32 exec_lo, exec_lo, s16
	s_cbranch_execz .LBB53_17
.LBB53_20:                              ;   Parent Loop BB53_15 Depth=1
                                        ;     Parent Loop BB53_18 Depth=2
                                        ; =>    This Inner Loop Header: Depth=3
	s_delay_alu instid0(VALU_DEP_1)
	v_lshl_add_u32 v14, v13, 2, 0
	s_mov_b32 s17, exec_lo
                                        ; implicit-def: $sgpr37
	ds_load_b32 v15, v14
	s_waitcnt lgkmcnt(0)
	v_cmpx_ne_u32_e64 v15, v4
	s_xor_b32 s17, exec_lo, s17
	s_cbranch_execz .LBB53_28
; %bb.21:                               ;   in Loop: Header=BB53_20 Depth=3
	s_mov_b32 s38, exec_lo
                                        ; implicit-def: $sgpr37
	v_cmpx_ne_u32_e64 s33, v15
	s_xor_b32 s38, exec_lo, s38
; %bb.22:                               ;   in Loop: Header=BB53_20 Depth=3
	v_add_nc_u32_e32 v13, 1, v13
	s_mov_b32 s37, -1
                                        ; implicit-def: $vgpr14
	s_delay_alu instid0(VALU_DEP_1)
	v_and_b32_e32 v13, 0x1fff, v13
; %bb.23:                               ;   in Loop: Header=BB53_20 Depth=3
	s_and_not1_saveexec_b32 s38, s38
	s_cbranch_execz .LBB53_27
; %bb.24:                               ;   in Loop: Header=BB53_20 Depth=3
	v_mov_b32_e32 v15, s33
	s_mov_b32 s39, -1
	s_mov_b32 s42, exec_lo
	ds_cmpstore_rtn_b32 v15, v14, v4, v15
	s_waitcnt lgkmcnt(0)
	v_cmpx_eq_u32_e64 s33, v15
	s_cbranch_execz .LBB53_26
; %bb.25:                               ;   in Loop: Header=BB53_20 Depth=3
	v_lshl_add_u32 v14, v13, 2, v14
	s_xor_b32 s39, exec_lo, -1
	ds_add_f32 v14, v11 offset:32768
	ds_add_f32 v14, v12 offset:32772
.LBB53_26:                              ;   in Loop: Header=BB53_20 Depth=3
	s_or_b32 exec_lo, exec_lo, s42
	s_delay_alu instid0(SALU_CYCLE_1) | instskip(SKIP_1) | instid1(SALU_CYCLE_1)
	s_and_not1_b32 s37, s37, exec_lo
	s_and_b32 s39, s39, exec_lo
	s_or_b32 s37, s37, s39
.LBB53_27:                              ;   in Loop: Header=BB53_20 Depth=3
	s_or_b32 exec_lo, exec_lo, s38
	s_delay_alu instid0(SALU_CYCLE_1)
	s_and_b32 s37, s37, exec_lo
                                        ; implicit-def: $vgpr14
.LBB53_28:                              ;   in Loop: Header=BB53_20 Depth=3
	s_and_not1_saveexec_b32 s17, s17
	s_cbranch_execz .LBB53_19
; %bb.29:                               ;   in Loop: Header=BB53_20 Depth=3
	v_lshl_add_u32 v14, v13, 2, v14
	s_and_not1_b32 s37, s37, exec_lo
	ds_add_f32 v14, v11 offset:32768
	ds_add_f32 v14, v12 offset:32772
	s_branch .LBB53_19
.LBB53_30:
	s_or_b32 exec_lo, exec_lo, s1
.LBB53_31:
	s_delay_alu instid0(SALU_CYCLE_1)
	s_and_not1_b32 vcc_lo, exec_lo, s14
	s_cbranch_vccnz .LBB53_48
; %bb.32:
	s_waitcnt lgkmcnt(0)
	s_ashr_i32 s37, s36, 31
	v_subrev_nc_u32_e32 v1, s27, v0
	s_lshl_b64 s[0:1], s[36:37], 2
	s_delay_alu instid0(SALU_CYCLE_1)
	s_add_u32 s0, s10, s0
	s_addc_u32 s1, s11, s1
	s_load_b64 s[0:1], s[0:1], 0x0
	s_waitcnt lgkmcnt(0)
	v_add_nc_u32_e32 v1, s0, v1
	s_sub_i32 s0, s1, s27
	s_mov_b32 s1, exec_lo
	s_delay_alu instid0(VALU_DEP_1)
	v_cmpx_gt_i32_e64 s0, v1
	s_cbranch_execz .LBB53_47
; %bb.33:
	s_mov_b32 s3, 0
	s_branch .LBB53_35
.LBB53_34:                              ;   in Loop: Header=BB53_35 Depth=1
	s_or_b32 exec_lo, exec_lo, s4
	v_add_nc_u32_e32 v1, 0x400, v1
	s_delay_alu instid0(VALU_DEP_1) | instskip(SKIP_1) | instid1(SALU_CYCLE_1)
	v_cmp_le_i32_e32 vcc_lo, s0, v1
	s_or_b32 s3, vcc_lo, s3
	s_and_not1_b32 exec_lo, exec_lo, s3
	s_cbranch_execz .LBB53_47
.LBB53_35:                              ; =>This Loop Header: Depth=1
                                        ;     Child Loop BB53_37 Depth 2
	v_ashrrev_i32_e32 v2, 31, v1
	s_mov_b32 s4, 0
	s_delay_alu instid0(VALU_DEP_1) | instskip(SKIP_1) | instid1(VALU_DEP_2)
	v_lshlrev_b64 v[3:4], 2, v[1:2]
	v_lshlrev_b64 v[8:9], 3, v[1:2]
	v_add_co_u32 v3, vcc_lo, s28, v3
	s_delay_alu instid0(VALU_DEP_3) | instskip(NEXT) | instid1(VALU_DEP_3)
	v_add_co_ci_u32_e32 v4, vcc_lo, s29, v4, vcc_lo
	v_add_co_u32 v2, vcc_lo, s30, v8
	global_load_b32 v4, v[3:4], off
	v_add_co_ci_u32_e32 v3, vcc_lo, s31, v9, vcc_lo
	global_load_b64 v[8:9], v[2:3], off
	s_waitcnt vmcnt(1)
	v_subrev_nc_u32_e32 v2, s27, v4
	s_delay_alu instid0(VALU_DEP_1) | instskip(SKIP_2) | instid1(VALU_DEP_1)
	v_mul_lo_u32 v10, 0x89, v2
	s_waitcnt vmcnt(0)
	v_mul_f32_e64 v3, v9, -s12
	v_dual_mul_f32 v4, s2, v9 :: v_dual_fmac_f32 v3, s2, v8
	s_delay_alu instid0(VALU_DEP_1) | instskip(NEXT) | instid1(VALU_DEP_4)
	v_fmac_f32_e32 v4, s12, v8
	v_and_b32_e32 v8, 0x1fff, v10
	s_branch .LBB53_37
.LBB53_36:                              ;   in Loop: Header=BB53_37 Depth=2
	s_or_b32 exec_lo, exec_lo, s5
	s_xor_b32 s5, s6, -1
	s_delay_alu instid0(SALU_CYCLE_1) | instskip(NEXT) | instid1(SALU_CYCLE_1)
	s_and_b32 s5, exec_lo, s5
	s_or_b32 s4, s5, s4
	s_delay_alu instid0(SALU_CYCLE_1)
	s_and_not1_b32 exec_lo, exec_lo, s4
	s_cbranch_execz .LBB53_34
.LBB53_37:                              ;   Parent Loop BB53_35 Depth=1
                                        ; =>  This Inner Loop Header: Depth=2
	s_delay_alu instid0(VALU_DEP_1)
	v_lshl_add_u32 v9, v8, 2, 0
	s_mov_b32 s5, exec_lo
                                        ; implicit-def: $sgpr6
	ds_load_b32 v10, v9
	s_waitcnt lgkmcnt(0)
	v_cmpx_ne_u32_e64 v10, v2
	s_xor_b32 s5, exec_lo, s5
	s_cbranch_execz .LBB53_45
; %bb.38:                               ;   in Loop: Header=BB53_37 Depth=2
	s_mov_b32 s7, exec_lo
                                        ; implicit-def: $sgpr6
	v_cmpx_ne_u32_e64 s33, v10
	s_xor_b32 s7, exec_lo, s7
; %bb.39:                               ;   in Loop: Header=BB53_37 Depth=2
	v_add_nc_u32_e32 v8, 1, v8
	s_mov_b32 s6, -1
                                        ; implicit-def: $vgpr9
	s_delay_alu instid0(VALU_DEP_1)
	v_and_b32_e32 v8, 0x1fff, v8
; %bb.40:                               ;   in Loop: Header=BB53_37 Depth=2
	s_and_not1_saveexec_b32 s7, s7
	s_cbranch_execz .LBB53_44
; %bb.41:                               ;   in Loop: Header=BB53_37 Depth=2
	v_mov_b32_e32 v10, s33
	s_mov_b32 s8, -1
	s_mov_b32 s9, exec_lo
	ds_cmpstore_rtn_b32 v10, v9, v2, v10
	s_waitcnt lgkmcnt(0)
	v_cmpx_eq_u32_e64 s33, v10
	s_cbranch_execz .LBB53_43
; %bb.42:                               ;   in Loop: Header=BB53_37 Depth=2
	v_lshl_add_u32 v9, v8, 2, v9
	s_xor_b32 s8, exec_lo, -1
	ds_add_f32 v9, v3 offset:32768
	ds_add_f32 v9, v4 offset:32772
.LBB53_43:                              ;   in Loop: Header=BB53_37 Depth=2
	s_or_b32 exec_lo, exec_lo, s9
	s_delay_alu instid0(SALU_CYCLE_1) | instskip(SKIP_1) | instid1(SALU_CYCLE_1)
	s_and_not1_b32 s6, s6, exec_lo
	s_and_b32 s8, s8, exec_lo
	s_or_b32 s6, s6, s8
.LBB53_44:                              ;   in Loop: Header=BB53_37 Depth=2
	s_or_b32 exec_lo, exec_lo, s7
	s_delay_alu instid0(SALU_CYCLE_1)
	s_and_b32 s6, s6, exec_lo
                                        ; implicit-def: $vgpr9
.LBB53_45:                              ;   in Loop: Header=BB53_37 Depth=2
	s_and_not1_saveexec_b32 s5, s5
	s_cbranch_execz .LBB53_36
; %bb.46:                               ;   in Loop: Header=BB53_37 Depth=2
	v_lshl_add_u32 v9, v8, 2, v9
	s_and_not1_b32 s6, s6, exec_lo
	ds_add_f32 v9, v3 offset:32768
	ds_add_f32 v9, v4 offset:32772
	s_branch .LBB53_36
.LBB53_47:
	s_or_b32 exec_lo, exec_lo, s1
.LBB53_48:
	v_mbcnt_lo_u32_b32 v1, -1, 0
	s_add_i32 s29, 0, 0x1803c
	s_delay_alu instid0(SALU_CYCLE_1) | instskip(SKIP_1) | instid1(VALU_DEP_3)
	v_dual_mov_b32 v9, s29 :: v_dual_lshlrev_b32 v2, 2, v7
	v_cmp_eq_u32_e32 vcc_lo, 0x3ff, v0
	v_xor_b32_e32 v1, 63, v1
	v_cmp_lt_u32_e64 s0, 63, v0
	s_delay_alu instid0(VALU_DEP_4)
	v_add3_u32 v4, 0, 0x18000, v2
	v_cmp_lt_u32_e64 s1, 0x7f, v0
	v_cmp_lt_u32_e64 s2, 0xbf, v0
	v_lshrrev_b64 v[1:2], v1, -1
	v_cmp_lt_u32_e64 s3, 0xff, v0
	v_cmp_lt_u32_e64 s4, 0x13f, v0
	;; [unrolled: 1-line block ×12, first 2 shown]
	v_add3_u32 v6, v6, 0, 0x8000
	v_or_b32_e32 v7, 0xfffffc00, v0
	v_mov_b32_e32 v8, 0
	s_mov_b32 s16, 0
	s_add_i32 s17, 0, 0x18000
	s_add_i32 s18, 0, 0x18004
	;; [unrolled: 1-line block ×15, first 2 shown]
	s_waitcnt lgkmcnt(0)
	s_barrier
	buffer_gl0_inv
	s_branch .LBB53_50
.LBB53_49:                              ;   in Loop: Header=BB53_50 Depth=1
	s_or_b32 exec_lo, exec_lo, s15
	s_waitcnt lgkmcnt(0)
	s_barrier
	buffer_gl0_inv
	ds_load_b32 v2, v9
	v_add_nc_u32_e32 v7, 0x400, v7
	v_add_nc_u32_e32 v6, 0x2000, v6
	;; [unrolled: 1-line block ×3, first 2 shown]
	s_delay_alu instid0(VALU_DEP_3) | instskip(NEXT) | instid1(VALU_DEP_1)
	v_cmp_lt_u32_e64 s15, 0x1bff, v7
	s_or_b32 s16, s15, s16
	s_waitcnt lgkmcnt(0)
	v_add_nc_u32_e32 v8, v2, v8
	s_and_not1_b32 exec_lo, exec_lo, s16
	s_cbranch_execz .LBB53_84
.LBB53_50:                              ; =>This Inner Loop Header: Depth=1
	ds_load_b32 v10, v5
	ds_load_2addr_b32 v[2:3], v6 offset1:1
	s_waitcnt lgkmcnt(0)
	s_barrier
	buffer_gl0_inv
	v_cmp_gt_i32_e64 s15, s33, v10
	s_delay_alu instid0(VALU_DEP_1) | instskip(NEXT) | instid1(SALU_CYCLE_1)
	s_bcnt1_i32_b32 s39, s15
	v_dual_mov_b32 v12, s39 :: v_dual_and_b32 v11, s15, v1
	s_delay_alu instid0(VALU_DEP_1)
	v_bcnt_u32_b32 v11, v11, 0
	ds_store_b32 v4, v12
	s_waitcnt lgkmcnt(0)
	s_barrier
	buffer_gl0_inv
	s_and_saveexec_b32 s39, s0
	s_cbranch_execnz .LBB53_67
; %bb.51:                               ;   in Loop: Header=BB53_50 Depth=1
	s_or_b32 exec_lo, exec_lo, s39
	s_and_saveexec_b32 s39, s1
	s_cbranch_execnz .LBB53_68
.LBB53_52:                              ;   in Loop: Header=BB53_50 Depth=1
	s_or_b32 exec_lo, exec_lo, s39
	s_and_saveexec_b32 s39, s2
	s_cbranch_execnz .LBB53_69
.LBB53_53:                              ;   in Loop: Header=BB53_50 Depth=1
	s_or_b32 exec_lo, exec_lo, s39
	s_and_saveexec_b32 s39, s3
	s_cbranch_execnz .LBB53_70
.LBB53_54:                              ;   in Loop: Header=BB53_50 Depth=1
	s_or_b32 exec_lo, exec_lo, s39
	s_and_saveexec_b32 s39, s4
	s_cbranch_execnz .LBB53_71
.LBB53_55:                              ;   in Loop: Header=BB53_50 Depth=1
	s_or_b32 exec_lo, exec_lo, s39
	s_and_saveexec_b32 s39, s5
	s_cbranch_execnz .LBB53_72
.LBB53_56:                              ;   in Loop: Header=BB53_50 Depth=1
	s_or_b32 exec_lo, exec_lo, s39
	s_and_saveexec_b32 s39, s6
	s_cbranch_execnz .LBB53_73
.LBB53_57:                              ;   in Loop: Header=BB53_50 Depth=1
	s_or_b32 exec_lo, exec_lo, s39
	s_and_saveexec_b32 s39, s7
	s_cbranch_execnz .LBB53_74
.LBB53_58:                              ;   in Loop: Header=BB53_50 Depth=1
	s_or_b32 exec_lo, exec_lo, s39
	s_and_saveexec_b32 s39, s8
	s_cbranch_execnz .LBB53_75
.LBB53_59:                              ;   in Loop: Header=BB53_50 Depth=1
	s_or_b32 exec_lo, exec_lo, s39
	s_and_saveexec_b32 s39, s9
	s_cbranch_execnz .LBB53_76
.LBB53_60:                              ;   in Loop: Header=BB53_50 Depth=1
	s_or_b32 exec_lo, exec_lo, s39
	s_and_saveexec_b32 s39, s10
	s_cbranch_execnz .LBB53_77
.LBB53_61:                              ;   in Loop: Header=BB53_50 Depth=1
	s_or_b32 exec_lo, exec_lo, s39
	s_and_saveexec_b32 s39, s11
	s_cbranch_execnz .LBB53_78
.LBB53_62:                              ;   in Loop: Header=BB53_50 Depth=1
	s_or_b32 exec_lo, exec_lo, s39
	s_and_saveexec_b32 s39, s12
	s_cbranch_execnz .LBB53_79
.LBB53_63:                              ;   in Loop: Header=BB53_50 Depth=1
	s_or_b32 exec_lo, exec_lo, s39
	s_and_saveexec_b32 s39, s13
	s_cbranch_execnz .LBB53_80
.LBB53_64:                              ;   in Loop: Header=BB53_50 Depth=1
	s_or_b32 exec_lo, exec_lo, s39
	s_and_saveexec_b32 s39, s14
	s_cbranch_execnz .LBB53_81
.LBB53_65:                              ;   in Loop: Header=BB53_50 Depth=1
	s_or_b32 exec_lo, exec_lo, s39
	s_and_saveexec_b32 s39, s15
	s_cbranch_execnz .LBB53_82
.LBB53_66:                              ;   in Loop: Header=BB53_50 Depth=1
	s_or_b32 exec_lo, exec_lo, s39
	s_and_saveexec_b32 s15, vcc_lo
	s_cbranch_execz .LBB53_49
	s_branch .LBB53_83
.LBB53_67:                              ;   in Loop: Header=BB53_50 Depth=1
	v_mov_b32_e32 v12, s17
	ds_load_b32 v12, v12
	s_waitcnt lgkmcnt(0)
	v_add_nc_u32_e32 v11, v12, v11
	s_or_b32 exec_lo, exec_lo, s39
	s_and_saveexec_b32 s39, s1
	s_cbranch_execz .LBB53_52
.LBB53_68:                              ;   in Loop: Header=BB53_50 Depth=1
	v_mov_b32_e32 v12, s18
	ds_load_b32 v12, v12
	s_waitcnt lgkmcnt(0)
	v_add_nc_u32_e32 v11, v12, v11
	s_or_b32 exec_lo, exec_lo, s39
	s_and_saveexec_b32 s39, s2
	s_cbranch_execz .LBB53_53
.LBB53_69:                              ;   in Loop: Header=BB53_50 Depth=1
	v_mov_b32_e32 v12, s19
	ds_load_b32 v12, v12
	s_waitcnt lgkmcnt(0)
	v_add_nc_u32_e32 v11, v12, v11
	s_or_b32 exec_lo, exec_lo, s39
	s_and_saveexec_b32 s39, s3
	s_cbranch_execz .LBB53_54
.LBB53_70:                              ;   in Loop: Header=BB53_50 Depth=1
	v_mov_b32_e32 v12, s20
	ds_load_b32 v12, v12
	s_waitcnt lgkmcnt(0)
	v_add_nc_u32_e32 v11, v12, v11
	s_or_b32 exec_lo, exec_lo, s39
	s_and_saveexec_b32 s39, s4
	s_cbranch_execz .LBB53_55
.LBB53_71:                              ;   in Loop: Header=BB53_50 Depth=1
	v_mov_b32_e32 v12, s21
	ds_load_b32 v12, v12
	s_waitcnt lgkmcnt(0)
	v_add_nc_u32_e32 v11, v12, v11
	s_or_b32 exec_lo, exec_lo, s39
	s_and_saveexec_b32 s39, s5
	s_cbranch_execz .LBB53_56
.LBB53_72:                              ;   in Loop: Header=BB53_50 Depth=1
	v_mov_b32_e32 v12, s22
	ds_load_b32 v12, v12
	s_waitcnt lgkmcnt(0)
	v_add_nc_u32_e32 v11, v12, v11
	s_or_b32 exec_lo, exec_lo, s39
	s_and_saveexec_b32 s39, s6
	s_cbranch_execz .LBB53_57
.LBB53_73:                              ;   in Loop: Header=BB53_50 Depth=1
	v_mov_b32_e32 v12, s23
	ds_load_b32 v12, v12
	s_waitcnt lgkmcnt(0)
	v_add_nc_u32_e32 v11, v12, v11
	s_or_b32 exec_lo, exec_lo, s39
	s_and_saveexec_b32 s39, s7
	s_cbranch_execz .LBB53_58
.LBB53_74:                              ;   in Loop: Header=BB53_50 Depth=1
	v_mov_b32_e32 v12, s24
	ds_load_b32 v12, v12
	s_waitcnt lgkmcnt(0)
	v_add_nc_u32_e32 v11, v12, v11
	s_or_b32 exec_lo, exec_lo, s39
	s_and_saveexec_b32 s39, s8
	s_cbranch_execz .LBB53_59
.LBB53_75:                              ;   in Loop: Header=BB53_50 Depth=1
	v_mov_b32_e32 v12, s25
	ds_load_b32 v12, v12
	s_waitcnt lgkmcnt(0)
	v_add_nc_u32_e32 v11, v12, v11
	s_or_b32 exec_lo, exec_lo, s39
	s_and_saveexec_b32 s39, s9
	s_cbranch_execz .LBB53_60
.LBB53_76:                              ;   in Loop: Header=BB53_50 Depth=1
	v_mov_b32_e32 v12, s27
	ds_load_b32 v12, v12
	s_waitcnt lgkmcnt(0)
	v_add_nc_u32_e32 v11, v12, v11
	s_or_b32 exec_lo, exec_lo, s39
	s_and_saveexec_b32 s39, s10
	s_cbranch_execz .LBB53_61
.LBB53_77:                              ;   in Loop: Header=BB53_50 Depth=1
	v_mov_b32_e32 v12, s28
	ds_load_b32 v12, v12
	s_waitcnt lgkmcnt(0)
	v_add_nc_u32_e32 v11, v12, v11
	s_or_b32 exec_lo, exec_lo, s39
	s_and_saveexec_b32 s39, s11
	s_cbranch_execz .LBB53_62
.LBB53_78:                              ;   in Loop: Header=BB53_50 Depth=1
	v_mov_b32_e32 v12, s30
	ds_load_b32 v12, v12
	s_waitcnt lgkmcnt(0)
	v_add_nc_u32_e32 v11, v12, v11
	s_or_b32 exec_lo, exec_lo, s39
	s_and_saveexec_b32 s39, s12
	s_cbranch_execz .LBB53_63
.LBB53_79:                              ;   in Loop: Header=BB53_50 Depth=1
	v_mov_b32_e32 v12, s31
	ds_load_b32 v12, v12
	s_waitcnt lgkmcnt(0)
	v_add_nc_u32_e32 v11, v12, v11
	s_or_b32 exec_lo, exec_lo, s39
	s_and_saveexec_b32 s39, s13
	s_cbranch_execz .LBB53_64
.LBB53_80:                              ;   in Loop: Header=BB53_50 Depth=1
	v_mov_b32_e32 v12, s37
	ds_load_b32 v12, v12
	s_waitcnt lgkmcnt(0)
	v_add_nc_u32_e32 v11, v12, v11
	s_or_b32 exec_lo, exec_lo, s39
	s_and_saveexec_b32 s39, s14
	s_cbranch_execz .LBB53_65
.LBB53_81:                              ;   in Loop: Header=BB53_50 Depth=1
	v_mov_b32_e32 v12, s38
	ds_load_b32 v12, v12
	s_waitcnt lgkmcnt(0)
	v_add_nc_u32_e32 v11, v12, v11
	s_or_b32 exec_lo, exec_lo, s39
	s_and_saveexec_b32 s39, s15
	s_cbranch_execz .LBB53_66
.LBB53_82:                              ;   in Loop: Header=BB53_50 Depth=1
	s_delay_alu instid0(VALU_DEP_1) | instskip(NEXT) | instid1(VALU_DEP_1)
	v_add3_u32 v12, v8, -1, v11
	v_lshlrev_b32_e32 v13, 3, v12
	v_lshl_add_u32 v12, v12, 2, 0
	s_delay_alu instid0(VALU_DEP_2)
	v_add3_u32 v13, 0, v13, 0x8000
	ds_store_b32 v12, v10
	ds_store_2addr_b32 v13, v2, v3 offset1:1
	s_or_b32 exec_lo, exec_lo, s39
	s_and_saveexec_b32 s15, vcc_lo
	s_cbranch_execz .LBB53_49
.LBB53_83:                              ;   in Loop: Header=BB53_50 Depth=1
	v_mov_b32_e32 v2, s29
	ds_store_b32 v2, v11
	s_branch .LBB53_49
.LBB53_84:
	s_or_b32 exec_lo, exec_lo, s16
	s_ashr_i32 s37, s36, 31
	s_mov_b32 s3, exec_lo
	s_lshl_b64 s[0:1], s[36:37], 2
	s_delay_alu instid0(SALU_CYCLE_1) | instskip(SKIP_4) | instid1(SALU_CYCLE_1)
	s_add_u32 s0, s40, s0
	s_addc_u32 s1, s41, s1
	s_load_b64 s[0:1], s[0:1], 0x0
	s_waitcnt lgkmcnt(0)
	s_sub_i32 s2, s1, s0
	v_cmpx_gt_i32_e64 s2, v0
	s_cbranch_execz .LBB53_94
; %bb.85:
	s_sub_i32 s3, s0, s26
	s_sub_i32 s0, s0, s1
	s_and_b32 s1, s2, 7
	s_cmp_lt_u32 s0, -7
	s_mov_b32 s7, 0
	s_cselect_b32 s4, -1, 0
	s_and_b32 s5, s2, -8
	s_cmp_lg_u32 s1, 0
	s_cselect_b32 s6, -1, 0
	s_branch .LBB53_87
.LBB53_86:                              ;   in Loop: Header=BB53_87 Depth=1
	s_waitcnt lgkmcnt(1)
	s_delay_alu instid0(VALU_DEP_1) | instskip(SKIP_1) | instid1(VALU_DEP_2)
	v_ashrrev_i32_e32 v4, 31, v3
	v_add_nc_u32_e32 v0, 0x400, v0
	v_lshlrev_b64 v[3:4], 3, v[3:4]
	s_delay_alu instid0(VALU_DEP_2) | instskip(SKIP_1) | instid1(VALU_DEP_2)
	v_cmp_le_i32_e32 vcc_lo, s2, v0
	s_or_b32 s7, vcc_lo, s7
	v_add_co_u32 v3, s0, s34, v3
	s_delay_alu instid0(VALU_DEP_1)
	v_add_co_ci_u32_e64 v4, s0, s35, v4, s0
	s_waitcnt lgkmcnt(0)
	global_store_b64 v[3:4], v[1:2], off
	s_and_not1_b32 exec_lo, exec_lo, s7
	s_cbranch_execz .LBB53_94
.LBB53_87:                              ; =>This Loop Header: Depth=1
                                        ;     Child Loop BB53_89 Depth 2
                                        ;     Child Loop BB53_93 Depth 2
	v_lshlrev_b32_e32 v1, 2, v0
	s_and_not1_b32 vcc_lo, exec_lo, s4
	s_mov_b32 s0, 0
	s_delay_alu instid0(VALU_DEP_1) | instskip(NEXT) | instid1(VALU_DEP_1)
	v_dual_mov_b32 v3, s3 :: v_dual_add_nc_u32 v2, 0, v1
	v_add3_u32 v1, v2, v1, 0x8000
	ds_load_b32 v4, v2
	ds_load_2addr_b32 v[1:2], v1 offset1:1
	s_cbranch_vccnz .LBB53_91
; %bb.88:                               ;   in Loop: Header=BB53_87 Depth=1
	v_mov_b32_e32 v3, s3
	s_mov_b32 s8, 0
	s_set_inst_prefetch_distance 0x1
	.p2align	6
.LBB53_89:                              ;   Parent Loop BB53_87 Depth=1
                                        ; =>  This Inner Loop Header: Depth=2
	v_mov_b32_e32 v11, s8
	s_add_i32 s0, s0, 8
	s_add_i32 s8, s8, 32
	s_cmp_eq_u32 s5, s0
	ds_load_2addr_b32 v[5:6], v11 offset1:1
	ds_load_2addr_b32 v[7:8], v11 offset0:2 offset1:3
	ds_load_2addr_b32 v[9:10], v11 offset0:4 offset1:5
	;; [unrolled: 1-line block ×3, first 2 shown]
	s_waitcnt lgkmcnt(3)
	v_cmp_gt_i32_e32 vcc_lo, v4, v5
	v_cndmask_b32_e64 v5, 0, 1, vcc_lo
	s_waitcnt lgkmcnt(2)
	v_cmp_gt_i32_e32 vcc_lo, v4, v7
	v_cndmask_b32_e64 v7, 0, 1, vcc_lo
	v_cmp_gt_i32_e32 vcc_lo, v4, v6
	v_add_co_ci_u32_e32 v3, vcc_lo, v3, v5, vcc_lo
	s_waitcnt lgkmcnt(1)
	v_cmp_gt_i32_e32 vcc_lo, v4, v9
	v_cndmask_b32_e64 v5, 0, 1, vcc_lo
	v_cmp_gt_i32_e32 vcc_lo, v4, v8
	v_add_co_ci_u32_e32 v3, vcc_lo, v3, v7, vcc_lo
	;; [unrolled: 5-line block ×3, first 2 shown]
	v_cmp_gt_i32_e32 vcc_lo, v4, v12
	s_delay_alu instid0(VALU_DEP_2)
	v_add_co_ci_u32_e32 v3, vcc_lo, v3, v6, vcc_lo
	s_cbranch_scc0 .LBB53_89
; %bb.90:                               ;   in Loop: Header=BB53_87 Depth=1
	s_set_inst_prefetch_distance 0x2
	s_mov_b32 s0, s5
.LBB53_91:                              ;   in Loop: Header=BB53_87 Depth=1
	s_and_not1_b32 vcc_lo, exec_lo, s6
	s_cbranch_vccnz .LBB53_86
; %bb.92:                               ;   in Loop: Header=BB53_87 Depth=1
	s_lshl_b32 s0, s0, 2
	s_mov_b32 s8, s1
	s_add_i32 s0, s0, 0
.LBB53_93:                              ;   Parent Loop BB53_87 Depth=1
                                        ; =>  This Inner Loop Header: Depth=2
	s_delay_alu instid0(SALU_CYCLE_1)
	v_mov_b32_e32 v5, s0
	s_add_i32 s8, s8, -1
	s_add_i32 s0, s0, 4
	s_cmp_lg_u32 s8, 0
	ds_load_b32 v5, v5
	s_waitcnt lgkmcnt(0)
	v_cmp_gt_i32_e32 vcc_lo, v4, v5
	v_add_co_ci_u32_e32 v3, vcc_lo, 0, v3, vcc_lo
	s_cbranch_scc1 .LBB53_93
	s_branch .LBB53_86
.LBB53_94:
	s_nop 0
	s_sendmsg sendmsg(MSG_DEALLOC_VGPRS)
	s_endpgm
	.section	.rodata,"a",@progbits
	.p2align	6, 0x0
	.amdhsa_kernel _ZN9rocsparseL41csrgemm_numeric_fill_block_per_row_kernelILj1024ELj64ELj8192ELj137ELj64Eii21rocsparse_complex_numIfEEEvT5_PKS3_S5_NS_24const_host_device_scalarIT6_EEPKT4_S5_PKS7_SB_S5_SD_S8_SB_S5_SD_SB_S5_PS7_21rocsparse_index_base_SF_SF_SF_bbb
		.amdhsa_group_segment_fixed_size 0
		.amdhsa_private_segment_fixed_size 0
		.amdhsa_kernarg_size 156
		.amdhsa_user_sgpr_count 15
		.amdhsa_user_sgpr_dispatch_ptr 0
		.amdhsa_user_sgpr_queue_ptr 0
		.amdhsa_user_sgpr_kernarg_segment_ptr 1
		.amdhsa_user_sgpr_dispatch_id 0
		.amdhsa_user_sgpr_private_segment_size 0
		.amdhsa_wavefront_size32 1
		.amdhsa_uses_dynamic_stack 0
		.amdhsa_enable_private_segment 0
		.amdhsa_system_sgpr_workgroup_id_x 1
		.amdhsa_system_sgpr_workgroup_id_y 0
		.amdhsa_system_sgpr_workgroup_id_z 0
		.amdhsa_system_sgpr_workgroup_info 0
		.amdhsa_system_vgpr_workitem_id 0
		.amdhsa_next_free_vgpr 16
		.amdhsa_next_free_sgpr 43
		.amdhsa_reserve_vcc 1
		.amdhsa_float_round_mode_32 0
		.amdhsa_float_round_mode_16_64 0
		.amdhsa_float_denorm_mode_32 3
		.amdhsa_float_denorm_mode_16_64 3
		.amdhsa_dx10_clamp 1
		.amdhsa_ieee_mode 1
		.amdhsa_fp16_overflow 0
		.amdhsa_workgroup_processor_mode 1
		.amdhsa_memory_ordered 1
		.amdhsa_forward_progress 0
		.amdhsa_shared_vgpr_count 0
		.amdhsa_exception_fp_ieee_invalid_op 0
		.amdhsa_exception_fp_denorm_src 0
		.amdhsa_exception_fp_ieee_div_zero 0
		.amdhsa_exception_fp_ieee_overflow 0
		.amdhsa_exception_fp_ieee_underflow 0
		.amdhsa_exception_fp_ieee_inexact 0
		.amdhsa_exception_int_div_zero 0
	.end_amdhsa_kernel
	.section	.text._ZN9rocsparseL41csrgemm_numeric_fill_block_per_row_kernelILj1024ELj64ELj8192ELj137ELj64Eii21rocsparse_complex_numIfEEEvT5_PKS3_S5_NS_24const_host_device_scalarIT6_EEPKT4_S5_PKS7_SB_S5_SD_S8_SB_S5_SD_SB_S5_PS7_21rocsparse_index_base_SF_SF_SF_bbb,"axG",@progbits,_ZN9rocsparseL41csrgemm_numeric_fill_block_per_row_kernelILj1024ELj64ELj8192ELj137ELj64Eii21rocsparse_complex_numIfEEEvT5_PKS3_S5_NS_24const_host_device_scalarIT6_EEPKT4_S5_PKS7_SB_S5_SD_S8_SB_S5_SD_SB_S5_PS7_21rocsparse_index_base_SF_SF_SF_bbb,comdat
.Lfunc_end53:
	.size	_ZN9rocsparseL41csrgemm_numeric_fill_block_per_row_kernelILj1024ELj64ELj8192ELj137ELj64Eii21rocsparse_complex_numIfEEEvT5_PKS3_S5_NS_24const_host_device_scalarIT6_EEPKT4_S5_PKS7_SB_S5_SD_S8_SB_S5_SD_SB_S5_PS7_21rocsparse_index_base_SF_SF_SF_bbb, .Lfunc_end53-_ZN9rocsparseL41csrgemm_numeric_fill_block_per_row_kernelILj1024ELj64ELj8192ELj137ELj64Eii21rocsparse_complex_numIfEEEvT5_PKS3_S5_NS_24const_host_device_scalarIT6_EEPKT4_S5_PKS7_SB_S5_SD_S8_SB_S5_SD_SB_S5_PS7_21rocsparse_index_base_SF_SF_SF_bbb
                                        ; -- End function
	.section	.AMDGPU.csdata,"",@progbits
; Kernel info:
; codeLenInByte = 3644
; NumSgprs: 45
; NumVgprs: 16
; ScratchSize: 0
; MemoryBound: 0
; FloatMode: 240
; IeeeMode: 1
; LDSByteSize: 0 bytes/workgroup (compile time only)
; SGPRBlocks: 5
; VGPRBlocks: 1
; NumSGPRsForWavesPerEU: 45
; NumVGPRsForWavesPerEU: 16
; Occupancy: 16
; WaveLimiterHint : 1
; COMPUTE_PGM_RSRC2:SCRATCH_EN: 0
; COMPUTE_PGM_RSRC2:USER_SGPR: 15
; COMPUTE_PGM_RSRC2:TRAP_HANDLER: 0
; COMPUTE_PGM_RSRC2:TGID_X_EN: 1
; COMPUTE_PGM_RSRC2:TGID_Y_EN: 0
; COMPUTE_PGM_RSRC2:TGID_Z_EN: 0
; COMPUTE_PGM_RSRC2:TIDIG_COMP_CNT: 0
	.section	.text._ZN9rocsparseL41csrgemm_numeric_fill_block_per_row_kernelILj1024ELj64ELj16384ELj137ELj32Eii21rocsparse_complex_numIfEEEvT5_PKS3_S5_NS_24const_host_device_scalarIT6_EEPKT4_S5_PKS7_SB_S5_SD_S8_SB_S5_SD_SB_S5_PS7_21rocsparse_index_base_SF_SF_SF_bbb,"axG",@progbits,_ZN9rocsparseL41csrgemm_numeric_fill_block_per_row_kernelILj1024ELj64ELj16384ELj137ELj32Eii21rocsparse_complex_numIfEEEvT5_PKS3_S5_NS_24const_host_device_scalarIT6_EEPKT4_S5_PKS7_SB_S5_SD_S8_SB_S5_SD_SB_S5_PS7_21rocsparse_index_base_SF_SF_SF_bbb,comdat
	.globl	_ZN9rocsparseL41csrgemm_numeric_fill_block_per_row_kernelILj1024ELj64ELj16384ELj137ELj32Eii21rocsparse_complex_numIfEEEvT5_PKS3_S5_NS_24const_host_device_scalarIT6_EEPKT4_S5_PKS7_SB_S5_SD_S8_SB_S5_SD_SB_S5_PS7_21rocsparse_index_base_SF_SF_SF_bbb ; -- Begin function _ZN9rocsparseL41csrgemm_numeric_fill_block_per_row_kernelILj1024ELj64ELj16384ELj137ELj32Eii21rocsparse_complex_numIfEEEvT5_PKS3_S5_NS_24const_host_device_scalarIT6_EEPKT4_S5_PKS7_SB_S5_SD_S8_SB_S5_SD_SB_S5_PS7_21rocsparse_index_base_SF_SF_SF_bbb
	.p2align	8
	.type	_ZN9rocsparseL41csrgemm_numeric_fill_block_per_row_kernelILj1024ELj64ELj16384ELj137ELj32Eii21rocsparse_complex_numIfEEEvT5_PKS3_S5_NS_24const_host_device_scalarIT6_EEPKT4_S5_PKS7_SB_S5_SD_S8_SB_S5_SD_SB_S5_PS7_21rocsparse_index_base_SF_SF_SF_bbb,@function
_ZN9rocsparseL41csrgemm_numeric_fill_block_per_row_kernelILj1024ELj64ELj16384ELj137ELj32Eii21rocsparse_complex_numIfEEEvT5_PKS3_S5_NS_24const_host_device_scalarIT6_EEPKT4_S5_PKS7_SB_S5_SD_S8_SB_S5_SD_SB_S5_PS7_21rocsparse_index_base_SF_SF_SF_bbb: ; @_ZN9rocsparseL41csrgemm_numeric_fill_block_per_row_kernelILj1024ELj64ELj16384ELj137ELj32Eii21rocsparse_complex_numIfEEEvT5_PKS3_S5_NS_24const_host_device_scalarIT6_EEPKT4_S5_PKS7_SB_S5_SD_S8_SB_S5_SD_SB_S5_PS7_21rocsparse_index_base_SF_SF_SF_bbb
; %bb.0:
	s_clause 0x7
	s_load_b32 s12, s[0:1], 0x98
	s_load_b64 s[40:41], s[0:1], 0x70
	s_load_b128 s[24:27], s[0:1], 0x60
	s_load_b256 s[4:11], s[0:1], 0x40
	s_load_b128 s[28:31], s[0:1], 0x8
	s_load_b256 s[16:23], s[0:1], 0x20
	s_load_b64 s[34:35], s[0:1], 0x80
	s_load_b128 s[36:39], s[0:1], 0x88
	s_mov_b32 s3, 0
	s_mov_b32 s13, 0
	s_waitcnt lgkmcnt(0)
	s_bitcmp1_b32 s12, 0
	s_cselect_b32 s43, -1, 0
	s_bitcmp1_b32 s12, 16
	s_cselect_b32 s2, -1, 0
	s_delay_alu instid0(SALU_CYCLE_1) | instskip(SKIP_2) | instid1(VALU_DEP_1)
	s_xor_b32 s14, s2, -1
	s_bitcmp0_b32 s12, 0
	v_cndmask_b32_e64 v1, 0, 1, s14
	v_cmp_ne_u32_e32 vcc_lo, 1, v1
	s_cbranch_scc1 .LBB54_5
; %bb.1:
	s_load_b64 s[2:3], s[0:1], 0x18
	s_and_b32 vcc_lo, exec_lo, vcc_lo
	s_waitcnt lgkmcnt(0)
	s_mov_b32 s13, s2
	s_cbranch_vccnz .LBB54_3
; %bb.2:
	s_load_b32 s13, s[2:3], 0x0
.LBB54_3:
	s_and_not1_b32 vcc_lo, exec_lo, s14
	s_cbranch_vccnz .LBB54_5
; %bb.4:
	s_load_b32 s3, s[2:3], 0x4
.LBB54_5:
	s_bitcmp1_b32 s12, 8
	s_cselect_b32 s14, -1, 0
	s_bfe_u32 s2, s12, 0x10008
	s_mov_b32 s12, 0
	s_cmp_eq_u32 s2, 0
	s_mov_b32 s2, 0
	s_cbranch_scc1 .LBB54_11
; %bb.6:
	v_cmp_ne_u32_e32 vcc_lo, 1, v1
	s_mov_b32 s2, s8
	s_cbranch_vccnz .LBB54_8
; %bb.7:
	s_load_b32 s2, s[8:9], 0x0
.LBB54_8:
	v_cmp_ne_u32_e32 vcc_lo, 1, v1
	s_cbranch_vccnz .LBB54_10
; %bb.9:
	s_load_b32 s9, s[8:9], 0x4
.LBB54_10:
	s_waitcnt lgkmcnt(0)
	s_mov_b32 s12, s9
.LBB54_11:
	s_load_b32 s33, s[0:1], 0x0
	v_lshlrev_b32_e32 v7, 3, v0
	v_lshl_add_u32 v5, v0, 2, 0
	v_or_b32_e32 v6, 0xfffffc00, v0
	v_mov_b32_e32 v1, 0
	s_mov_b32 s0, 0
	s_delay_alu instid0(VALU_DEP_2)
	v_dual_mov_b32 v3, v5 :: v_dual_mov_b32 v8, v6
	s_waitcnt lgkmcnt(0)
	v_mov_b32_e32 v4, s33
	v_add3_u32 v2, v7, 0, 0x10004
.LBB54_12:                              ; =>This Inner Loop Header: Depth=1
	s_delay_alu instid0(VALU_DEP_3)
	v_add_nc_u32_e32 v8, 0x400, v8
	ds_store_b32 v3, v4
	v_add_nc_u32_e32 v9, -4, v2
	v_add_nc_u32_e32 v2, 0x2000, v2
	v_add_nc_u32_e32 v3, 0x1000, v3
	v_cmp_lt_u32_e32 vcc_lo, 0x3bff, v8
	ds_store_2addr_b32 v9, v1, v1 offset1:1
	s_or_b32 s0, vcc_lo, s0
	s_delay_alu instid0(SALU_CYCLE_1)
	s_and_not1_b32 exec_lo, exec_lo, s0
	s_cbranch_execnz .LBB54_12
; %bb.13:
	s_or_b32 exec_lo, exec_lo, s0
	s_waitcnt lgkmcnt(0)
	s_barrier
	buffer_gl0_inv
	s_load_b32 s0, s[28:29], 0x0
	s_mov_b32 s1, 0
	s_waitcnt lgkmcnt(0)
	s_add_i32 s0, s0, s15
	s_delay_alu instid0(SALU_CYCLE_1) | instskip(NEXT) | instid1(SALU_CYCLE_1)
	s_lshl_b64 s[0:1], s[0:1], 2
	s_add_u32 s0, s30, s0
	s_addc_u32 s1, s31, s1
	s_and_b32 vcc_lo, exec_lo, s43
	s_load_b32 s42, s[0:1], 0x0
	s_cbranch_vccz .LBB54_33
; %bb.14:
	s_waitcnt lgkmcnt(0)
	s_ashr_i32 s43, s42, 31
	v_lshrrev_b32_e32 v1, 6, v0
	s_lshl_b64 s[0:1], s[42:43], 2
	s_delay_alu instid0(SALU_CYCLE_1) | instskip(SKIP_1) | instid1(VALU_DEP_1)
	s_add_u32 s0, s16, s0
	s_addc_u32 s1, s17, s1
	v_subrev_nc_u32_e32 v1, s36, v1
	s_load_b64 s[0:1], s[0:1], 0x0
	s_waitcnt lgkmcnt(0)
	s_delay_alu instid0(VALU_DEP_1) | instskip(SKIP_2) | instid1(VALU_DEP_1)
	v_add_nc_u32_e32 v1, s0, v1
	s_sub_i32 s0, s1, s36
	s_mov_b32 s1, exec_lo
	v_cmpx_gt_i32_e64 s0, v1
	s_cbranch_execz .LBB54_32
; %bb.15:
	v_and_b32_e32 v2, 63, v0
	s_mov_b32 s8, 0
	s_delay_alu instid0(VALU_DEP_1)
	v_subrev_nc_u32_e32 v8, s37, v2
	s_branch .LBB54_17
.LBB54_16:                              ;   in Loop: Header=BB54_17 Depth=1
	s_or_b32 exec_lo, exec_lo, s9
	v_add_nc_u32_e32 v1, 16, v1
	s_delay_alu instid0(VALU_DEP_1) | instskip(SKIP_1) | instid1(SALU_CYCLE_1)
	v_cmp_le_i32_e32 vcc_lo, s0, v1
	s_or_b32 s8, vcc_lo, s8
	s_and_not1_b32 exec_lo, exec_lo, s8
	s_cbranch_execz .LBB54_32
.LBB54_17:                              ; =>This Loop Header: Depth=1
                                        ;     Child Loop BB54_20 Depth 2
                                        ;       Child Loop BB54_22 Depth 3
	v_ashrrev_i32_e32 v2, 31, v1
	s_mov_b32 s9, exec_lo
	s_delay_alu instid0(VALU_DEP_1) | instskip(NEXT) | instid1(VALU_DEP_1)
	v_lshlrev_b64 v[3:4], 2, v[1:2]
	v_add_co_u32 v3, vcc_lo, s18, v3
	s_delay_alu instid0(VALU_DEP_2) | instskip(SKIP_3) | instid1(VALU_DEP_1)
	v_add_co_ci_u32_e32 v4, vcc_lo, s19, v4, vcc_lo
	global_load_b32 v3, v[3:4], off
	s_waitcnt vmcnt(0)
	v_subrev_nc_u32_e32 v3, s36, v3
	v_ashrrev_i32_e32 v4, 31, v3
	s_delay_alu instid0(VALU_DEP_1) | instskip(NEXT) | instid1(VALU_DEP_1)
	v_lshlrev_b64 v[3:4], 2, v[3:4]
	v_add_co_u32 v3, vcc_lo, s22, v3
	s_delay_alu instid0(VALU_DEP_2) | instskip(SKIP_4) | instid1(VALU_DEP_1)
	v_add_co_ci_u32_e32 v4, vcc_lo, s23, v4, vcc_lo
	global_load_b64 v[3:4], v[3:4], off
	s_waitcnt vmcnt(0)
	v_subrev_nc_u32_e32 v9, s37, v4
	v_add_nc_u32_e32 v3, v3, v8
	v_cmpx_lt_i32_e64 v3, v9
	s_cbranch_execz .LBB54_16
; %bb.18:                               ;   in Loop: Header=BB54_17 Depth=1
	v_lshlrev_b64 v[10:11], 3, v[1:2]
	s_mov_b32 s15, 0
	s_delay_alu instid0(VALU_DEP_1) | instskip(NEXT) | instid1(VALU_DEP_2)
	v_add_co_u32 v10, vcc_lo, s20, v10
	v_add_co_ci_u32_e32 v11, vcc_lo, s21, v11, vcc_lo
	global_load_b64 v[11:12], v[10:11], off
	s_waitcnt vmcnt(0)
	v_mul_f32_e64 v2, v12, -s3
	v_mul_f32_e32 v10, s13, v12
	s_delay_alu instid0(VALU_DEP_2) | instskip(NEXT) | instid1(VALU_DEP_2)
	v_fmac_f32_e32 v2, s13, v11
	v_fmac_f32_e32 v10, s3, v11
	s_branch .LBB54_20
.LBB54_19:                              ;   in Loop: Header=BB54_20 Depth=2
	s_or_b32 exec_lo, exec_lo, s16
	v_add_nc_u32_e32 v3, 64, v3
	s_delay_alu instid0(VALU_DEP_1) | instskip(SKIP_1) | instid1(SALU_CYCLE_1)
	v_cmp_ge_i32_e32 vcc_lo, v3, v9
	s_or_b32 s15, vcc_lo, s15
	s_and_not1_b32 exec_lo, exec_lo, s15
	s_cbranch_execz .LBB54_16
.LBB54_20:                              ;   Parent Loop BB54_17 Depth=1
                                        ; =>  This Loop Header: Depth=2
                                        ;       Child Loop BB54_22 Depth 3
	v_ashrrev_i32_e32 v4, 31, v3
	s_mov_b32 s16, 0
	s_delay_alu instid0(VALU_DEP_1) | instskip(SKIP_1) | instid1(VALU_DEP_2)
	v_lshlrev_b64 v[11:12], 2, v[3:4]
	v_lshlrev_b64 v[13:14], 3, v[3:4]
	v_add_co_u32 v11, vcc_lo, s4, v11
	s_delay_alu instid0(VALU_DEP_3)
	v_add_co_ci_u32_e32 v12, vcc_lo, s5, v12, vcc_lo
	global_load_b32 v4, v[11:12], off
	v_add_co_u32 v11, vcc_lo, s6, v13
	v_add_co_ci_u32_e32 v12, vcc_lo, s7, v14, vcc_lo
	global_load_b64 v[13:14], v[11:12], off
	s_waitcnt vmcnt(1)
	v_subrev_nc_u32_e32 v4, s37, v4
	s_delay_alu instid0(VALU_DEP_1) | instskip(SKIP_3) | instid1(VALU_DEP_2)
	v_mul_lo_u32 v15, 0x89, v4
	s_waitcnt vmcnt(0)
	v_mul_f32_e64 v11, v14, -v10
	v_mul_f32_e32 v12, v2, v14
	v_fmac_f32_e32 v11, v2, v13
	s_delay_alu instid0(VALU_DEP_2)
	v_dual_fmac_f32 v12, v10, v13 :: v_dual_and_b32 v13, 0x3fff, v15
	s_branch .LBB54_22
.LBB54_21:                              ;   in Loop: Header=BB54_22 Depth=3
	s_or_b32 exec_lo, exec_lo, s17
	s_xor_b32 s17, s28, -1
	s_delay_alu instid0(SALU_CYCLE_1) | instskip(NEXT) | instid1(SALU_CYCLE_1)
	s_and_b32 s17, exec_lo, s17
	s_or_b32 s16, s17, s16
	s_delay_alu instid0(SALU_CYCLE_1)
	s_and_not1_b32 exec_lo, exec_lo, s16
	s_cbranch_execz .LBB54_19
.LBB54_22:                              ;   Parent Loop BB54_17 Depth=1
                                        ;     Parent Loop BB54_20 Depth=2
                                        ; =>    This Inner Loop Header: Depth=3
	s_delay_alu instid0(VALU_DEP_1)
	v_lshl_add_u32 v14, v13, 2, 0
	s_mov_b32 s17, exec_lo
                                        ; implicit-def: $sgpr28
	ds_load_b32 v15, v14
	s_waitcnt lgkmcnt(0)
	v_cmpx_ne_u32_e64 v15, v4
	s_xor_b32 s17, exec_lo, s17
	s_cbranch_execz .LBB54_30
; %bb.23:                               ;   in Loop: Header=BB54_22 Depth=3
	s_mov_b32 s29, exec_lo
                                        ; implicit-def: $sgpr28
	v_cmpx_ne_u32_e64 s33, v15
	s_xor_b32 s29, exec_lo, s29
; %bb.24:                               ;   in Loop: Header=BB54_22 Depth=3
	v_add_nc_u32_e32 v13, 1, v13
	s_mov_b32 s28, -1
                                        ; implicit-def: $vgpr14
	s_delay_alu instid0(VALU_DEP_1)
	v_and_b32_e32 v13, 0x3fff, v13
; %bb.25:                               ;   in Loop: Header=BB54_22 Depth=3
	s_and_not1_saveexec_b32 s29, s29
	s_cbranch_execz .LBB54_29
; %bb.26:                               ;   in Loop: Header=BB54_22 Depth=3
	v_mov_b32_e32 v15, s33
	s_mov_b32 s31, -1
	s_mov_b32 s30, exec_lo
	ds_cmpstore_rtn_b32 v14, v14, v4, v15
	s_waitcnt lgkmcnt(0)
	v_cmpx_eq_u32_e64 s33, v14
	s_cbranch_execz .LBB54_28
; %bb.27:                               ;   in Loop: Header=BB54_22 Depth=3
	v_lshlrev_b32_e32 v14, 3, v13
	s_xor_b32 s31, exec_lo, -1
	s_delay_alu instid0(VALU_DEP_1)
	v_add3_u32 v14, 0, v14, 0x10000
	ds_add_f32 v14, v11
	ds_add_f32 v14, v12 offset:4
.LBB54_28:                              ;   in Loop: Header=BB54_22 Depth=3
	s_or_b32 exec_lo, exec_lo, s30
	s_delay_alu instid0(SALU_CYCLE_1) | instskip(SKIP_1) | instid1(SALU_CYCLE_1)
	s_and_not1_b32 s28, s28, exec_lo
	s_and_b32 s30, s31, exec_lo
	s_or_b32 s28, s28, s30
.LBB54_29:                              ;   in Loop: Header=BB54_22 Depth=3
	s_or_b32 exec_lo, exec_lo, s29
	s_delay_alu instid0(SALU_CYCLE_1)
	s_and_b32 s28, s28, exec_lo
.LBB54_30:                              ;   in Loop: Header=BB54_22 Depth=3
	s_and_not1_saveexec_b32 s17, s17
	s_cbranch_execz .LBB54_21
; %bb.31:                               ;   in Loop: Header=BB54_22 Depth=3
	v_lshlrev_b32_e32 v14, 3, v13
	s_and_not1_b32 s28, s28, exec_lo
	s_delay_alu instid0(VALU_DEP_1)
	v_add3_u32 v14, 0, v14, 0x10000
	ds_add_f32 v14, v11
	ds_add_f32 v14, v12 offset:4
	s_branch .LBB54_21
.LBB54_32:
	s_or_b32 exec_lo, exec_lo, s1
.LBB54_33:
	s_delay_alu instid0(SALU_CYCLE_1)
	s_and_not1_b32 vcc_lo, exec_lo, s14
	s_cbranch_vccnz .LBB54_50
; %bb.34:
	s_waitcnt lgkmcnt(0)
	s_ashr_i32 s43, s42, 31
	v_subrev_nc_u32_e32 v1, s39, v0
	s_lshl_b64 s[0:1], s[42:43], 2
	s_delay_alu instid0(SALU_CYCLE_1)
	s_add_u32 s0, s10, s0
	s_addc_u32 s1, s11, s1
	s_load_b64 s[0:1], s[0:1], 0x0
	s_waitcnt lgkmcnt(0)
	v_add_nc_u32_e32 v1, s0, v1
	s_sub_i32 s0, s1, s39
	s_mov_b32 s1, exec_lo
	s_delay_alu instid0(VALU_DEP_1)
	v_cmpx_gt_i32_e64 s0, v1
	s_cbranch_execz .LBB54_49
; %bb.35:
	s_mov_b32 s3, 0
	s_branch .LBB54_37
.LBB54_36:                              ;   in Loop: Header=BB54_37 Depth=1
	s_or_b32 exec_lo, exec_lo, s4
	v_add_nc_u32_e32 v1, 0x400, v1
	s_delay_alu instid0(VALU_DEP_1) | instskip(SKIP_1) | instid1(SALU_CYCLE_1)
	v_cmp_le_i32_e32 vcc_lo, s0, v1
	s_or_b32 s3, vcc_lo, s3
	s_and_not1_b32 exec_lo, exec_lo, s3
	s_cbranch_execz .LBB54_49
.LBB54_37:                              ; =>This Loop Header: Depth=1
                                        ;     Child Loop BB54_39 Depth 2
	v_ashrrev_i32_e32 v2, 31, v1
	s_mov_b32 s4, 0
	s_delay_alu instid0(VALU_DEP_1) | instskip(SKIP_1) | instid1(VALU_DEP_2)
	v_lshlrev_b64 v[3:4], 2, v[1:2]
	v_lshlrev_b64 v[8:9], 3, v[1:2]
	v_add_co_u32 v3, vcc_lo, s24, v3
	s_delay_alu instid0(VALU_DEP_3) | instskip(NEXT) | instid1(VALU_DEP_3)
	v_add_co_ci_u32_e32 v4, vcc_lo, s25, v4, vcc_lo
	v_add_co_u32 v2, vcc_lo, s26, v8
	global_load_b32 v4, v[3:4], off
	v_add_co_ci_u32_e32 v3, vcc_lo, s27, v9, vcc_lo
	global_load_b64 v[8:9], v[2:3], off
	s_waitcnt vmcnt(1)
	v_subrev_nc_u32_e32 v2, s39, v4
	s_delay_alu instid0(VALU_DEP_1) | instskip(SKIP_2) | instid1(VALU_DEP_1)
	v_mul_lo_u32 v10, 0x89, v2
	s_waitcnt vmcnt(0)
	v_mul_f32_e64 v3, v9, -s12
	v_dual_mul_f32 v4, s2, v9 :: v_dual_fmac_f32 v3, s2, v8
	s_delay_alu instid0(VALU_DEP_1) | instskip(NEXT) | instid1(VALU_DEP_4)
	v_fmac_f32_e32 v4, s12, v8
	v_and_b32_e32 v8, 0x3fff, v10
	s_branch .LBB54_39
.LBB54_38:                              ;   in Loop: Header=BB54_39 Depth=2
	s_or_b32 exec_lo, exec_lo, s5
	s_xor_b32 s5, s6, -1
	s_delay_alu instid0(SALU_CYCLE_1) | instskip(NEXT) | instid1(SALU_CYCLE_1)
	s_and_b32 s5, exec_lo, s5
	s_or_b32 s4, s5, s4
	s_delay_alu instid0(SALU_CYCLE_1)
	s_and_not1_b32 exec_lo, exec_lo, s4
	s_cbranch_execz .LBB54_36
.LBB54_39:                              ;   Parent Loop BB54_37 Depth=1
                                        ; =>  This Inner Loop Header: Depth=2
	s_delay_alu instid0(VALU_DEP_1)
	v_lshl_add_u32 v9, v8, 2, 0
	s_mov_b32 s5, exec_lo
                                        ; implicit-def: $sgpr6
	ds_load_b32 v10, v9
	s_waitcnt lgkmcnt(0)
	v_cmpx_ne_u32_e64 v10, v2
	s_xor_b32 s5, exec_lo, s5
	s_cbranch_execz .LBB54_47
; %bb.40:                               ;   in Loop: Header=BB54_39 Depth=2
	s_mov_b32 s7, exec_lo
                                        ; implicit-def: $sgpr6
	v_cmpx_ne_u32_e64 s33, v10
	s_xor_b32 s7, exec_lo, s7
; %bb.41:                               ;   in Loop: Header=BB54_39 Depth=2
	v_add_nc_u32_e32 v8, 1, v8
	s_mov_b32 s6, -1
                                        ; implicit-def: $vgpr9
	s_delay_alu instid0(VALU_DEP_1)
	v_and_b32_e32 v8, 0x3fff, v8
; %bb.42:                               ;   in Loop: Header=BB54_39 Depth=2
	s_and_not1_saveexec_b32 s7, s7
	s_cbranch_execz .LBB54_46
; %bb.43:                               ;   in Loop: Header=BB54_39 Depth=2
	v_mov_b32_e32 v10, s33
	s_mov_b32 s9, -1
	s_mov_b32 s8, exec_lo
	ds_cmpstore_rtn_b32 v9, v9, v2, v10
	s_waitcnt lgkmcnt(0)
	v_cmpx_eq_u32_e64 s33, v9
	s_cbranch_execz .LBB54_45
; %bb.44:                               ;   in Loop: Header=BB54_39 Depth=2
	v_lshlrev_b32_e32 v9, 3, v8
	s_xor_b32 s9, exec_lo, -1
	s_delay_alu instid0(VALU_DEP_1)
	v_add3_u32 v9, 0, v9, 0x10000
	ds_add_f32 v9, v3
	ds_add_f32 v9, v4 offset:4
.LBB54_45:                              ;   in Loop: Header=BB54_39 Depth=2
	s_or_b32 exec_lo, exec_lo, s8
	s_delay_alu instid0(SALU_CYCLE_1) | instskip(SKIP_1) | instid1(SALU_CYCLE_1)
	s_and_not1_b32 s6, s6, exec_lo
	s_and_b32 s8, s9, exec_lo
	s_or_b32 s6, s6, s8
.LBB54_46:                              ;   in Loop: Header=BB54_39 Depth=2
	s_or_b32 exec_lo, exec_lo, s7
	s_delay_alu instid0(SALU_CYCLE_1)
	s_and_b32 s6, s6, exec_lo
.LBB54_47:                              ;   in Loop: Header=BB54_39 Depth=2
	s_and_not1_saveexec_b32 s5, s5
	s_cbranch_execz .LBB54_38
; %bb.48:                               ;   in Loop: Header=BB54_39 Depth=2
	v_lshlrev_b32_e32 v9, 3, v8
	s_and_not1_b32 s6, s6, exec_lo
	s_delay_alu instid0(VALU_DEP_1)
	v_add3_u32 v9, 0, v9, 0x10000
	ds_add_f32 v9, v3
	ds_add_f32 v9, v4 offset:4
	s_branch .LBB54_38
.LBB54_49:
	s_or_b32 exec_lo, exec_lo, s1
.LBB54_50:
	v_mbcnt_lo_u32_b32 v1, -1, 0
	v_lshrrev_b32_e32 v2, 3, v0
	s_add_i32 s68, 0, 0x3007c
	v_cmp_eq_u32_e32 vcc_lo, 0x3ff, v0
	v_cmp_lt_u32_e64 s0, 31, v0
	v_xor_b32_e32 v1, 63, v1
	v_dual_mov_b32 v8, 0 :: v_dual_and_b32 v3, 0x7c, v2
	v_cmp_lt_u32_e64 s1, 63, v0
	v_cmp_lt_u32_e64 s2, 0x5f, v0
	s_delay_alu instid0(VALU_DEP_4) | instskip(NEXT) | instid1(VALU_DEP_4)
	v_lshrrev_b64 v[1:2], v1, -1
	v_add3_u32 v4, 0, 0x30000, v3
	v_cmp_lt_u32_e64 s3, 0x7f, v0
	v_cmp_lt_u32_e64 s4, 0x9f, v0
	;; [unrolled: 1-line block ×28, first 2 shown]
	v_add3_u32 v7, v7, 0, 0x10000
	v_mov_b32_e32 v9, s68
	s_mov_b32 s36, 0
	s_add_i32 s37, 0, 0x30000
	s_add_i32 s39, 0, 0x30004
	;; [unrolled: 1-line block ×31, first 2 shown]
	s_waitcnt lgkmcnt(0)
	s_barrier
	buffer_gl0_inv
	s_branch .LBB54_52
.LBB54_51:                              ;   in Loop: Header=BB54_52 Depth=1
	s_or_b32 exec_lo, exec_lo, s31
	s_waitcnt lgkmcnt(0)
	s_barrier
	buffer_gl0_inv
	ds_load_b32 v2, v9
	v_add_nc_u32_e32 v6, 0x400, v6
	v_add_nc_u32_e32 v7, 0x2000, v7
	;; [unrolled: 1-line block ×3, first 2 shown]
	s_delay_alu instid0(VALU_DEP_3) | instskip(NEXT) | instid1(VALU_DEP_1)
	v_cmp_lt_u32_e64 s31, 0x3bff, v6
	s_or_b32 s36, s31, s36
	s_waitcnt lgkmcnt(0)
	v_add_nc_u32_e32 v8, v2, v8
	s_and_not1_b32 exec_lo, exec_lo, s36
	s_cbranch_execz .LBB54_118
.LBB54_52:                              ; =>This Inner Loop Header: Depth=1
	ds_load_b32 v10, v5
	ds_load_2addr_b32 v[2:3], v7 offset1:1
	s_waitcnt lgkmcnt(0)
	s_barrier
	buffer_gl0_inv
	v_cmp_gt_i32_e64 s31, s33, v10
	s_delay_alu instid0(VALU_DEP_1) | instskip(NEXT) | instid1(SALU_CYCLE_1)
	s_bcnt1_i32_b32 s73, s31
	v_dual_mov_b32 v12, s73 :: v_dual_and_b32 v11, s31, v1
	s_delay_alu instid0(VALU_DEP_1)
	v_bcnt_u32_b32 v11, v11, 0
	ds_store_b32 v4, v12
	s_waitcnt lgkmcnt(0)
	s_barrier
	buffer_gl0_inv
	s_and_saveexec_b32 s73, s0
	s_cbranch_execnz .LBB54_85
; %bb.53:                               ;   in Loop: Header=BB54_52 Depth=1
	s_or_b32 exec_lo, exec_lo, s73
	s_and_saveexec_b32 s73, s1
	s_cbranch_execnz .LBB54_86
.LBB54_54:                              ;   in Loop: Header=BB54_52 Depth=1
	s_or_b32 exec_lo, exec_lo, s73
	s_and_saveexec_b32 s73, s2
	s_cbranch_execnz .LBB54_87
.LBB54_55:                              ;   in Loop: Header=BB54_52 Depth=1
	s_or_b32 exec_lo, exec_lo, s73
	s_and_saveexec_b32 s73, s3
	s_cbranch_execnz .LBB54_88
.LBB54_56:                              ;   in Loop: Header=BB54_52 Depth=1
	s_or_b32 exec_lo, exec_lo, s73
	s_and_saveexec_b32 s73, s4
	s_cbranch_execnz .LBB54_89
.LBB54_57:                              ;   in Loop: Header=BB54_52 Depth=1
	s_or_b32 exec_lo, exec_lo, s73
	s_and_saveexec_b32 s73, s5
	s_cbranch_execnz .LBB54_90
.LBB54_58:                              ;   in Loop: Header=BB54_52 Depth=1
	s_or_b32 exec_lo, exec_lo, s73
	s_and_saveexec_b32 s73, s6
	s_cbranch_execnz .LBB54_91
.LBB54_59:                              ;   in Loop: Header=BB54_52 Depth=1
	s_or_b32 exec_lo, exec_lo, s73
	s_and_saveexec_b32 s73, s7
	s_cbranch_execnz .LBB54_92
.LBB54_60:                              ;   in Loop: Header=BB54_52 Depth=1
	s_or_b32 exec_lo, exec_lo, s73
	s_and_saveexec_b32 s73, s8
	s_cbranch_execnz .LBB54_93
.LBB54_61:                              ;   in Loop: Header=BB54_52 Depth=1
	s_or_b32 exec_lo, exec_lo, s73
	s_and_saveexec_b32 s73, s9
	s_cbranch_execnz .LBB54_94
.LBB54_62:                              ;   in Loop: Header=BB54_52 Depth=1
	s_or_b32 exec_lo, exec_lo, s73
	s_and_saveexec_b32 s73, s10
	s_cbranch_execnz .LBB54_95
.LBB54_63:                              ;   in Loop: Header=BB54_52 Depth=1
	s_or_b32 exec_lo, exec_lo, s73
	s_and_saveexec_b32 s73, s11
	s_cbranch_execnz .LBB54_96
.LBB54_64:                              ;   in Loop: Header=BB54_52 Depth=1
	s_or_b32 exec_lo, exec_lo, s73
	s_and_saveexec_b32 s73, s12
	s_cbranch_execnz .LBB54_97
.LBB54_65:                              ;   in Loop: Header=BB54_52 Depth=1
	s_or_b32 exec_lo, exec_lo, s73
	s_and_saveexec_b32 s73, s13
	s_cbranch_execnz .LBB54_98
.LBB54_66:                              ;   in Loop: Header=BB54_52 Depth=1
	s_or_b32 exec_lo, exec_lo, s73
	s_and_saveexec_b32 s73, s14
	s_cbranch_execnz .LBB54_99
.LBB54_67:                              ;   in Loop: Header=BB54_52 Depth=1
	s_or_b32 exec_lo, exec_lo, s73
	s_and_saveexec_b32 s73, s15
	s_cbranch_execnz .LBB54_100
.LBB54_68:                              ;   in Loop: Header=BB54_52 Depth=1
	s_or_b32 exec_lo, exec_lo, s73
	s_and_saveexec_b32 s73, s16
	s_cbranch_execnz .LBB54_101
.LBB54_69:                              ;   in Loop: Header=BB54_52 Depth=1
	s_or_b32 exec_lo, exec_lo, s73
	s_and_saveexec_b32 s73, s17
	s_cbranch_execnz .LBB54_102
.LBB54_70:                              ;   in Loop: Header=BB54_52 Depth=1
	s_or_b32 exec_lo, exec_lo, s73
	s_and_saveexec_b32 s73, s18
	s_cbranch_execnz .LBB54_103
.LBB54_71:                              ;   in Loop: Header=BB54_52 Depth=1
	s_or_b32 exec_lo, exec_lo, s73
	s_and_saveexec_b32 s73, s19
	s_cbranch_execnz .LBB54_104
.LBB54_72:                              ;   in Loop: Header=BB54_52 Depth=1
	s_or_b32 exec_lo, exec_lo, s73
	s_and_saveexec_b32 s73, s20
	s_cbranch_execnz .LBB54_105
.LBB54_73:                              ;   in Loop: Header=BB54_52 Depth=1
	s_or_b32 exec_lo, exec_lo, s73
	s_and_saveexec_b32 s73, s21
	s_cbranch_execnz .LBB54_106
.LBB54_74:                              ;   in Loop: Header=BB54_52 Depth=1
	s_or_b32 exec_lo, exec_lo, s73
	s_and_saveexec_b32 s73, s22
	s_cbranch_execnz .LBB54_107
.LBB54_75:                              ;   in Loop: Header=BB54_52 Depth=1
	s_or_b32 exec_lo, exec_lo, s73
	s_and_saveexec_b32 s73, s23
	s_cbranch_execnz .LBB54_108
.LBB54_76:                              ;   in Loop: Header=BB54_52 Depth=1
	s_or_b32 exec_lo, exec_lo, s73
	s_and_saveexec_b32 s73, s24
	s_cbranch_execnz .LBB54_109
.LBB54_77:                              ;   in Loop: Header=BB54_52 Depth=1
	s_or_b32 exec_lo, exec_lo, s73
	s_and_saveexec_b32 s73, s25
	s_cbranch_execnz .LBB54_110
.LBB54_78:                              ;   in Loop: Header=BB54_52 Depth=1
	s_or_b32 exec_lo, exec_lo, s73
	s_and_saveexec_b32 s73, s26
	s_cbranch_execnz .LBB54_111
.LBB54_79:                              ;   in Loop: Header=BB54_52 Depth=1
	s_or_b32 exec_lo, exec_lo, s73
	s_and_saveexec_b32 s73, s27
	s_cbranch_execnz .LBB54_112
.LBB54_80:                              ;   in Loop: Header=BB54_52 Depth=1
	s_or_b32 exec_lo, exec_lo, s73
	s_and_saveexec_b32 s73, s28
	s_cbranch_execnz .LBB54_113
.LBB54_81:                              ;   in Loop: Header=BB54_52 Depth=1
	s_or_b32 exec_lo, exec_lo, s73
	s_and_saveexec_b32 s73, s29
	s_cbranch_execnz .LBB54_114
.LBB54_82:                              ;   in Loop: Header=BB54_52 Depth=1
	s_or_b32 exec_lo, exec_lo, s73
	s_and_saveexec_b32 s73, s30
	s_cbranch_execnz .LBB54_115
.LBB54_83:                              ;   in Loop: Header=BB54_52 Depth=1
	s_or_b32 exec_lo, exec_lo, s73
	s_and_saveexec_b32 s73, s31
	s_cbranch_execnz .LBB54_116
.LBB54_84:                              ;   in Loop: Header=BB54_52 Depth=1
	s_or_b32 exec_lo, exec_lo, s73
	s_and_saveexec_b32 s31, vcc_lo
	s_cbranch_execz .LBB54_51
	s_branch .LBB54_117
.LBB54_85:                              ;   in Loop: Header=BB54_52 Depth=1
	v_mov_b32_e32 v12, s37
	ds_load_b32 v12, v12
	s_waitcnt lgkmcnt(0)
	v_add_nc_u32_e32 v11, v12, v11
	s_or_b32 exec_lo, exec_lo, s73
	s_and_saveexec_b32 s73, s1
	s_cbranch_execz .LBB54_54
.LBB54_86:                              ;   in Loop: Header=BB54_52 Depth=1
	v_mov_b32_e32 v12, s39
	ds_load_b32 v12, v12
	s_waitcnt lgkmcnt(0)
	v_add_nc_u32_e32 v11, v12, v11
	s_or_b32 exec_lo, exec_lo, s73
	s_and_saveexec_b32 s73, s2
	s_cbranch_execz .LBB54_55
.LBB54_87:                              ;   in Loop: Header=BB54_52 Depth=1
	v_mov_b32_e32 v12, s43
	ds_load_b32 v12, v12
	s_waitcnt lgkmcnt(0)
	v_add_nc_u32_e32 v11, v12, v11
	s_or_b32 exec_lo, exec_lo, s73
	s_and_saveexec_b32 s73, s3
	s_cbranch_execz .LBB54_56
.LBB54_88:                              ;   in Loop: Header=BB54_52 Depth=1
	v_mov_b32_e32 v12, s44
	ds_load_b32 v12, v12
	s_waitcnt lgkmcnt(0)
	v_add_nc_u32_e32 v11, v12, v11
	s_or_b32 exec_lo, exec_lo, s73
	s_and_saveexec_b32 s73, s4
	s_cbranch_execz .LBB54_57
.LBB54_89:                              ;   in Loop: Header=BB54_52 Depth=1
	v_mov_b32_e32 v12, s45
	ds_load_b32 v12, v12
	s_waitcnt lgkmcnt(0)
	v_add_nc_u32_e32 v11, v12, v11
	s_or_b32 exec_lo, exec_lo, s73
	s_and_saveexec_b32 s73, s5
	s_cbranch_execz .LBB54_58
.LBB54_90:                              ;   in Loop: Header=BB54_52 Depth=1
	v_mov_b32_e32 v12, s46
	ds_load_b32 v12, v12
	s_waitcnt lgkmcnt(0)
	v_add_nc_u32_e32 v11, v12, v11
	s_or_b32 exec_lo, exec_lo, s73
	s_and_saveexec_b32 s73, s6
	s_cbranch_execz .LBB54_59
.LBB54_91:                              ;   in Loop: Header=BB54_52 Depth=1
	v_mov_b32_e32 v12, s47
	ds_load_b32 v12, v12
	s_waitcnt lgkmcnt(0)
	v_add_nc_u32_e32 v11, v12, v11
	s_or_b32 exec_lo, exec_lo, s73
	s_and_saveexec_b32 s73, s7
	s_cbranch_execz .LBB54_60
.LBB54_92:                              ;   in Loop: Header=BB54_52 Depth=1
	v_mov_b32_e32 v12, s48
	ds_load_b32 v12, v12
	s_waitcnt lgkmcnt(0)
	v_add_nc_u32_e32 v11, v12, v11
	s_or_b32 exec_lo, exec_lo, s73
	s_and_saveexec_b32 s73, s8
	s_cbranch_execz .LBB54_61
.LBB54_93:                              ;   in Loop: Header=BB54_52 Depth=1
	v_mov_b32_e32 v12, s49
	ds_load_b32 v12, v12
	s_waitcnt lgkmcnt(0)
	v_add_nc_u32_e32 v11, v12, v11
	s_or_b32 exec_lo, exec_lo, s73
	s_and_saveexec_b32 s73, s9
	s_cbranch_execz .LBB54_62
.LBB54_94:                              ;   in Loop: Header=BB54_52 Depth=1
	v_mov_b32_e32 v12, s50
	ds_load_b32 v12, v12
	s_waitcnt lgkmcnt(0)
	v_add_nc_u32_e32 v11, v12, v11
	s_or_b32 exec_lo, exec_lo, s73
	s_and_saveexec_b32 s73, s10
	s_cbranch_execz .LBB54_63
.LBB54_95:                              ;   in Loop: Header=BB54_52 Depth=1
	v_mov_b32_e32 v12, s51
	ds_load_b32 v12, v12
	s_waitcnt lgkmcnt(0)
	v_add_nc_u32_e32 v11, v12, v11
	s_or_b32 exec_lo, exec_lo, s73
	s_and_saveexec_b32 s73, s11
	s_cbranch_execz .LBB54_64
.LBB54_96:                              ;   in Loop: Header=BB54_52 Depth=1
	v_mov_b32_e32 v12, s52
	ds_load_b32 v12, v12
	s_waitcnt lgkmcnt(0)
	v_add_nc_u32_e32 v11, v12, v11
	s_or_b32 exec_lo, exec_lo, s73
	s_and_saveexec_b32 s73, s12
	s_cbranch_execz .LBB54_65
.LBB54_97:                              ;   in Loop: Header=BB54_52 Depth=1
	v_mov_b32_e32 v12, s53
	ds_load_b32 v12, v12
	s_waitcnt lgkmcnt(0)
	v_add_nc_u32_e32 v11, v12, v11
	s_or_b32 exec_lo, exec_lo, s73
	s_and_saveexec_b32 s73, s13
	s_cbranch_execz .LBB54_66
.LBB54_98:                              ;   in Loop: Header=BB54_52 Depth=1
	v_mov_b32_e32 v12, s54
	ds_load_b32 v12, v12
	s_waitcnt lgkmcnt(0)
	v_add_nc_u32_e32 v11, v12, v11
	s_or_b32 exec_lo, exec_lo, s73
	s_and_saveexec_b32 s73, s14
	s_cbranch_execz .LBB54_67
.LBB54_99:                              ;   in Loop: Header=BB54_52 Depth=1
	v_mov_b32_e32 v12, s55
	ds_load_b32 v12, v12
	s_waitcnt lgkmcnt(0)
	v_add_nc_u32_e32 v11, v12, v11
	s_or_b32 exec_lo, exec_lo, s73
	s_and_saveexec_b32 s73, s15
	s_cbranch_execz .LBB54_68
.LBB54_100:                             ;   in Loop: Header=BB54_52 Depth=1
	v_mov_b32_e32 v12, s56
	ds_load_b32 v12, v12
	s_waitcnt lgkmcnt(0)
	v_add_nc_u32_e32 v11, v12, v11
	s_or_b32 exec_lo, exec_lo, s73
	s_and_saveexec_b32 s73, s16
	s_cbranch_execz .LBB54_69
.LBB54_101:                             ;   in Loop: Header=BB54_52 Depth=1
	v_mov_b32_e32 v12, s57
	ds_load_b32 v12, v12
	s_waitcnt lgkmcnt(0)
	v_add_nc_u32_e32 v11, v12, v11
	s_or_b32 exec_lo, exec_lo, s73
	s_and_saveexec_b32 s73, s17
	s_cbranch_execz .LBB54_70
.LBB54_102:                             ;   in Loop: Header=BB54_52 Depth=1
	v_mov_b32_e32 v12, s58
	ds_load_b32 v12, v12
	s_waitcnt lgkmcnt(0)
	v_add_nc_u32_e32 v11, v12, v11
	s_or_b32 exec_lo, exec_lo, s73
	s_and_saveexec_b32 s73, s18
	s_cbranch_execz .LBB54_71
.LBB54_103:                             ;   in Loop: Header=BB54_52 Depth=1
	v_mov_b32_e32 v12, s59
	ds_load_b32 v12, v12
	s_waitcnt lgkmcnt(0)
	v_add_nc_u32_e32 v11, v12, v11
	s_or_b32 exec_lo, exec_lo, s73
	s_and_saveexec_b32 s73, s19
	s_cbranch_execz .LBB54_72
.LBB54_104:                             ;   in Loop: Header=BB54_52 Depth=1
	v_mov_b32_e32 v12, s60
	ds_load_b32 v12, v12
	s_waitcnt lgkmcnt(0)
	v_add_nc_u32_e32 v11, v12, v11
	s_or_b32 exec_lo, exec_lo, s73
	s_and_saveexec_b32 s73, s20
	s_cbranch_execz .LBB54_73
.LBB54_105:                             ;   in Loop: Header=BB54_52 Depth=1
	v_mov_b32_e32 v12, s61
	ds_load_b32 v12, v12
	s_waitcnt lgkmcnt(0)
	v_add_nc_u32_e32 v11, v12, v11
	s_or_b32 exec_lo, exec_lo, s73
	s_and_saveexec_b32 s73, s21
	s_cbranch_execz .LBB54_74
.LBB54_106:                             ;   in Loop: Header=BB54_52 Depth=1
	v_mov_b32_e32 v12, s62
	ds_load_b32 v12, v12
	s_waitcnt lgkmcnt(0)
	v_add_nc_u32_e32 v11, v12, v11
	s_or_b32 exec_lo, exec_lo, s73
	s_and_saveexec_b32 s73, s22
	s_cbranch_execz .LBB54_75
.LBB54_107:                             ;   in Loop: Header=BB54_52 Depth=1
	v_mov_b32_e32 v12, s63
	ds_load_b32 v12, v12
	s_waitcnt lgkmcnt(0)
	v_add_nc_u32_e32 v11, v12, v11
	s_or_b32 exec_lo, exec_lo, s73
	s_and_saveexec_b32 s73, s23
	s_cbranch_execz .LBB54_76
.LBB54_108:                             ;   in Loop: Header=BB54_52 Depth=1
	v_mov_b32_e32 v12, s64
	ds_load_b32 v12, v12
	s_waitcnt lgkmcnt(0)
	v_add_nc_u32_e32 v11, v12, v11
	s_or_b32 exec_lo, exec_lo, s73
	s_and_saveexec_b32 s73, s24
	s_cbranch_execz .LBB54_77
.LBB54_109:                             ;   in Loop: Header=BB54_52 Depth=1
	v_mov_b32_e32 v12, s65
	ds_load_b32 v12, v12
	s_waitcnt lgkmcnt(0)
	v_add_nc_u32_e32 v11, v12, v11
	s_or_b32 exec_lo, exec_lo, s73
	s_and_saveexec_b32 s73, s25
	s_cbranch_execz .LBB54_78
.LBB54_110:                             ;   in Loop: Header=BB54_52 Depth=1
	v_mov_b32_e32 v12, s66
	ds_load_b32 v12, v12
	s_waitcnt lgkmcnt(0)
	v_add_nc_u32_e32 v11, v12, v11
	s_or_b32 exec_lo, exec_lo, s73
	s_and_saveexec_b32 s73, s26
	s_cbranch_execz .LBB54_79
.LBB54_111:                             ;   in Loop: Header=BB54_52 Depth=1
	v_mov_b32_e32 v12, s67
	ds_load_b32 v12, v12
	s_waitcnt lgkmcnt(0)
	v_add_nc_u32_e32 v11, v12, v11
	s_or_b32 exec_lo, exec_lo, s73
	s_and_saveexec_b32 s73, s27
	s_cbranch_execz .LBB54_80
.LBB54_112:                             ;   in Loop: Header=BB54_52 Depth=1
	v_mov_b32_e32 v12, s69
	ds_load_b32 v12, v12
	s_waitcnt lgkmcnt(0)
	v_add_nc_u32_e32 v11, v12, v11
	s_or_b32 exec_lo, exec_lo, s73
	s_and_saveexec_b32 s73, s28
	s_cbranch_execz .LBB54_81
.LBB54_113:                             ;   in Loop: Header=BB54_52 Depth=1
	v_mov_b32_e32 v12, s70
	ds_load_b32 v12, v12
	s_waitcnt lgkmcnt(0)
	v_add_nc_u32_e32 v11, v12, v11
	s_or_b32 exec_lo, exec_lo, s73
	s_and_saveexec_b32 s73, s29
	s_cbranch_execz .LBB54_82
.LBB54_114:                             ;   in Loop: Header=BB54_52 Depth=1
	v_mov_b32_e32 v12, s71
	ds_load_b32 v12, v12
	s_waitcnt lgkmcnt(0)
	v_add_nc_u32_e32 v11, v12, v11
	s_or_b32 exec_lo, exec_lo, s73
	s_and_saveexec_b32 s73, s30
	s_cbranch_execz .LBB54_83
.LBB54_115:                             ;   in Loop: Header=BB54_52 Depth=1
	v_mov_b32_e32 v12, s72
	ds_load_b32 v12, v12
	s_waitcnt lgkmcnt(0)
	v_add_nc_u32_e32 v11, v12, v11
	s_or_b32 exec_lo, exec_lo, s73
	s_and_saveexec_b32 s73, s31
	s_cbranch_execz .LBB54_84
.LBB54_116:                             ;   in Loop: Header=BB54_52 Depth=1
	s_delay_alu instid0(VALU_DEP_1) | instskip(NEXT) | instid1(VALU_DEP_1)
	v_add3_u32 v12, v8, -1, v11
	v_lshlrev_b32_e32 v13, 3, v12
	v_lshl_add_u32 v12, v12, 2, 0
	s_delay_alu instid0(VALU_DEP_2)
	v_add3_u32 v13, 0, v13, 0x10000
	ds_store_b32 v12, v10
	ds_store_2addr_b32 v13, v2, v3 offset1:1
	s_or_b32 exec_lo, exec_lo, s73
	s_and_saveexec_b32 s31, vcc_lo
	s_cbranch_execz .LBB54_51
.LBB54_117:                             ;   in Loop: Header=BB54_52 Depth=1
	v_mov_b32_e32 v2, s68
	ds_store_b32 v2, v11
	s_branch .LBB54_51
.LBB54_118:
	s_or_b32 exec_lo, exec_lo, s36
	s_ashr_i32 s43, s42, 31
	s_mov_b32 s3, exec_lo
	s_lshl_b64 s[0:1], s[42:43], 2
	s_delay_alu instid0(SALU_CYCLE_1) | instskip(SKIP_4) | instid1(SALU_CYCLE_1)
	s_add_u32 s0, s40, s0
	s_addc_u32 s1, s41, s1
	s_load_b64 s[0:1], s[0:1], 0x0
	s_waitcnt lgkmcnt(0)
	s_sub_i32 s2, s1, s0
	v_cmpx_gt_i32_e64 s2, v0
	s_cbranch_execz .LBB54_128
; %bb.119:
	s_sub_i32 s3, s0, s38
	s_sub_i32 s0, s0, s1
	s_and_b32 s1, s2, 7
	s_cmp_lt_u32 s0, -7
	s_mov_b32 s7, 0
	s_cselect_b32 s4, -1, 0
	s_and_b32 s5, s2, -8
	s_cmp_lg_u32 s1, 0
	s_cselect_b32 s6, -1, 0
	s_branch .LBB54_121
.LBB54_120:                             ;   in Loop: Header=BB54_121 Depth=1
	s_waitcnt lgkmcnt(1)
	s_delay_alu instid0(VALU_DEP_1) | instskip(SKIP_1) | instid1(VALU_DEP_2)
	v_ashrrev_i32_e32 v4, 31, v3
	v_add_nc_u32_e32 v0, 0x400, v0
	v_lshlrev_b64 v[3:4], 3, v[3:4]
	s_delay_alu instid0(VALU_DEP_2) | instskip(SKIP_1) | instid1(VALU_DEP_2)
	v_cmp_le_i32_e32 vcc_lo, s2, v0
	s_or_b32 s7, vcc_lo, s7
	v_add_co_u32 v3, s0, s34, v3
	s_delay_alu instid0(VALU_DEP_1)
	v_add_co_ci_u32_e64 v4, s0, s35, v4, s0
	s_waitcnt lgkmcnt(0)
	global_store_b64 v[3:4], v[1:2], off
	s_and_not1_b32 exec_lo, exec_lo, s7
	s_cbranch_execz .LBB54_128
.LBB54_121:                             ; =>This Loop Header: Depth=1
                                        ;     Child Loop BB54_123 Depth 2
                                        ;     Child Loop BB54_127 Depth 2
	v_lshlrev_b32_e32 v1, 3, v0
	v_lshl_add_u32 v2, v0, 2, 0
	v_mov_b32_e32 v3, s3
	s_and_not1_b32 vcc_lo, exec_lo, s4
	s_mov_b32 s0, 0
	v_add3_u32 v1, 0, v1, 0x10000
	ds_load_b32 v4, v2
	ds_load_2addr_b32 v[1:2], v1 offset1:1
	s_cbranch_vccnz .LBB54_125
; %bb.122:                              ;   in Loop: Header=BB54_121 Depth=1
	v_mov_b32_e32 v3, s3
	s_mov_b32 s8, 0
	s_set_inst_prefetch_distance 0x1
	.p2align	6
.LBB54_123:                             ;   Parent Loop BB54_121 Depth=1
                                        ; =>  This Inner Loop Header: Depth=2
	v_mov_b32_e32 v11, s8
	s_add_i32 s0, s0, 8
	s_add_i32 s8, s8, 32
	s_cmp_eq_u32 s5, s0
	ds_load_2addr_b32 v[5:6], v11 offset1:1
	ds_load_2addr_b32 v[7:8], v11 offset0:2 offset1:3
	ds_load_2addr_b32 v[9:10], v11 offset0:4 offset1:5
	;; [unrolled: 1-line block ×3, first 2 shown]
	s_waitcnt lgkmcnt(3)
	v_cmp_gt_i32_e32 vcc_lo, v4, v5
	v_cndmask_b32_e64 v5, 0, 1, vcc_lo
	s_waitcnt lgkmcnt(2)
	v_cmp_gt_i32_e32 vcc_lo, v4, v7
	v_cndmask_b32_e64 v7, 0, 1, vcc_lo
	v_cmp_gt_i32_e32 vcc_lo, v4, v6
	v_add_co_ci_u32_e32 v3, vcc_lo, v3, v5, vcc_lo
	s_waitcnt lgkmcnt(1)
	v_cmp_gt_i32_e32 vcc_lo, v4, v9
	v_cndmask_b32_e64 v5, 0, 1, vcc_lo
	v_cmp_gt_i32_e32 vcc_lo, v4, v8
	v_add_co_ci_u32_e32 v3, vcc_lo, v3, v7, vcc_lo
	;; [unrolled: 5-line block ×3, first 2 shown]
	v_cmp_gt_i32_e32 vcc_lo, v4, v12
	s_delay_alu instid0(VALU_DEP_2)
	v_add_co_ci_u32_e32 v3, vcc_lo, v3, v6, vcc_lo
	s_cbranch_scc0 .LBB54_123
; %bb.124:                              ;   in Loop: Header=BB54_121 Depth=1
	s_set_inst_prefetch_distance 0x2
	s_mov_b32 s0, s5
.LBB54_125:                             ;   in Loop: Header=BB54_121 Depth=1
	s_and_not1_b32 vcc_lo, exec_lo, s6
	s_cbranch_vccnz .LBB54_120
; %bb.126:                              ;   in Loop: Header=BB54_121 Depth=1
	s_lshl_b32 s0, s0, 2
	s_mov_b32 s8, s1
	s_add_i32 s0, s0, 0
.LBB54_127:                             ;   Parent Loop BB54_121 Depth=1
                                        ; =>  This Inner Loop Header: Depth=2
	s_delay_alu instid0(SALU_CYCLE_1)
	v_mov_b32_e32 v5, s0
	s_add_i32 s8, s8, -1
	s_add_i32 s0, s0, 4
	s_cmp_lg_u32 s8, 0
	ds_load_b32 v5, v5
	s_waitcnt lgkmcnt(0)
	v_cmp_gt_i32_e32 vcc_lo, v4, v5
	v_add_co_ci_u32_e32 v3, vcc_lo, 0, v3, vcc_lo
	s_cbranch_scc1 .LBB54_127
	s_branch .LBB54_120
.LBB54_128:
	s_nop 0
	s_sendmsg sendmsg(MSG_DEALLOC_VGPRS)
	s_endpgm
	.section	.rodata,"a",@progbits
	.p2align	6, 0x0
	.amdhsa_kernel _ZN9rocsparseL41csrgemm_numeric_fill_block_per_row_kernelILj1024ELj64ELj16384ELj137ELj32Eii21rocsparse_complex_numIfEEEvT5_PKS3_S5_NS_24const_host_device_scalarIT6_EEPKT4_S5_PKS7_SB_S5_SD_S8_SB_S5_SD_SB_S5_PS7_21rocsparse_index_base_SF_SF_SF_bbb
		.amdhsa_group_segment_fixed_size 0
		.amdhsa_private_segment_fixed_size 0
		.amdhsa_kernarg_size 156
		.amdhsa_user_sgpr_count 15
		.amdhsa_user_sgpr_dispatch_ptr 0
		.amdhsa_user_sgpr_queue_ptr 0
		.amdhsa_user_sgpr_kernarg_segment_ptr 1
		.amdhsa_user_sgpr_dispatch_id 0
		.amdhsa_user_sgpr_private_segment_size 0
		.amdhsa_wavefront_size32 1
		.amdhsa_uses_dynamic_stack 0
		.amdhsa_enable_private_segment 0
		.amdhsa_system_sgpr_workgroup_id_x 1
		.amdhsa_system_sgpr_workgroup_id_y 0
		.amdhsa_system_sgpr_workgroup_id_z 0
		.amdhsa_system_sgpr_workgroup_info 0
		.amdhsa_system_vgpr_workitem_id 0
		.amdhsa_next_free_vgpr 16
		.amdhsa_next_free_sgpr 74
		.amdhsa_reserve_vcc 1
		.amdhsa_float_round_mode_32 0
		.amdhsa_float_round_mode_16_64 0
		.amdhsa_float_denorm_mode_32 3
		.amdhsa_float_denorm_mode_16_64 3
		.amdhsa_dx10_clamp 1
		.amdhsa_ieee_mode 1
		.amdhsa_fp16_overflow 0
		.amdhsa_workgroup_processor_mode 1
		.amdhsa_memory_ordered 1
		.amdhsa_forward_progress 0
		.amdhsa_shared_vgpr_count 0
		.amdhsa_exception_fp_ieee_invalid_op 0
		.amdhsa_exception_fp_denorm_src 0
		.amdhsa_exception_fp_ieee_div_zero 0
		.amdhsa_exception_fp_ieee_overflow 0
		.amdhsa_exception_fp_ieee_underflow 0
		.amdhsa_exception_fp_ieee_inexact 0
		.amdhsa_exception_int_div_zero 0
	.end_amdhsa_kernel
	.section	.text._ZN9rocsparseL41csrgemm_numeric_fill_block_per_row_kernelILj1024ELj64ELj16384ELj137ELj32Eii21rocsparse_complex_numIfEEEvT5_PKS3_S5_NS_24const_host_device_scalarIT6_EEPKT4_S5_PKS7_SB_S5_SD_S8_SB_S5_SD_SB_S5_PS7_21rocsparse_index_base_SF_SF_SF_bbb,"axG",@progbits,_ZN9rocsparseL41csrgemm_numeric_fill_block_per_row_kernelILj1024ELj64ELj16384ELj137ELj32Eii21rocsparse_complex_numIfEEEvT5_PKS3_S5_NS_24const_host_device_scalarIT6_EEPKT4_S5_PKS7_SB_S5_SD_S8_SB_S5_SD_SB_S5_PS7_21rocsparse_index_base_SF_SF_SF_bbb,comdat
.Lfunc_end54:
	.size	_ZN9rocsparseL41csrgemm_numeric_fill_block_per_row_kernelILj1024ELj64ELj16384ELj137ELj32Eii21rocsparse_complex_numIfEEEvT5_PKS3_S5_NS_24const_host_device_scalarIT6_EEPKT4_S5_PKS7_SB_S5_SD_S8_SB_S5_SD_SB_S5_PS7_21rocsparse_index_base_SF_SF_SF_bbb, .Lfunc_end54-_ZN9rocsparseL41csrgemm_numeric_fill_block_per_row_kernelILj1024ELj64ELj16384ELj137ELj32Eii21rocsparse_complex_numIfEEEvT5_PKS3_S5_NS_24const_host_device_scalarIT6_EEPKT4_S5_PKS7_SB_S5_SD_S8_SB_S5_SD_SB_S5_PS7_21rocsparse_index_base_SF_SF_SF_bbb
                                        ; -- End function
	.section	.AMDGPU.csdata,"",@progbits
; Kernel info:
; codeLenInByte = 4608
; NumSgprs: 76
; NumVgprs: 16
; ScratchSize: 0
; MemoryBound: 0
; FloatMode: 240
; IeeeMode: 1
; LDSByteSize: 0 bytes/workgroup (compile time only)
; SGPRBlocks: 9
; VGPRBlocks: 1
; NumSGPRsForWavesPerEU: 76
; NumVGPRsForWavesPerEU: 16
; Occupancy: 16
; WaveLimiterHint : 1
; COMPUTE_PGM_RSRC2:SCRATCH_EN: 0
; COMPUTE_PGM_RSRC2:USER_SGPR: 15
; COMPUTE_PGM_RSRC2:TRAP_HANDLER: 0
; COMPUTE_PGM_RSRC2:TGID_X_EN: 1
; COMPUTE_PGM_RSRC2:TGID_Y_EN: 0
; COMPUTE_PGM_RSRC2:TGID_Z_EN: 0
; COMPUTE_PGM_RSRC2:TIDIG_COMP_CNT: 0
	.section	.text._ZN9rocsparseL41csrgemm_numeric_fill_block_per_row_kernelILj1024ELj64ELj16384ELj137ELj64Eii21rocsparse_complex_numIfEEEvT5_PKS3_S5_NS_24const_host_device_scalarIT6_EEPKT4_S5_PKS7_SB_S5_SD_S8_SB_S5_SD_SB_S5_PS7_21rocsparse_index_base_SF_SF_SF_bbb,"axG",@progbits,_ZN9rocsparseL41csrgemm_numeric_fill_block_per_row_kernelILj1024ELj64ELj16384ELj137ELj64Eii21rocsparse_complex_numIfEEEvT5_PKS3_S5_NS_24const_host_device_scalarIT6_EEPKT4_S5_PKS7_SB_S5_SD_S8_SB_S5_SD_SB_S5_PS7_21rocsparse_index_base_SF_SF_SF_bbb,comdat
	.globl	_ZN9rocsparseL41csrgemm_numeric_fill_block_per_row_kernelILj1024ELj64ELj16384ELj137ELj64Eii21rocsparse_complex_numIfEEEvT5_PKS3_S5_NS_24const_host_device_scalarIT6_EEPKT4_S5_PKS7_SB_S5_SD_S8_SB_S5_SD_SB_S5_PS7_21rocsparse_index_base_SF_SF_SF_bbb ; -- Begin function _ZN9rocsparseL41csrgemm_numeric_fill_block_per_row_kernelILj1024ELj64ELj16384ELj137ELj64Eii21rocsparse_complex_numIfEEEvT5_PKS3_S5_NS_24const_host_device_scalarIT6_EEPKT4_S5_PKS7_SB_S5_SD_S8_SB_S5_SD_SB_S5_PS7_21rocsparse_index_base_SF_SF_SF_bbb
	.p2align	8
	.type	_ZN9rocsparseL41csrgemm_numeric_fill_block_per_row_kernelILj1024ELj64ELj16384ELj137ELj64Eii21rocsparse_complex_numIfEEEvT5_PKS3_S5_NS_24const_host_device_scalarIT6_EEPKT4_S5_PKS7_SB_S5_SD_S8_SB_S5_SD_SB_S5_PS7_21rocsparse_index_base_SF_SF_SF_bbb,@function
_ZN9rocsparseL41csrgemm_numeric_fill_block_per_row_kernelILj1024ELj64ELj16384ELj137ELj64Eii21rocsparse_complex_numIfEEEvT5_PKS3_S5_NS_24const_host_device_scalarIT6_EEPKT4_S5_PKS7_SB_S5_SD_S8_SB_S5_SD_SB_S5_PS7_21rocsparse_index_base_SF_SF_SF_bbb: ; @_ZN9rocsparseL41csrgemm_numeric_fill_block_per_row_kernelILj1024ELj64ELj16384ELj137ELj64Eii21rocsparse_complex_numIfEEEvT5_PKS3_S5_NS_24const_host_device_scalarIT6_EEPKT4_S5_PKS7_SB_S5_SD_S8_SB_S5_SD_SB_S5_PS7_21rocsparse_index_base_SF_SF_SF_bbb
; %bb.0:
	s_clause 0x7
	s_load_b32 s12, s[0:1], 0x98
	s_load_b64 s[40:41], s[0:1], 0x70
	s_load_b128 s[28:31], s[0:1], 0x60
	s_load_b256 s[4:11], s[0:1], 0x40
	s_load_b128 s[36:39], s[0:1], 0x8
	s_load_b256 s[16:23], s[0:1], 0x20
	s_load_b64 s[34:35], s[0:1], 0x80
	s_load_b128 s[24:27], s[0:1], 0x88
	s_mov_b32 s3, 0
	s_mov_b32 s13, 0
	s_waitcnt lgkmcnt(0)
	s_bitcmp1_b32 s12, 0
	s_cselect_b32 s42, -1, 0
	s_bitcmp1_b32 s12, 16
	s_cselect_b32 s2, -1, 0
	s_delay_alu instid0(SALU_CYCLE_1) | instskip(SKIP_2) | instid1(VALU_DEP_1)
	s_xor_b32 s14, s2, -1
	s_bitcmp0_b32 s12, 0
	v_cndmask_b32_e64 v1, 0, 1, s14
	v_cmp_ne_u32_e32 vcc_lo, 1, v1
	s_cbranch_scc1 .LBB55_5
; %bb.1:
	s_load_b64 s[2:3], s[0:1], 0x18
	s_and_b32 vcc_lo, exec_lo, vcc_lo
	s_waitcnt lgkmcnt(0)
	s_mov_b32 s13, s2
	s_cbranch_vccnz .LBB55_3
; %bb.2:
	s_load_b32 s13, s[2:3], 0x0
.LBB55_3:
	s_and_not1_b32 vcc_lo, exec_lo, s14
	s_cbranch_vccnz .LBB55_5
; %bb.4:
	s_load_b32 s3, s[2:3], 0x4
.LBB55_5:
	s_bitcmp1_b32 s12, 8
	s_cselect_b32 s14, -1, 0
	s_bfe_u32 s2, s12, 0x10008
	s_mov_b32 s12, 0
	s_cmp_eq_u32 s2, 0
	s_mov_b32 s2, 0
	s_cbranch_scc1 .LBB55_11
; %bb.6:
	v_cmp_ne_u32_e32 vcc_lo, 1, v1
	s_mov_b32 s2, s8
	s_cbranch_vccnz .LBB55_8
; %bb.7:
	s_load_b32 s2, s[8:9], 0x0
.LBB55_8:
	v_cmp_ne_u32_e32 vcc_lo, 1, v1
	s_cbranch_vccnz .LBB55_10
; %bb.9:
	s_load_b32 s9, s[8:9], 0x4
.LBB55_10:
	s_waitcnt lgkmcnt(0)
	s_mov_b32 s12, s9
.LBB55_11:
	s_load_b32 s33, s[0:1], 0x0
	v_lshlrev_b32_e32 v7, 3, v0
	v_lshl_add_u32 v5, v0, 2, 0
	v_or_b32_e32 v6, 0xfffffc00, v0
	v_mov_b32_e32 v1, 0
	s_mov_b32 s0, 0
	s_delay_alu instid0(VALU_DEP_2)
	v_dual_mov_b32 v3, v5 :: v_dual_mov_b32 v8, v6
	s_waitcnt lgkmcnt(0)
	v_mov_b32_e32 v4, s33
	v_add3_u32 v2, v7, 0, 0x10004
.LBB55_12:                              ; =>This Inner Loop Header: Depth=1
	s_delay_alu instid0(VALU_DEP_3)
	v_add_nc_u32_e32 v8, 0x400, v8
	ds_store_b32 v3, v4
	v_add_nc_u32_e32 v9, -4, v2
	v_add_nc_u32_e32 v2, 0x2000, v2
	v_add_nc_u32_e32 v3, 0x1000, v3
	v_cmp_lt_u32_e32 vcc_lo, 0x3bff, v8
	ds_store_2addr_b32 v9, v1, v1 offset1:1
	s_or_b32 s0, vcc_lo, s0
	s_delay_alu instid0(SALU_CYCLE_1)
	s_and_not1_b32 exec_lo, exec_lo, s0
	s_cbranch_execnz .LBB55_12
; %bb.13:
	s_or_b32 exec_lo, exec_lo, s0
	s_waitcnt lgkmcnt(0)
	s_barrier
	buffer_gl0_inv
	s_load_b32 s0, s[36:37], 0x0
	s_mov_b32 s1, 0
	v_lshrrev_b32_e32 v8, 6, v0
	s_waitcnt lgkmcnt(0)
	s_add_i32 s0, s0, s15
	s_delay_alu instid0(SALU_CYCLE_1) | instskip(NEXT) | instid1(SALU_CYCLE_1)
	s_lshl_b64 s[0:1], s[0:1], 2
	s_add_u32 s0, s38, s0
	s_addc_u32 s1, s39, s1
	s_and_b32 vcc_lo, exec_lo, s42
	s_load_b32 s36, s[0:1], 0x0
	s_cbranch_vccz .LBB55_33
; %bb.14:
	s_waitcnt lgkmcnt(0)
	s_ashr_i32 s37, s36, 31
	v_subrev_nc_u32_e32 v1, s24, v8
	s_lshl_b64 s[0:1], s[36:37], 2
	s_delay_alu instid0(SALU_CYCLE_1)
	s_add_u32 s0, s16, s0
	s_addc_u32 s1, s17, s1
	s_load_b64 s[0:1], s[0:1], 0x0
	s_waitcnt lgkmcnt(0)
	v_add_nc_u32_e32 v1, s0, v1
	s_sub_i32 s0, s1, s24
	s_mov_b32 s1, exec_lo
	s_delay_alu instid0(VALU_DEP_1)
	v_cmpx_gt_i32_e64 s0, v1
	s_cbranch_execz .LBB55_32
; %bb.15:
	v_and_b32_e32 v2, 63, v0
	s_mov_b32 s8, 0
	s_delay_alu instid0(VALU_DEP_1)
	v_subrev_nc_u32_e32 v9, s25, v2
	s_branch .LBB55_17
.LBB55_16:                              ;   in Loop: Header=BB55_17 Depth=1
	s_or_b32 exec_lo, exec_lo, s9
	v_add_nc_u32_e32 v1, 16, v1
	s_delay_alu instid0(VALU_DEP_1) | instskip(SKIP_1) | instid1(SALU_CYCLE_1)
	v_cmp_le_i32_e32 vcc_lo, s0, v1
	s_or_b32 s8, vcc_lo, s8
	s_and_not1_b32 exec_lo, exec_lo, s8
	s_cbranch_execz .LBB55_32
.LBB55_17:                              ; =>This Loop Header: Depth=1
                                        ;     Child Loop BB55_20 Depth 2
                                        ;       Child Loop BB55_22 Depth 3
	v_ashrrev_i32_e32 v2, 31, v1
	s_mov_b32 s9, exec_lo
	s_delay_alu instid0(VALU_DEP_1) | instskip(NEXT) | instid1(VALU_DEP_1)
	v_lshlrev_b64 v[3:4], 2, v[1:2]
	v_add_co_u32 v3, vcc_lo, s18, v3
	s_delay_alu instid0(VALU_DEP_2) | instskip(SKIP_3) | instid1(VALU_DEP_1)
	v_add_co_ci_u32_e32 v4, vcc_lo, s19, v4, vcc_lo
	global_load_b32 v3, v[3:4], off
	s_waitcnt vmcnt(0)
	v_subrev_nc_u32_e32 v3, s24, v3
	v_ashrrev_i32_e32 v4, 31, v3
	s_delay_alu instid0(VALU_DEP_1) | instskip(NEXT) | instid1(VALU_DEP_1)
	v_lshlrev_b64 v[3:4], 2, v[3:4]
	v_add_co_u32 v3, vcc_lo, s22, v3
	s_delay_alu instid0(VALU_DEP_2) | instskip(SKIP_4) | instid1(VALU_DEP_1)
	v_add_co_ci_u32_e32 v4, vcc_lo, s23, v4, vcc_lo
	global_load_b64 v[3:4], v[3:4], off
	s_waitcnt vmcnt(0)
	v_subrev_nc_u32_e32 v10, s25, v4
	v_add_nc_u32_e32 v3, v3, v9
	v_cmpx_lt_i32_e64 v3, v10
	s_cbranch_execz .LBB55_16
; %bb.18:                               ;   in Loop: Header=BB55_17 Depth=1
	v_lshlrev_b64 v[11:12], 3, v[1:2]
	s_mov_b32 s15, 0
	s_delay_alu instid0(VALU_DEP_1) | instskip(NEXT) | instid1(VALU_DEP_2)
	v_add_co_u32 v11, vcc_lo, s20, v11
	v_add_co_ci_u32_e32 v12, vcc_lo, s21, v12, vcc_lo
	global_load_b64 v[12:13], v[11:12], off
	s_waitcnt vmcnt(0)
	v_mul_f32_e64 v2, v13, -s3
	s_delay_alu instid0(VALU_DEP_1) | instskip(NEXT) | instid1(VALU_DEP_1)
	v_dual_mul_f32 v11, s13, v13 :: v_dual_fmac_f32 v2, s13, v12
	v_fmac_f32_e32 v11, s3, v12
	s_branch .LBB55_20
.LBB55_19:                              ;   in Loop: Header=BB55_20 Depth=2
	s_or_b32 exec_lo, exec_lo, s16
	v_add_nc_u32_e32 v3, 64, v3
	s_delay_alu instid0(VALU_DEP_1) | instskip(SKIP_1) | instid1(SALU_CYCLE_1)
	v_cmp_ge_i32_e32 vcc_lo, v3, v10
	s_or_b32 s15, vcc_lo, s15
	s_and_not1_b32 exec_lo, exec_lo, s15
	s_cbranch_execz .LBB55_16
.LBB55_20:                              ;   Parent Loop BB55_17 Depth=1
                                        ; =>  This Loop Header: Depth=2
                                        ;       Child Loop BB55_22 Depth 3
	v_ashrrev_i32_e32 v4, 31, v3
	s_mov_b32 s16, 0
	s_delay_alu instid0(VALU_DEP_1) | instskip(SKIP_1) | instid1(VALU_DEP_2)
	v_lshlrev_b64 v[12:13], 2, v[3:4]
	v_lshlrev_b64 v[14:15], 3, v[3:4]
	v_add_co_u32 v12, vcc_lo, s4, v12
	s_delay_alu instid0(VALU_DEP_3)
	v_add_co_ci_u32_e32 v13, vcc_lo, s5, v13, vcc_lo
	global_load_b32 v4, v[12:13], off
	v_add_co_u32 v12, vcc_lo, s6, v14
	v_add_co_ci_u32_e32 v13, vcc_lo, s7, v15, vcc_lo
	global_load_b64 v[14:15], v[12:13], off
	s_waitcnt vmcnt(1)
	v_subrev_nc_u32_e32 v4, s25, v4
	s_delay_alu instid0(VALU_DEP_1) | instskip(SKIP_3) | instid1(VALU_DEP_2)
	v_mul_lo_u32 v16, 0x89, v4
	s_waitcnt vmcnt(0)
	v_mul_f32_e64 v12, v15, -v11
	v_mul_f32_e32 v13, v2, v15
	v_fmac_f32_e32 v12, v2, v14
	s_delay_alu instid0(VALU_DEP_2)
	v_dual_fmac_f32 v13, v11, v14 :: v_dual_and_b32 v14, 0x3fff, v16
	s_branch .LBB55_22
.LBB55_21:                              ;   in Loop: Header=BB55_22 Depth=3
	s_or_b32 exec_lo, exec_lo, s17
	s_xor_b32 s17, s37, -1
	s_delay_alu instid0(SALU_CYCLE_1) | instskip(NEXT) | instid1(SALU_CYCLE_1)
	s_and_b32 s17, exec_lo, s17
	s_or_b32 s16, s17, s16
	s_delay_alu instid0(SALU_CYCLE_1)
	s_and_not1_b32 exec_lo, exec_lo, s16
	s_cbranch_execz .LBB55_19
.LBB55_22:                              ;   Parent Loop BB55_17 Depth=1
                                        ;     Parent Loop BB55_20 Depth=2
                                        ; =>    This Inner Loop Header: Depth=3
	s_delay_alu instid0(VALU_DEP_1)
	v_lshl_add_u32 v15, v14, 2, 0
	s_mov_b32 s17, exec_lo
                                        ; implicit-def: $sgpr37
	ds_load_b32 v16, v15
	s_waitcnt lgkmcnt(0)
	v_cmpx_ne_u32_e64 v16, v4
	s_xor_b32 s17, exec_lo, s17
	s_cbranch_execz .LBB55_30
; %bb.23:                               ;   in Loop: Header=BB55_22 Depth=3
	s_mov_b32 s38, exec_lo
                                        ; implicit-def: $sgpr37
	v_cmpx_ne_u32_e64 s33, v16
	s_xor_b32 s38, exec_lo, s38
; %bb.24:                               ;   in Loop: Header=BB55_22 Depth=3
	v_add_nc_u32_e32 v14, 1, v14
	s_mov_b32 s37, -1
                                        ; implicit-def: $vgpr15
	s_delay_alu instid0(VALU_DEP_1)
	v_and_b32_e32 v14, 0x3fff, v14
; %bb.25:                               ;   in Loop: Header=BB55_22 Depth=3
	s_and_not1_saveexec_b32 s38, s38
	s_cbranch_execz .LBB55_29
; %bb.26:                               ;   in Loop: Header=BB55_22 Depth=3
	v_mov_b32_e32 v16, s33
	s_mov_b32 s42, -1
	s_mov_b32 s39, exec_lo
	ds_cmpstore_rtn_b32 v15, v15, v4, v16
	s_waitcnt lgkmcnt(0)
	v_cmpx_eq_u32_e64 s33, v15
	s_cbranch_execz .LBB55_28
; %bb.27:                               ;   in Loop: Header=BB55_22 Depth=3
	v_lshlrev_b32_e32 v15, 3, v14
	s_xor_b32 s42, exec_lo, -1
	s_delay_alu instid0(VALU_DEP_1)
	v_add3_u32 v15, 0, v15, 0x10000
	ds_add_f32 v15, v12
	ds_add_f32 v15, v13 offset:4
.LBB55_28:                              ;   in Loop: Header=BB55_22 Depth=3
	s_or_b32 exec_lo, exec_lo, s39
	s_delay_alu instid0(SALU_CYCLE_1) | instskip(SKIP_1) | instid1(SALU_CYCLE_1)
	s_and_not1_b32 s37, s37, exec_lo
	s_and_b32 s39, s42, exec_lo
	s_or_b32 s37, s37, s39
.LBB55_29:                              ;   in Loop: Header=BB55_22 Depth=3
	s_or_b32 exec_lo, exec_lo, s38
	s_delay_alu instid0(SALU_CYCLE_1)
	s_and_b32 s37, s37, exec_lo
.LBB55_30:                              ;   in Loop: Header=BB55_22 Depth=3
	s_and_not1_saveexec_b32 s17, s17
	s_cbranch_execz .LBB55_21
; %bb.31:                               ;   in Loop: Header=BB55_22 Depth=3
	v_lshlrev_b32_e32 v15, 3, v14
	s_and_not1_b32 s37, s37, exec_lo
	s_delay_alu instid0(VALU_DEP_1)
	v_add3_u32 v15, 0, v15, 0x10000
	ds_add_f32 v15, v12
	ds_add_f32 v15, v13 offset:4
	s_branch .LBB55_21
.LBB55_32:
	s_or_b32 exec_lo, exec_lo, s1
.LBB55_33:
	s_delay_alu instid0(SALU_CYCLE_1)
	s_and_not1_b32 vcc_lo, exec_lo, s14
	s_cbranch_vccnz .LBB55_50
; %bb.34:
	s_waitcnt lgkmcnt(0)
	s_ashr_i32 s37, s36, 31
	v_subrev_nc_u32_e32 v1, s27, v0
	s_lshl_b64 s[0:1], s[36:37], 2
	s_delay_alu instid0(SALU_CYCLE_1)
	s_add_u32 s0, s10, s0
	s_addc_u32 s1, s11, s1
	s_load_b64 s[0:1], s[0:1], 0x0
	s_waitcnt lgkmcnt(0)
	v_add_nc_u32_e32 v1, s0, v1
	s_sub_i32 s0, s1, s27
	s_mov_b32 s1, exec_lo
	s_delay_alu instid0(VALU_DEP_1)
	v_cmpx_gt_i32_e64 s0, v1
	s_cbranch_execz .LBB55_49
; %bb.35:
	s_mov_b32 s3, 0
	s_branch .LBB55_37
.LBB55_36:                              ;   in Loop: Header=BB55_37 Depth=1
	s_or_b32 exec_lo, exec_lo, s4
	v_add_nc_u32_e32 v1, 0x400, v1
	s_delay_alu instid0(VALU_DEP_1) | instskip(SKIP_1) | instid1(SALU_CYCLE_1)
	v_cmp_le_i32_e32 vcc_lo, s0, v1
	s_or_b32 s3, vcc_lo, s3
	s_and_not1_b32 exec_lo, exec_lo, s3
	s_cbranch_execz .LBB55_49
.LBB55_37:                              ; =>This Loop Header: Depth=1
                                        ;     Child Loop BB55_39 Depth 2
	v_ashrrev_i32_e32 v2, 31, v1
	s_mov_b32 s4, 0
	s_delay_alu instid0(VALU_DEP_1) | instskip(SKIP_1) | instid1(VALU_DEP_2)
	v_lshlrev_b64 v[3:4], 2, v[1:2]
	v_lshlrev_b64 v[9:10], 3, v[1:2]
	v_add_co_u32 v3, vcc_lo, s28, v3
	s_delay_alu instid0(VALU_DEP_3) | instskip(NEXT) | instid1(VALU_DEP_3)
	v_add_co_ci_u32_e32 v4, vcc_lo, s29, v4, vcc_lo
	v_add_co_u32 v2, vcc_lo, s30, v9
	global_load_b32 v4, v[3:4], off
	v_add_co_ci_u32_e32 v3, vcc_lo, s31, v10, vcc_lo
	global_load_b64 v[9:10], v[2:3], off
	s_waitcnt vmcnt(1)
	v_subrev_nc_u32_e32 v2, s27, v4
	s_delay_alu instid0(VALU_DEP_1) | instskip(SKIP_2) | instid1(VALU_DEP_1)
	v_mul_lo_u32 v11, 0x89, v2
	s_waitcnt vmcnt(0)
	v_mul_f32_e64 v3, v10, -s12
	v_dual_mul_f32 v4, s2, v10 :: v_dual_fmac_f32 v3, s2, v9
	s_delay_alu instid0(VALU_DEP_1)
	v_dual_fmac_f32 v4, s12, v9 :: v_dual_and_b32 v9, 0x3fff, v11
	s_branch .LBB55_39
.LBB55_38:                              ;   in Loop: Header=BB55_39 Depth=2
	s_or_b32 exec_lo, exec_lo, s5
	s_xor_b32 s5, s6, -1
	s_delay_alu instid0(SALU_CYCLE_1) | instskip(NEXT) | instid1(SALU_CYCLE_1)
	s_and_b32 s5, exec_lo, s5
	s_or_b32 s4, s5, s4
	s_delay_alu instid0(SALU_CYCLE_1)
	s_and_not1_b32 exec_lo, exec_lo, s4
	s_cbranch_execz .LBB55_36
.LBB55_39:                              ;   Parent Loop BB55_37 Depth=1
                                        ; =>  This Inner Loop Header: Depth=2
	s_delay_alu instid0(VALU_DEP_1)
	v_lshl_add_u32 v10, v9, 2, 0
	s_mov_b32 s5, exec_lo
                                        ; implicit-def: $sgpr6
	ds_load_b32 v11, v10
	s_waitcnt lgkmcnt(0)
	v_cmpx_ne_u32_e64 v11, v2
	s_xor_b32 s5, exec_lo, s5
	s_cbranch_execz .LBB55_47
; %bb.40:                               ;   in Loop: Header=BB55_39 Depth=2
	s_mov_b32 s7, exec_lo
                                        ; implicit-def: $sgpr6
	v_cmpx_ne_u32_e64 s33, v11
	s_xor_b32 s7, exec_lo, s7
; %bb.41:                               ;   in Loop: Header=BB55_39 Depth=2
	v_add_nc_u32_e32 v9, 1, v9
	s_mov_b32 s6, -1
                                        ; implicit-def: $vgpr10
	s_delay_alu instid0(VALU_DEP_1)
	v_and_b32_e32 v9, 0x3fff, v9
; %bb.42:                               ;   in Loop: Header=BB55_39 Depth=2
	s_and_not1_saveexec_b32 s7, s7
	s_cbranch_execz .LBB55_46
; %bb.43:                               ;   in Loop: Header=BB55_39 Depth=2
	v_mov_b32_e32 v11, s33
	s_mov_b32 s9, -1
	s_mov_b32 s8, exec_lo
	ds_cmpstore_rtn_b32 v10, v10, v2, v11
	s_waitcnt lgkmcnt(0)
	v_cmpx_eq_u32_e64 s33, v10
	s_cbranch_execz .LBB55_45
; %bb.44:                               ;   in Loop: Header=BB55_39 Depth=2
	v_lshlrev_b32_e32 v10, 3, v9
	s_xor_b32 s9, exec_lo, -1
	s_delay_alu instid0(VALU_DEP_1)
	v_add3_u32 v10, 0, v10, 0x10000
	ds_add_f32 v10, v3
	ds_add_f32 v10, v4 offset:4
.LBB55_45:                              ;   in Loop: Header=BB55_39 Depth=2
	s_or_b32 exec_lo, exec_lo, s8
	s_delay_alu instid0(SALU_CYCLE_1) | instskip(SKIP_1) | instid1(SALU_CYCLE_1)
	s_and_not1_b32 s6, s6, exec_lo
	s_and_b32 s8, s9, exec_lo
	s_or_b32 s6, s6, s8
.LBB55_46:                              ;   in Loop: Header=BB55_39 Depth=2
	s_or_b32 exec_lo, exec_lo, s7
	s_delay_alu instid0(SALU_CYCLE_1)
	s_and_b32 s6, s6, exec_lo
.LBB55_47:                              ;   in Loop: Header=BB55_39 Depth=2
	s_and_not1_saveexec_b32 s5, s5
	s_cbranch_execz .LBB55_38
; %bb.48:                               ;   in Loop: Header=BB55_39 Depth=2
	v_lshlrev_b32_e32 v10, 3, v9
	s_and_not1_b32 s6, s6, exec_lo
	s_delay_alu instid0(VALU_DEP_1)
	v_add3_u32 v10, 0, v10, 0x10000
	ds_add_f32 v10, v3
	ds_add_f32 v10, v4 offset:4
	s_branch .LBB55_38
.LBB55_49:
	s_or_b32 exec_lo, exec_lo, s1
.LBB55_50:
	v_mbcnt_lo_u32_b32 v1, -1, 0
	s_add_i32 s29, 0, 0x3003c
	s_delay_alu instid0(SALU_CYCLE_1) | instskip(SKIP_1) | instid1(VALU_DEP_3)
	v_dual_mov_b32 v9, s29 :: v_dual_lshlrev_b32 v2, 2, v8
	v_cmp_eq_u32_e32 vcc_lo, 0x3ff, v0
	v_xor_b32_e32 v1, 63, v1
	v_cmp_lt_u32_e64 s0, 63, v0
	s_delay_alu instid0(VALU_DEP_4)
	v_add3_u32 v4, 0, 0x30000, v2
	v_cmp_lt_u32_e64 s1, 0x7f, v0
	v_cmp_lt_u32_e64 s2, 0xbf, v0
	v_lshrrev_b64 v[1:2], v1, -1
	v_cmp_lt_u32_e64 s3, 0xff, v0
	v_cmp_lt_u32_e64 s4, 0x13f, v0
	;; [unrolled: 1-line block ×12, first 2 shown]
	v_add3_u32 v7, v7, 0, 0x10000
	v_mov_b32_e32 v8, 0
	s_mov_b32 s16, 0
	s_add_i32 s17, 0, 0x30000
	s_add_i32 s18, 0, 0x30004
	;; [unrolled: 1-line block ×15, first 2 shown]
	s_waitcnt lgkmcnt(0)
	s_barrier
	buffer_gl0_inv
	s_branch .LBB55_52
.LBB55_51:                              ;   in Loop: Header=BB55_52 Depth=1
	s_or_b32 exec_lo, exec_lo, s15
	s_waitcnt lgkmcnt(0)
	s_barrier
	buffer_gl0_inv
	ds_load_b32 v2, v9
	v_add_nc_u32_e32 v6, 0x400, v6
	v_add_nc_u32_e32 v7, 0x2000, v7
	;; [unrolled: 1-line block ×3, first 2 shown]
	s_delay_alu instid0(VALU_DEP_3) | instskip(NEXT) | instid1(VALU_DEP_1)
	v_cmp_lt_u32_e64 s15, 0x3bff, v6
	s_or_b32 s16, s15, s16
	s_waitcnt lgkmcnt(0)
	v_add_nc_u32_e32 v8, v2, v8
	s_and_not1_b32 exec_lo, exec_lo, s16
	s_cbranch_execz .LBB55_86
.LBB55_52:                              ; =>This Inner Loop Header: Depth=1
	ds_load_b32 v10, v5
	ds_load_2addr_b32 v[2:3], v7 offset1:1
	s_waitcnt lgkmcnt(0)
	s_barrier
	buffer_gl0_inv
	v_cmp_gt_i32_e64 s15, s33, v10
	s_delay_alu instid0(VALU_DEP_1) | instskip(NEXT) | instid1(SALU_CYCLE_1)
	s_bcnt1_i32_b32 s39, s15
	v_dual_mov_b32 v12, s39 :: v_dual_and_b32 v11, s15, v1
	s_delay_alu instid0(VALU_DEP_1)
	v_bcnt_u32_b32 v11, v11, 0
	ds_store_b32 v4, v12
	s_waitcnt lgkmcnt(0)
	s_barrier
	buffer_gl0_inv
	s_and_saveexec_b32 s39, s0
	s_cbranch_execnz .LBB55_69
; %bb.53:                               ;   in Loop: Header=BB55_52 Depth=1
	s_or_b32 exec_lo, exec_lo, s39
	s_and_saveexec_b32 s39, s1
	s_cbranch_execnz .LBB55_70
.LBB55_54:                              ;   in Loop: Header=BB55_52 Depth=1
	s_or_b32 exec_lo, exec_lo, s39
	s_and_saveexec_b32 s39, s2
	s_cbranch_execnz .LBB55_71
.LBB55_55:                              ;   in Loop: Header=BB55_52 Depth=1
	s_or_b32 exec_lo, exec_lo, s39
	s_and_saveexec_b32 s39, s3
	s_cbranch_execnz .LBB55_72
.LBB55_56:                              ;   in Loop: Header=BB55_52 Depth=1
	s_or_b32 exec_lo, exec_lo, s39
	s_and_saveexec_b32 s39, s4
	s_cbranch_execnz .LBB55_73
.LBB55_57:                              ;   in Loop: Header=BB55_52 Depth=1
	s_or_b32 exec_lo, exec_lo, s39
	s_and_saveexec_b32 s39, s5
	s_cbranch_execnz .LBB55_74
.LBB55_58:                              ;   in Loop: Header=BB55_52 Depth=1
	s_or_b32 exec_lo, exec_lo, s39
	s_and_saveexec_b32 s39, s6
	s_cbranch_execnz .LBB55_75
.LBB55_59:                              ;   in Loop: Header=BB55_52 Depth=1
	s_or_b32 exec_lo, exec_lo, s39
	s_and_saveexec_b32 s39, s7
	s_cbranch_execnz .LBB55_76
.LBB55_60:                              ;   in Loop: Header=BB55_52 Depth=1
	s_or_b32 exec_lo, exec_lo, s39
	s_and_saveexec_b32 s39, s8
	s_cbranch_execnz .LBB55_77
.LBB55_61:                              ;   in Loop: Header=BB55_52 Depth=1
	s_or_b32 exec_lo, exec_lo, s39
	s_and_saveexec_b32 s39, s9
	s_cbranch_execnz .LBB55_78
.LBB55_62:                              ;   in Loop: Header=BB55_52 Depth=1
	s_or_b32 exec_lo, exec_lo, s39
	s_and_saveexec_b32 s39, s10
	s_cbranch_execnz .LBB55_79
.LBB55_63:                              ;   in Loop: Header=BB55_52 Depth=1
	s_or_b32 exec_lo, exec_lo, s39
	s_and_saveexec_b32 s39, s11
	s_cbranch_execnz .LBB55_80
.LBB55_64:                              ;   in Loop: Header=BB55_52 Depth=1
	s_or_b32 exec_lo, exec_lo, s39
	s_and_saveexec_b32 s39, s12
	s_cbranch_execnz .LBB55_81
.LBB55_65:                              ;   in Loop: Header=BB55_52 Depth=1
	s_or_b32 exec_lo, exec_lo, s39
	s_and_saveexec_b32 s39, s13
	s_cbranch_execnz .LBB55_82
.LBB55_66:                              ;   in Loop: Header=BB55_52 Depth=1
	s_or_b32 exec_lo, exec_lo, s39
	s_and_saveexec_b32 s39, s14
	s_cbranch_execnz .LBB55_83
.LBB55_67:                              ;   in Loop: Header=BB55_52 Depth=1
	s_or_b32 exec_lo, exec_lo, s39
	s_and_saveexec_b32 s39, s15
	s_cbranch_execnz .LBB55_84
.LBB55_68:                              ;   in Loop: Header=BB55_52 Depth=1
	s_or_b32 exec_lo, exec_lo, s39
	s_and_saveexec_b32 s15, vcc_lo
	s_cbranch_execz .LBB55_51
	s_branch .LBB55_85
.LBB55_69:                              ;   in Loop: Header=BB55_52 Depth=1
	v_mov_b32_e32 v12, s17
	ds_load_b32 v12, v12
	s_waitcnt lgkmcnt(0)
	v_add_nc_u32_e32 v11, v12, v11
	s_or_b32 exec_lo, exec_lo, s39
	s_and_saveexec_b32 s39, s1
	s_cbranch_execz .LBB55_54
.LBB55_70:                              ;   in Loop: Header=BB55_52 Depth=1
	v_mov_b32_e32 v12, s18
	ds_load_b32 v12, v12
	s_waitcnt lgkmcnt(0)
	v_add_nc_u32_e32 v11, v12, v11
	s_or_b32 exec_lo, exec_lo, s39
	s_and_saveexec_b32 s39, s2
	s_cbranch_execz .LBB55_55
.LBB55_71:                              ;   in Loop: Header=BB55_52 Depth=1
	v_mov_b32_e32 v12, s19
	ds_load_b32 v12, v12
	s_waitcnt lgkmcnt(0)
	v_add_nc_u32_e32 v11, v12, v11
	s_or_b32 exec_lo, exec_lo, s39
	s_and_saveexec_b32 s39, s3
	s_cbranch_execz .LBB55_56
.LBB55_72:                              ;   in Loop: Header=BB55_52 Depth=1
	v_mov_b32_e32 v12, s20
	ds_load_b32 v12, v12
	s_waitcnt lgkmcnt(0)
	v_add_nc_u32_e32 v11, v12, v11
	s_or_b32 exec_lo, exec_lo, s39
	s_and_saveexec_b32 s39, s4
	s_cbranch_execz .LBB55_57
.LBB55_73:                              ;   in Loop: Header=BB55_52 Depth=1
	v_mov_b32_e32 v12, s21
	ds_load_b32 v12, v12
	s_waitcnt lgkmcnt(0)
	v_add_nc_u32_e32 v11, v12, v11
	s_or_b32 exec_lo, exec_lo, s39
	s_and_saveexec_b32 s39, s5
	s_cbranch_execz .LBB55_58
.LBB55_74:                              ;   in Loop: Header=BB55_52 Depth=1
	v_mov_b32_e32 v12, s22
	ds_load_b32 v12, v12
	s_waitcnt lgkmcnt(0)
	v_add_nc_u32_e32 v11, v12, v11
	s_or_b32 exec_lo, exec_lo, s39
	s_and_saveexec_b32 s39, s6
	s_cbranch_execz .LBB55_59
.LBB55_75:                              ;   in Loop: Header=BB55_52 Depth=1
	v_mov_b32_e32 v12, s23
	ds_load_b32 v12, v12
	s_waitcnt lgkmcnt(0)
	v_add_nc_u32_e32 v11, v12, v11
	s_or_b32 exec_lo, exec_lo, s39
	s_and_saveexec_b32 s39, s7
	s_cbranch_execz .LBB55_60
.LBB55_76:                              ;   in Loop: Header=BB55_52 Depth=1
	v_mov_b32_e32 v12, s24
	ds_load_b32 v12, v12
	s_waitcnt lgkmcnt(0)
	v_add_nc_u32_e32 v11, v12, v11
	s_or_b32 exec_lo, exec_lo, s39
	s_and_saveexec_b32 s39, s8
	s_cbranch_execz .LBB55_61
.LBB55_77:                              ;   in Loop: Header=BB55_52 Depth=1
	v_mov_b32_e32 v12, s25
	ds_load_b32 v12, v12
	s_waitcnt lgkmcnt(0)
	v_add_nc_u32_e32 v11, v12, v11
	s_or_b32 exec_lo, exec_lo, s39
	s_and_saveexec_b32 s39, s9
	s_cbranch_execz .LBB55_62
.LBB55_78:                              ;   in Loop: Header=BB55_52 Depth=1
	v_mov_b32_e32 v12, s27
	ds_load_b32 v12, v12
	s_waitcnt lgkmcnt(0)
	v_add_nc_u32_e32 v11, v12, v11
	s_or_b32 exec_lo, exec_lo, s39
	s_and_saveexec_b32 s39, s10
	s_cbranch_execz .LBB55_63
.LBB55_79:                              ;   in Loop: Header=BB55_52 Depth=1
	v_mov_b32_e32 v12, s28
	ds_load_b32 v12, v12
	s_waitcnt lgkmcnt(0)
	v_add_nc_u32_e32 v11, v12, v11
	s_or_b32 exec_lo, exec_lo, s39
	s_and_saveexec_b32 s39, s11
	s_cbranch_execz .LBB55_64
.LBB55_80:                              ;   in Loop: Header=BB55_52 Depth=1
	v_mov_b32_e32 v12, s30
	ds_load_b32 v12, v12
	s_waitcnt lgkmcnt(0)
	v_add_nc_u32_e32 v11, v12, v11
	s_or_b32 exec_lo, exec_lo, s39
	s_and_saveexec_b32 s39, s12
	s_cbranch_execz .LBB55_65
.LBB55_81:                              ;   in Loop: Header=BB55_52 Depth=1
	v_mov_b32_e32 v12, s31
	ds_load_b32 v12, v12
	s_waitcnt lgkmcnt(0)
	v_add_nc_u32_e32 v11, v12, v11
	s_or_b32 exec_lo, exec_lo, s39
	s_and_saveexec_b32 s39, s13
	s_cbranch_execz .LBB55_66
.LBB55_82:                              ;   in Loop: Header=BB55_52 Depth=1
	v_mov_b32_e32 v12, s37
	ds_load_b32 v12, v12
	s_waitcnt lgkmcnt(0)
	v_add_nc_u32_e32 v11, v12, v11
	s_or_b32 exec_lo, exec_lo, s39
	s_and_saveexec_b32 s39, s14
	s_cbranch_execz .LBB55_67
.LBB55_83:                              ;   in Loop: Header=BB55_52 Depth=1
	v_mov_b32_e32 v12, s38
	ds_load_b32 v12, v12
	s_waitcnt lgkmcnt(0)
	v_add_nc_u32_e32 v11, v12, v11
	s_or_b32 exec_lo, exec_lo, s39
	s_and_saveexec_b32 s39, s15
	s_cbranch_execz .LBB55_68
.LBB55_84:                              ;   in Loop: Header=BB55_52 Depth=1
	s_delay_alu instid0(VALU_DEP_1) | instskip(NEXT) | instid1(VALU_DEP_1)
	v_add3_u32 v12, v8, -1, v11
	v_lshlrev_b32_e32 v13, 3, v12
	v_lshl_add_u32 v12, v12, 2, 0
	s_delay_alu instid0(VALU_DEP_2)
	v_add3_u32 v13, 0, v13, 0x10000
	ds_store_b32 v12, v10
	ds_store_2addr_b32 v13, v2, v3 offset1:1
	s_or_b32 exec_lo, exec_lo, s39
	s_and_saveexec_b32 s15, vcc_lo
	s_cbranch_execz .LBB55_51
.LBB55_85:                              ;   in Loop: Header=BB55_52 Depth=1
	v_mov_b32_e32 v2, s29
	ds_store_b32 v2, v11
	s_branch .LBB55_51
.LBB55_86:
	s_or_b32 exec_lo, exec_lo, s16
	s_ashr_i32 s37, s36, 31
	s_mov_b32 s3, exec_lo
	s_lshl_b64 s[0:1], s[36:37], 2
	s_delay_alu instid0(SALU_CYCLE_1) | instskip(SKIP_4) | instid1(SALU_CYCLE_1)
	s_add_u32 s0, s40, s0
	s_addc_u32 s1, s41, s1
	s_load_b64 s[0:1], s[0:1], 0x0
	s_waitcnt lgkmcnt(0)
	s_sub_i32 s2, s1, s0
	v_cmpx_gt_i32_e64 s2, v0
	s_cbranch_execz .LBB55_96
; %bb.87:
	s_sub_i32 s3, s0, s26
	s_sub_i32 s0, s0, s1
	s_and_b32 s1, s2, 7
	s_cmp_lt_u32 s0, -7
	s_mov_b32 s7, 0
	s_cselect_b32 s4, -1, 0
	s_and_b32 s5, s2, -8
	s_cmp_lg_u32 s1, 0
	s_cselect_b32 s6, -1, 0
	s_branch .LBB55_89
.LBB55_88:                              ;   in Loop: Header=BB55_89 Depth=1
	s_waitcnt lgkmcnt(1)
	s_delay_alu instid0(VALU_DEP_1) | instskip(SKIP_1) | instid1(VALU_DEP_2)
	v_ashrrev_i32_e32 v4, 31, v3
	v_add_nc_u32_e32 v0, 0x400, v0
	v_lshlrev_b64 v[3:4], 3, v[3:4]
	s_delay_alu instid0(VALU_DEP_2) | instskip(SKIP_1) | instid1(VALU_DEP_2)
	v_cmp_le_i32_e32 vcc_lo, s2, v0
	s_or_b32 s7, vcc_lo, s7
	v_add_co_u32 v3, s0, s34, v3
	s_delay_alu instid0(VALU_DEP_1)
	v_add_co_ci_u32_e64 v4, s0, s35, v4, s0
	s_waitcnt lgkmcnt(0)
	global_store_b64 v[3:4], v[1:2], off
	s_and_not1_b32 exec_lo, exec_lo, s7
	s_cbranch_execz .LBB55_96
.LBB55_89:                              ; =>This Loop Header: Depth=1
                                        ;     Child Loop BB55_91 Depth 2
                                        ;     Child Loop BB55_95 Depth 2
	v_lshlrev_b32_e32 v1, 3, v0
	v_lshl_add_u32 v2, v0, 2, 0
	v_mov_b32_e32 v3, s3
	s_and_not1_b32 vcc_lo, exec_lo, s4
	s_mov_b32 s0, 0
	v_add3_u32 v1, 0, v1, 0x10000
	ds_load_b32 v4, v2
	ds_load_2addr_b32 v[1:2], v1 offset1:1
	s_cbranch_vccnz .LBB55_93
; %bb.90:                               ;   in Loop: Header=BB55_89 Depth=1
	v_mov_b32_e32 v3, s3
	s_mov_b32 s8, 0
	s_set_inst_prefetch_distance 0x1
	.p2align	6
.LBB55_91:                              ;   Parent Loop BB55_89 Depth=1
                                        ; =>  This Inner Loop Header: Depth=2
	v_mov_b32_e32 v11, s8
	s_add_i32 s0, s0, 8
	s_add_i32 s8, s8, 32
	s_cmp_eq_u32 s5, s0
	ds_load_2addr_b32 v[5:6], v11 offset1:1
	ds_load_2addr_b32 v[7:8], v11 offset0:2 offset1:3
	ds_load_2addr_b32 v[9:10], v11 offset0:4 offset1:5
	;; [unrolled: 1-line block ×3, first 2 shown]
	s_waitcnt lgkmcnt(3)
	v_cmp_gt_i32_e32 vcc_lo, v4, v5
	v_cndmask_b32_e64 v5, 0, 1, vcc_lo
	s_waitcnt lgkmcnt(2)
	v_cmp_gt_i32_e32 vcc_lo, v4, v7
	v_cndmask_b32_e64 v7, 0, 1, vcc_lo
	v_cmp_gt_i32_e32 vcc_lo, v4, v6
	v_add_co_ci_u32_e32 v3, vcc_lo, v3, v5, vcc_lo
	s_waitcnt lgkmcnt(1)
	v_cmp_gt_i32_e32 vcc_lo, v4, v9
	v_cndmask_b32_e64 v5, 0, 1, vcc_lo
	v_cmp_gt_i32_e32 vcc_lo, v4, v8
	v_add_co_ci_u32_e32 v3, vcc_lo, v3, v7, vcc_lo
	;; [unrolled: 5-line block ×3, first 2 shown]
	v_cmp_gt_i32_e32 vcc_lo, v4, v12
	s_delay_alu instid0(VALU_DEP_2)
	v_add_co_ci_u32_e32 v3, vcc_lo, v3, v6, vcc_lo
	s_cbranch_scc0 .LBB55_91
; %bb.92:                               ;   in Loop: Header=BB55_89 Depth=1
	s_set_inst_prefetch_distance 0x2
	s_mov_b32 s0, s5
.LBB55_93:                              ;   in Loop: Header=BB55_89 Depth=1
	s_and_not1_b32 vcc_lo, exec_lo, s6
	s_cbranch_vccnz .LBB55_88
; %bb.94:                               ;   in Loop: Header=BB55_89 Depth=1
	s_lshl_b32 s0, s0, 2
	s_mov_b32 s8, s1
	s_add_i32 s0, s0, 0
.LBB55_95:                              ;   Parent Loop BB55_89 Depth=1
                                        ; =>  This Inner Loop Header: Depth=2
	s_delay_alu instid0(SALU_CYCLE_1)
	v_mov_b32_e32 v5, s0
	s_add_i32 s8, s8, -1
	s_add_i32 s0, s0, 4
	s_cmp_lg_u32 s8, 0
	ds_load_b32 v5, v5
	s_waitcnt lgkmcnt(0)
	v_cmp_gt_i32_e32 vcc_lo, v4, v5
	v_add_co_ci_u32_e32 v3, vcc_lo, 0, v3, vcc_lo
	s_cbranch_scc1 .LBB55_95
	s_branch .LBB55_88
.LBB55_96:
	s_nop 0
	s_sendmsg sendmsg(MSG_DEALLOC_VGPRS)
	s_endpgm
	.section	.rodata,"a",@progbits
	.p2align	6, 0x0
	.amdhsa_kernel _ZN9rocsparseL41csrgemm_numeric_fill_block_per_row_kernelILj1024ELj64ELj16384ELj137ELj64Eii21rocsparse_complex_numIfEEEvT5_PKS3_S5_NS_24const_host_device_scalarIT6_EEPKT4_S5_PKS7_SB_S5_SD_S8_SB_S5_SD_SB_S5_PS7_21rocsparse_index_base_SF_SF_SF_bbb
		.amdhsa_group_segment_fixed_size 0
		.amdhsa_private_segment_fixed_size 0
		.amdhsa_kernarg_size 156
		.amdhsa_user_sgpr_count 15
		.amdhsa_user_sgpr_dispatch_ptr 0
		.amdhsa_user_sgpr_queue_ptr 0
		.amdhsa_user_sgpr_kernarg_segment_ptr 1
		.amdhsa_user_sgpr_dispatch_id 0
		.amdhsa_user_sgpr_private_segment_size 0
		.amdhsa_wavefront_size32 1
		.amdhsa_uses_dynamic_stack 0
		.amdhsa_enable_private_segment 0
		.amdhsa_system_sgpr_workgroup_id_x 1
		.amdhsa_system_sgpr_workgroup_id_y 0
		.amdhsa_system_sgpr_workgroup_id_z 0
		.amdhsa_system_sgpr_workgroup_info 0
		.amdhsa_system_vgpr_workitem_id 0
		.amdhsa_next_free_vgpr 17
		.amdhsa_next_free_sgpr 43
		.amdhsa_reserve_vcc 1
		.amdhsa_float_round_mode_32 0
		.amdhsa_float_round_mode_16_64 0
		.amdhsa_float_denorm_mode_32 3
		.amdhsa_float_denorm_mode_16_64 3
		.amdhsa_dx10_clamp 1
		.amdhsa_ieee_mode 1
		.amdhsa_fp16_overflow 0
		.amdhsa_workgroup_processor_mode 1
		.amdhsa_memory_ordered 1
		.amdhsa_forward_progress 0
		.amdhsa_shared_vgpr_count 0
		.amdhsa_exception_fp_ieee_invalid_op 0
		.amdhsa_exception_fp_denorm_src 0
		.amdhsa_exception_fp_ieee_div_zero 0
		.amdhsa_exception_fp_ieee_overflow 0
		.amdhsa_exception_fp_ieee_underflow 0
		.amdhsa_exception_fp_ieee_inexact 0
		.amdhsa_exception_int_div_zero 0
	.end_amdhsa_kernel
	.section	.text._ZN9rocsparseL41csrgemm_numeric_fill_block_per_row_kernelILj1024ELj64ELj16384ELj137ELj64Eii21rocsparse_complex_numIfEEEvT5_PKS3_S5_NS_24const_host_device_scalarIT6_EEPKT4_S5_PKS7_SB_S5_SD_S8_SB_S5_SD_SB_S5_PS7_21rocsparse_index_base_SF_SF_SF_bbb,"axG",@progbits,_ZN9rocsparseL41csrgemm_numeric_fill_block_per_row_kernelILj1024ELj64ELj16384ELj137ELj64Eii21rocsparse_complex_numIfEEEvT5_PKS3_S5_NS_24const_host_device_scalarIT6_EEPKT4_S5_PKS7_SB_S5_SD_S8_SB_S5_SD_SB_S5_PS7_21rocsparse_index_base_SF_SF_SF_bbb,comdat
.Lfunc_end55:
	.size	_ZN9rocsparseL41csrgemm_numeric_fill_block_per_row_kernelILj1024ELj64ELj16384ELj137ELj64Eii21rocsparse_complex_numIfEEEvT5_PKS3_S5_NS_24const_host_device_scalarIT6_EEPKT4_S5_PKS7_SB_S5_SD_S8_SB_S5_SD_SB_S5_PS7_21rocsparse_index_base_SF_SF_SF_bbb, .Lfunc_end55-_ZN9rocsparseL41csrgemm_numeric_fill_block_per_row_kernelILj1024ELj64ELj16384ELj137ELj64Eii21rocsparse_complex_numIfEEEvT5_PKS3_S5_NS_24const_host_device_scalarIT6_EEPKT4_S5_PKS7_SB_S5_SD_S8_SB_S5_SD_SB_S5_PS7_21rocsparse_index_base_SF_SF_SF_bbb
                                        ; -- End function
	.section	.AMDGPU.csdata,"",@progbits
; Kernel info:
; codeLenInByte = 3584
; NumSgprs: 45
; NumVgprs: 17
; ScratchSize: 0
; MemoryBound: 0
; FloatMode: 240
; IeeeMode: 1
; LDSByteSize: 0 bytes/workgroup (compile time only)
; SGPRBlocks: 5
; VGPRBlocks: 2
; NumSGPRsForWavesPerEU: 45
; NumVGPRsForWavesPerEU: 17
; Occupancy: 16
; WaveLimiterHint : 1
; COMPUTE_PGM_RSRC2:SCRATCH_EN: 0
; COMPUTE_PGM_RSRC2:USER_SGPR: 15
; COMPUTE_PGM_RSRC2:TRAP_HANDLER: 0
; COMPUTE_PGM_RSRC2:TGID_X_EN: 1
; COMPUTE_PGM_RSRC2:TGID_Y_EN: 0
; COMPUTE_PGM_RSRC2:TGID_Z_EN: 0
; COMPUTE_PGM_RSRC2:TIDIG_COMP_CNT: 0
	.section	.text._ZN9rocsparseL41csrgemm_numeric_fill_block_per_row_kernelILj1024ELj64ELj32768ELj137ELj32Eii21rocsparse_complex_numIfEEEvT5_PKS3_S5_NS_24const_host_device_scalarIT6_EEPKT4_S5_PKS7_SB_S5_SD_S8_SB_S5_SD_SB_S5_PS7_21rocsparse_index_base_SF_SF_SF_bbb,"axG",@progbits,_ZN9rocsparseL41csrgemm_numeric_fill_block_per_row_kernelILj1024ELj64ELj32768ELj137ELj32Eii21rocsparse_complex_numIfEEEvT5_PKS3_S5_NS_24const_host_device_scalarIT6_EEPKT4_S5_PKS7_SB_S5_SD_S8_SB_S5_SD_SB_S5_PS7_21rocsparse_index_base_SF_SF_SF_bbb,comdat
	.globl	_ZN9rocsparseL41csrgemm_numeric_fill_block_per_row_kernelILj1024ELj64ELj32768ELj137ELj32Eii21rocsparse_complex_numIfEEEvT5_PKS3_S5_NS_24const_host_device_scalarIT6_EEPKT4_S5_PKS7_SB_S5_SD_S8_SB_S5_SD_SB_S5_PS7_21rocsparse_index_base_SF_SF_SF_bbb ; -- Begin function _ZN9rocsparseL41csrgemm_numeric_fill_block_per_row_kernelILj1024ELj64ELj32768ELj137ELj32Eii21rocsparse_complex_numIfEEEvT5_PKS3_S5_NS_24const_host_device_scalarIT6_EEPKT4_S5_PKS7_SB_S5_SD_S8_SB_S5_SD_SB_S5_PS7_21rocsparse_index_base_SF_SF_SF_bbb
	.p2align	8
	.type	_ZN9rocsparseL41csrgemm_numeric_fill_block_per_row_kernelILj1024ELj64ELj32768ELj137ELj32Eii21rocsparse_complex_numIfEEEvT5_PKS3_S5_NS_24const_host_device_scalarIT6_EEPKT4_S5_PKS7_SB_S5_SD_S8_SB_S5_SD_SB_S5_PS7_21rocsparse_index_base_SF_SF_SF_bbb,@function
_ZN9rocsparseL41csrgemm_numeric_fill_block_per_row_kernelILj1024ELj64ELj32768ELj137ELj32Eii21rocsparse_complex_numIfEEEvT5_PKS3_S5_NS_24const_host_device_scalarIT6_EEPKT4_S5_PKS7_SB_S5_SD_S8_SB_S5_SD_SB_S5_PS7_21rocsparse_index_base_SF_SF_SF_bbb: ; @_ZN9rocsparseL41csrgemm_numeric_fill_block_per_row_kernelILj1024ELj64ELj32768ELj137ELj32Eii21rocsparse_complex_numIfEEEvT5_PKS3_S5_NS_24const_host_device_scalarIT6_EEPKT4_S5_PKS7_SB_S5_SD_S8_SB_S5_SD_SB_S5_PS7_21rocsparse_index_base_SF_SF_SF_bbb
; %bb.0:
	s_clause 0x7
	s_load_b32 s12, s[0:1], 0x98
	s_load_b64 s[40:41], s[0:1], 0x70
	s_load_b128 s[24:27], s[0:1], 0x60
	s_load_b256 s[4:11], s[0:1], 0x40
	s_load_b128 s[28:31], s[0:1], 0x8
	s_load_b256 s[16:23], s[0:1], 0x20
	s_load_b64 s[34:35], s[0:1], 0x80
	s_load_b128 s[36:39], s[0:1], 0x88
	s_mov_b32 s3, 0
	s_mov_b32 s13, 0
	s_waitcnt lgkmcnt(0)
	s_bitcmp1_b32 s12, 0
	s_cselect_b32 s43, -1, 0
	s_bitcmp1_b32 s12, 16
	s_cselect_b32 s2, -1, 0
	s_delay_alu instid0(SALU_CYCLE_1) | instskip(SKIP_2) | instid1(VALU_DEP_1)
	s_xor_b32 s14, s2, -1
	s_bitcmp0_b32 s12, 0
	v_cndmask_b32_e64 v1, 0, 1, s14
	v_cmp_ne_u32_e32 vcc_lo, 1, v1
	s_cbranch_scc1 .LBB56_5
; %bb.1:
	s_load_b64 s[2:3], s[0:1], 0x18
	s_and_b32 vcc_lo, exec_lo, vcc_lo
	s_waitcnt lgkmcnt(0)
	s_mov_b32 s13, s2
	s_cbranch_vccnz .LBB56_3
; %bb.2:
	s_load_b32 s13, s[2:3], 0x0
.LBB56_3:
	s_and_not1_b32 vcc_lo, exec_lo, s14
	s_cbranch_vccnz .LBB56_5
; %bb.4:
	s_load_b32 s3, s[2:3], 0x4
.LBB56_5:
	s_bitcmp1_b32 s12, 8
	s_cselect_b32 s14, -1, 0
	s_bfe_u32 s2, s12, 0x10008
	s_mov_b32 s12, 0
	s_cmp_eq_u32 s2, 0
	s_mov_b32 s2, 0
	s_cbranch_scc1 .LBB56_11
; %bb.6:
	v_cmp_ne_u32_e32 vcc_lo, 1, v1
	s_mov_b32 s2, s8
	s_cbranch_vccnz .LBB56_8
; %bb.7:
	s_load_b32 s2, s[8:9], 0x0
.LBB56_8:
	v_cmp_ne_u32_e32 vcc_lo, 1, v1
	s_cbranch_vccnz .LBB56_10
; %bb.9:
	s_load_b32 s9, s[8:9], 0x4
.LBB56_10:
	s_waitcnt lgkmcnt(0)
	s_mov_b32 s12, s9
.LBB56_11:
	s_load_b32 s33, s[0:1], 0x0
	v_lshlrev_b32_e32 v7, 3, v0
	v_lshl_add_u32 v5, v0, 2, 0
	v_or_b32_e32 v6, 0xfffffc00, v0
	v_mov_b32_e32 v1, 0
	s_mov_b32 s0, 0
	s_delay_alu instid0(VALU_DEP_2)
	v_dual_mov_b32 v3, v5 :: v_dual_mov_b32 v8, v6
	s_waitcnt lgkmcnt(0)
	v_mov_b32_e32 v4, s33
	v_add3_u32 v2, v7, 0, 0x20004
.LBB56_12:                              ; =>This Inner Loop Header: Depth=1
	s_delay_alu instid0(VALU_DEP_3)
	v_add_nc_u32_e32 v8, 0x400, v8
	ds_store_b32 v3, v4
	v_add_nc_u32_e32 v9, -4, v2
	v_add_nc_u32_e32 v2, 0x2000, v2
	v_add_nc_u32_e32 v3, 0x1000, v3
	v_cmp_lt_u32_e32 vcc_lo, 0x7bff, v8
	ds_store_2addr_b32 v9, v1, v1 offset1:1
	s_or_b32 s0, vcc_lo, s0
	s_delay_alu instid0(SALU_CYCLE_1)
	s_and_not1_b32 exec_lo, exec_lo, s0
	s_cbranch_execnz .LBB56_12
; %bb.13:
	s_or_b32 exec_lo, exec_lo, s0
	s_waitcnt lgkmcnt(0)
	s_barrier
	buffer_gl0_inv
	s_load_b32 s0, s[28:29], 0x0
	s_mov_b32 s1, 0
	s_waitcnt lgkmcnt(0)
	s_add_i32 s0, s0, s15
	s_delay_alu instid0(SALU_CYCLE_1) | instskip(NEXT) | instid1(SALU_CYCLE_1)
	s_lshl_b64 s[0:1], s[0:1], 2
	s_add_u32 s0, s30, s0
	s_addc_u32 s1, s31, s1
	s_and_b32 vcc_lo, exec_lo, s43
	s_load_b32 s42, s[0:1], 0x0
	s_cbranch_vccz .LBB56_33
; %bb.14:
	s_waitcnt lgkmcnt(0)
	s_ashr_i32 s43, s42, 31
	v_lshrrev_b32_e32 v1, 6, v0
	s_lshl_b64 s[0:1], s[42:43], 2
	s_delay_alu instid0(SALU_CYCLE_1) | instskip(SKIP_1) | instid1(VALU_DEP_1)
	s_add_u32 s0, s16, s0
	s_addc_u32 s1, s17, s1
	v_subrev_nc_u32_e32 v1, s36, v1
	s_load_b64 s[0:1], s[0:1], 0x0
	s_waitcnt lgkmcnt(0)
	s_delay_alu instid0(VALU_DEP_1) | instskip(SKIP_2) | instid1(VALU_DEP_1)
	v_add_nc_u32_e32 v1, s0, v1
	s_sub_i32 s0, s1, s36
	s_mov_b32 s1, exec_lo
	v_cmpx_gt_i32_e64 s0, v1
	s_cbranch_execz .LBB56_32
; %bb.15:
	v_and_b32_e32 v2, 63, v0
	s_mov_b32 s8, 0
	s_delay_alu instid0(VALU_DEP_1)
	v_subrev_nc_u32_e32 v8, s37, v2
	s_branch .LBB56_17
.LBB56_16:                              ;   in Loop: Header=BB56_17 Depth=1
	s_or_b32 exec_lo, exec_lo, s9
	v_add_nc_u32_e32 v1, 16, v1
	s_delay_alu instid0(VALU_DEP_1) | instskip(SKIP_1) | instid1(SALU_CYCLE_1)
	v_cmp_le_i32_e32 vcc_lo, s0, v1
	s_or_b32 s8, vcc_lo, s8
	s_and_not1_b32 exec_lo, exec_lo, s8
	s_cbranch_execz .LBB56_32
.LBB56_17:                              ; =>This Loop Header: Depth=1
                                        ;     Child Loop BB56_20 Depth 2
                                        ;       Child Loop BB56_22 Depth 3
	v_ashrrev_i32_e32 v2, 31, v1
	s_mov_b32 s9, exec_lo
	s_delay_alu instid0(VALU_DEP_1) | instskip(NEXT) | instid1(VALU_DEP_1)
	v_lshlrev_b64 v[3:4], 2, v[1:2]
	v_add_co_u32 v3, vcc_lo, s18, v3
	s_delay_alu instid0(VALU_DEP_2) | instskip(SKIP_3) | instid1(VALU_DEP_1)
	v_add_co_ci_u32_e32 v4, vcc_lo, s19, v4, vcc_lo
	global_load_b32 v3, v[3:4], off
	s_waitcnt vmcnt(0)
	v_subrev_nc_u32_e32 v3, s36, v3
	v_ashrrev_i32_e32 v4, 31, v3
	s_delay_alu instid0(VALU_DEP_1) | instskip(NEXT) | instid1(VALU_DEP_1)
	v_lshlrev_b64 v[3:4], 2, v[3:4]
	v_add_co_u32 v3, vcc_lo, s22, v3
	s_delay_alu instid0(VALU_DEP_2) | instskip(SKIP_4) | instid1(VALU_DEP_1)
	v_add_co_ci_u32_e32 v4, vcc_lo, s23, v4, vcc_lo
	global_load_b64 v[3:4], v[3:4], off
	s_waitcnt vmcnt(0)
	v_subrev_nc_u32_e32 v9, s37, v4
	v_add_nc_u32_e32 v3, v3, v8
	v_cmpx_lt_i32_e64 v3, v9
	s_cbranch_execz .LBB56_16
; %bb.18:                               ;   in Loop: Header=BB56_17 Depth=1
	v_lshlrev_b64 v[10:11], 3, v[1:2]
	s_mov_b32 s15, 0
	s_delay_alu instid0(VALU_DEP_1) | instskip(NEXT) | instid1(VALU_DEP_2)
	v_add_co_u32 v10, vcc_lo, s20, v10
	v_add_co_ci_u32_e32 v11, vcc_lo, s21, v11, vcc_lo
	global_load_b64 v[11:12], v[10:11], off
	s_waitcnt vmcnt(0)
	v_mul_f32_e64 v2, v12, -s3
	v_mul_f32_e32 v10, s13, v12
	s_delay_alu instid0(VALU_DEP_2) | instskip(NEXT) | instid1(VALU_DEP_2)
	v_fmac_f32_e32 v2, s13, v11
	v_fmac_f32_e32 v10, s3, v11
	s_branch .LBB56_20
.LBB56_19:                              ;   in Loop: Header=BB56_20 Depth=2
	s_or_b32 exec_lo, exec_lo, s16
	v_add_nc_u32_e32 v3, 64, v3
	s_delay_alu instid0(VALU_DEP_1) | instskip(SKIP_1) | instid1(SALU_CYCLE_1)
	v_cmp_ge_i32_e32 vcc_lo, v3, v9
	s_or_b32 s15, vcc_lo, s15
	s_and_not1_b32 exec_lo, exec_lo, s15
	s_cbranch_execz .LBB56_16
.LBB56_20:                              ;   Parent Loop BB56_17 Depth=1
                                        ; =>  This Loop Header: Depth=2
                                        ;       Child Loop BB56_22 Depth 3
	v_ashrrev_i32_e32 v4, 31, v3
	s_mov_b32 s16, 0
	s_delay_alu instid0(VALU_DEP_1) | instskip(SKIP_1) | instid1(VALU_DEP_2)
	v_lshlrev_b64 v[11:12], 2, v[3:4]
	v_lshlrev_b64 v[13:14], 3, v[3:4]
	v_add_co_u32 v11, vcc_lo, s4, v11
	s_delay_alu instid0(VALU_DEP_3)
	v_add_co_ci_u32_e32 v12, vcc_lo, s5, v12, vcc_lo
	global_load_b32 v4, v[11:12], off
	v_add_co_u32 v11, vcc_lo, s6, v13
	v_add_co_ci_u32_e32 v12, vcc_lo, s7, v14, vcc_lo
	global_load_b64 v[13:14], v[11:12], off
	s_waitcnt vmcnt(1)
	v_subrev_nc_u32_e32 v4, s37, v4
	s_delay_alu instid0(VALU_DEP_1) | instskip(SKIP_3) | instid1(VALU_DEP_2)
	v_mul_lo_u32 v15, 0x89, v4
	s_waitcnt vmcnt(0)
	v_mul_f32_e64 v11, v14, -v10
	v_mul_f32_e32 v12, v2, v14
	v_fmac_f32_e32 v11, v2, v13
	s_delay_alu instid0(VALU_DEP_2)
	v_dual_fmac_f32 v12, v10, v13 :: v_dual_and_b32 v13, 0x7fff, v15
	s_branch .LBB56_22
.LBB56_21:                              ;   in Loop: Header=BB56_22 Depth=3
	s_or_b32 exec_lo, exec_lo, s17
	s_xor_b32 s17, s28, -1
	s_delay_alu instid0(SALU_CYCLE_1) | instskip(NEXT) | instid1(SALU_CYCLE_1)
	s_and_b32 s17, exec_lo, s17
	s_or_b32 s16, s17, s16
	s_delay_alu instid0(SALU_CYCLE_1)
	s_and_not1_b32 exec_lo, exec_lo, s16
	s_cbranch_execz .LBB56_19
.LBB56_22:                              ;   Parent Loop BB56_17 Depth=1
                                        ;     Parent Loop BB56_20 Depth=2
                                        ; =>    This Inner Loop Header: Depth=3
	s_delay_alu instid0(VALU_DEP_1)
	v_lshl_add_u32 v14, v13, 2, 0
	s_mov_b32 s17, exec_lo
                                        ; implicit-def: $sgpr28
	ds_load_b32 v15, v14
	s_waitcnt lgkmcnt(0)
	v_cmpx_ne_u32_e64 v15, v4
	s_xor_b32 s17, exec_lo, s17
	s_cbranch_execz .LBB56_30
; %bb.23:                               ;   in Loop: Header=BB56_22 Depth=3
	s_mov_b32 s29, exec_lo
                                        ; implicit-def: $sgpr28
	v_cmpx_ne_u32_e64 s33, v15
	s_xor_b32 s29, exec_lo, s29
; %bb.24:                               ;   in Loop: Header=BB56_22 Depth=3
	v_add_nc_u32_e32 v13, 1, v13
	s_mov_b32 s28, -1
                                        ; implicit-def: $vgpr14
	s_delay_alu instid0(VALU_DEP_1)
	v_and_b32_e32 v13, 0x7fff, v13
; %bb.25:                               ;   in Loop: Header=BB56_22 Depth=3
	s_and_not1_saveexec_b32 s29, s29
	s_cbranch_execz .LBB56_29
; %bb.26:                               ;   in Loop: Header=BB56_22 Depth=3
	v_mov_b32_e32 v15, s33
	s_mov_b32 s31, -1
	s_mov_b32 s30, exec_lo
	ds_cmpstore_rtn_b32 v14, v14, v4, v15
	s_waitcnt lgkmcnt(0)
	v_cmpx_eq_u32_e64 s33, v14
	s_cbranch_execz .LBB56_28
; %bb.27:                               ;   in Loop: Header=BB56_22 Depth=3
	v_lshlrev_b32_e32 v14, 3, v13
	s_xor_b32 s31, exec_lo, -1
	s_delay_alu instid0(VALU_DEP_1)
	v_add3_u32 v14, 0, v14, 0x20000
	ds_add_f32 v14, v11
	ds_add_f32 v14, v12 offset:4
.LBB56_28:                              ;   in Loop: Header=BB56_22 Depth=3
	s_or_b32 exec_lo, exec_lo, s30
	s_delay_alu instid0(SALU_CYCLE_1) | instskip(SKIP_1) | instid1(SALU_CYCLE_1)
	s_and_not1_b32 s28, s28, exec_lo
	s_and_b32 s30, s31, exec_lo
	s_or_b32 s28, s28, s30
.LBB56_29:                              ;   in Loop: Header=BB56_22 Depth=3
	s_or_b32 exec_lo, exec_lo, s29
	s_delay_alu instid0(SALU_CYCLE_1)
	s_and_b32 s28, s28, exec_lo
.LBB56_30:                              ;   in Loop: Header=BB56_22 Depth=3
	s_and_not1_saveexec_b32 s17, s17
	s_cbranch_execz .LBB56_21
; %bb.31:                               ;   in Loop: Header=BB56_22 Depth=3
	v_lshlrev_b32_e32 v14, 3, v13
	s_and_not1_b32 s28, s28, exec_lo
	s_delay_alu instid0(VALU_DEP_1)
	v_add3_u32 v14, 0, v14, 0x20000
	ds_add_f32 v14, v11
	ds_add_f32 v14, v12 offset:4
	s_branch .LBB56_21
.LBB56_32:
	s_or_b32 exec_lo, exec_lo, s1
.LBB56_33:
	s_delay_alu instid0(SALU_CYCLE_1)
	s_and_not1_b32 vcc_lo, exec_lo, s14
	s_cbranch_vccnz .LBB56_50
; %bb.34:
	s_waitcnt lgkmcnt(0)
	s_ashr_i32 s43, s42, 31
	v_subrev_nc_u32_e32 v1, s39, v0
	s_lshl_b64 s[0:1], s[42:43], 2
	s_delay_alu instid0(SALU_CYCLE_1)
	s_add_u32 s0, s10, s0
	s_addc_u32 s1, s11, s1
	s_load_b64 s[0:1], s[0:1], 0x0
	s_waitcnt lgkmcnt(0)
	v_add_nc_u32_e32 v1, s0, v1
	s_sub_i32 s0, s1, s39
	s_mov_b32 s1, exec_lo
	s_delay_alu instid0(VALU_DEP_1)
	v_cmpx_gt_i32_e64 s0, v1
	s_cbranch_execz .LBB56_49
; %bb.35:
	s_mov_b32 s3, 0
	s_branch .LBB56_37
.LBB56_36:                              ;   in Loop: Header=BB56_37 Depth=1
	s_or_b32 exec_lo, exec_lo, s4
	v_add_nc_u32_e32 v1, 0x400, v1
	s_delay_alu instid0(VALU_DEP_1) | instskip(SKIP_1) | instid1(SALU_CYCLE_1)
	v_cmp_le_i32_e32 vcc_lo, s0, v1
	s_or_b32 s3, vcc_lo, s3
	s_and_not1_b32 exec_lo, exec_lo, s3
	s_cbranch_execz .LBB56_49
.LBB56_37:                              ; =>This Loop Header: Depth=1
                                        ;     Child Loop BB56_39 Depth 2
	v_ashrrev_i32_e32 v2, 31, v1
	s_mov_b32 s4, 0
	s_delay_alu instid0(VALU_DEP_1) | instskip(SKIP_1) | instid1(VALU_DEP_2)
	v_lshlrev_b64 v[3:4], 2, v[1:2]
	v_lshlrev_b64 v[8:9], 3, v[1:2]
	v_add_co_u32 v3, vcc_lo, s24, v3
	s_delay_alu instid0(VALU_DEP_3) | instskip(NEXT) | instid1(VALU_DEP_3)
	v_add_co_ci_u32_e32 v4, vcc_lo, s25, v4, vcc_lo
	v_add_co_u32 v2, vcc_lo, s26, v8
	global_load_b32 v4, v[3:4], off
	v_add_co_ci_u32_e32 v3, vcc_lo, s27, v9, vcc_lo
	global_load_b64 v[8:9], v[2:3], off
	s_waitcnt vmcnt(1)
	v_subrev_nc_u32_e32 v2, s39, v4
	s_delay_alu instid0(VALU_DEP_1) | instskip(SKIP_2) | instid1(VALU_DEP_1)
	v_mul_lo_u32 v10, 0x89, v2
	s_waitcnt vmcnt(0)
	v_mul_f32_e64 v3, v9, -s12
	v_dual_mul_f32 v4, s2, v9 :: v_dual_fmac_f32 v3, s2, v8
	s_delay_alu instid0(VALU_DEP_1) | instskip(NEXT) | instid1(VALU_DEP_4)
	v_fmac_f32_e32 v4, s12, v8
	v_and_b32_e32 v8, 0x7fff, v10
	s_branch .LBB56_39
.LBB56_38:                              ;   in Loop: Header=BB56_39 Depth=2
	s_or_b32 exec_lo, exec_lo, s5
	s_xor_b32 s5, s6, -1
	s_delay_alu instid0(SALU_CYCLE_1) | instskip(NEXT) | instid1(SALU_CYCLE_1)
	s_and_b32 s5, exec_lo, s5
	s_or_b32 s4, s5, s4
	s_delay_alu instid0(SALU_CYCLE_1)
	s_and_not1_b32 exec_lo, exec_lo, s4
	s_cbranch_execz .LBB56_36
.LBB56_39:                              ;   Parent Loop BB56_37 Depth=1
                                        ; =>  This Inner Loop Header: Depth=2
	s_delay_alu instid0(VALU_DEP_1)
	v_lshl_add_u32 v9, v8, 2, 0
	s_mov_b32 s5, exec_lo
                                        ; implicit-def: $sgpr6
	ds_load_b32 v10, v9
	s_waitcnt lgkmcnt(0)
	v_cmpx_ne_u32_e64 v10, v2
	s_xor_b32 s5, exec_lo, s5
	s_cbranch_execz .LBB56_47
; %bb.40:                               ;   in Loop: Header=BB56_39 Depth=2
	s_mov_b32 s7, exec_lo
                                        ; implicit-def: $sgpr6
	v_cmpx_ne_u32_e64 s33, v10
	s_xor_b32 s7, exec_lo, s7
; %bb.41:                               ;   in Loop: Header=BB56_39 Depth=2
	v_add_nc_u32_e32 v8, 1, v8
	s_mov_b32 s6, -1
                                        ; implicit-def: $vgpr9
	s_delay_alu instid0(VALU_DEP_1)
	v_and_b32_e32 v8, 0x7fff, v8
; %bb.42:                               ;   in Loop: Header=BB56_39 Depth=2
	s_and_not1_saveexec_b32 s7, s7
	s_cbranch_execz .LBB56_46
; %bb.43:                               ;   in Loop: Header=BB56_39 Depth=2
	v_mov_b32_e32 v10, s33
	s_mov_b32 s9, -1
	s_mov_b32 s8, exec_lo
	ds_cmpstore_rtn_b32 v9, v9, v2, v10
	s_waitcnt lgkmcnt(0)
	v_cmpx_eq_u32_e64 s33, v9
	s_cbranch_execz .LBB56_45
; %bb.44:                               ;   in Loop: Header=BB56_39 Depth=2
	v_lshlrev_b32_e32 v9, 3, v8
	s_xor_b32 s9, exec_lo, -1
	s_delay_alu instid0(VALU_DEP_1)
	v_add3_u32 v9, 0, v9, 0x20000
	ds_add_f32 v9, v3
	ds_add_f32 v9, v4 offset:4
.LBB56_45:                              ;   in Loop: Header=BB56_39 Depth=2
	s_or_b32 exec_lo, exec_lo, s8
	s_delay_alu instid0(SALU_CYCLE_1) | instskip(SKIP_1) | instid1(SALU_CYCLE_1)
	s_and_not1_b32 s6, s6, exec_lo
	s_and_b32 s8, s9, exec_lo
	s_or_b32 s6, s6, s8
.LBB56_46:                              ;   in Loop: Header=BB56_39 Depth=2
	s_or_b32 exec_lo, exec_lo, s7
	s_delay_alu instid0(SALU_CYCLE_1)
	s_and_b32 s6, s6, exec_lo
.LBB56_47:                              ;   in Loop: Header=BB56_39 Depth=2
	s_and_not1_saveexec_b32 s5, s5
	s_cbranch_execz .LBB56_38
; %bb.48:                               ;   in Loop: Header=BB56_39 Depth=2
	v_lshlrev_b32_e32 v9, 3, v8
	s_and_not1_b32 s6, s6, exec_lo
	s_delay_alu instid0(VALU_DEP_1)
	v_add3_u32 v9, 0, v9, 0x20000
	ds_add_f32 v9, v3
	ds_add_f32 v9, v4 offset:4
	s_branch .LBB56_38
.LBB56_49:
	s_or_b32 exec_lo, exec_lo, s1
.LBB56_50:
	v_mbcnt_lo_u32_b32 v1, -1, 0
	v_lshrrev_b32_e32 v2, 3, v0
	s_add_i32 s68, 0, 0x6007c
	v_cmp_eq_u32_e32 vcc_lo, 0x3ff, v0
	v_cmp_lt_u32_e64 s0, 31, v0
	v_xor_b32_e32 v1, 63, v1
	v_dual_mov_b32 v8, 0 :: v_dual_and_b32 v3, 0x7c, v2
	v_cmp_lt_u32_e64 s1, 63, v0
	v_cmp_lt_u32_e64 s2, 0x5f, v0
	s_delay_alu instid0(VALU_DEP_4) | instskip(NEXT) | instid1(VALU_DEP_4)
	v_lshrrev_b64 v[1:2], v1, -1
	v_add3_u32 v4, 0, 0x60000, v3
	v_cmp_lt_u32_e64 s3, 0x7f, v0
	v_cmp_lt_u32_e64 s4, 0x9f, v0
	;; [unrolled: 1-line block ×28, first 2 shown]
	v_add3_u32 v7, v7, 0, 0x20000
	v_mov_b32_e32 v9, s68
	s_mov_b32 s36, 0
	s_add_i32 s37, 0, 0x60000
	s_add_i32 s39, 0, 0x60004
	s_add_i32 s43, 0, 0x60008
	s_add_i32 s44, 0, 0x6000c
	s_add_i32 s45, 0, 0x60010
	s_add_i32 s46, 0, 0x60014
	s_add_i32 s47, 0, 0x60018
	s_add_i32 s48, 0, 0x6001c
	s_add_i32 s49, 0, 0x60020
	s_add_i32 s50, 0, 0x60024
	s_add_i32 s51, 0, 0x60028
	s_add_i32 s52, 0, 0x6002c
	s_add_i32 s53, 0, 0x60030
	s_add_i32 s54, 0, 0x60034
	s_add_i32 s55, 0, 0x60038
	s_add_i32 s56, 0, 0x6003c
	s_add_i32 s57, 0, 0x60040
	s_add_i32 s58, 0, 0x60044
	s_add_i32 s59, 0, 0x60048
	s_add_i32 s60, 0, 0x6004c
	s_add_i32 s61, 0, 0x60050
	s_add_i32 s62, 0, 0x60054
	s_add_i32 s63, 0, 0x60058
	s_add_i32 s64, 0, 0x6005c
	s_add_i32 s65, 0, 0x60060
	s_add_i32 s66, 0, 0x60064
	s_add_i32 s67, 0, 0x60068
	s_add_i32 s69, 0, 0x6006c
	s_add_i32 s70, 0, 0x60070
	s_add_i32 s71, 0, 0x60074
	s_add_i32 s72, 0, 0x60078
	s_waitcnt lgkmcnt(0)
	s_barrier
	buffer_gl0_inv
	s_branch .LBB56_52
.LBB56_51:                              ;   in Loop: Header=BB56_52 Depth=1
	s_or_b32 exec_lo, exec_lo, s31
	s_waitcnt lgkmcnt(0)
	s_barrier
	buffer_gl0_inv
	ds_load_b32 v2, v9
	v_add_nc_u32_e32 v6, 0x400, v6
	v_add_nc_u32_e32 v7, 0x2000, v7
	;; [unrolled: 1-line block ×3, first 2 shown]
	s_delay_alu instid0(VALU_DEP_3) | instskip(NEXT) | instid1(VALU_DEP_1)
	v_cmp_lt_u32_e64 s31, 0x7bff, v6
	s_or_b32 s36, s31, s36
	s_waitcnt lgkmcnt(0)
	v_add_nc_u32_e32 v8, v2, v8
	s_and_not1_b32 exec_lo, exec_lo, s36
	s_cbranch_execz .LBB56_118
.LBB56_52:                              ; =>This Inner Loop Header: Depth=1
	ds_load_b32 v10, v5
	ds_load_2addr_b32 v[2:3], v7 offset1:1
	s_waitcnt lgkmcnt(0)
	s_barrier
	buffer_gl0_inv
	v_cmp_gt_i32_e64 s31, s33, v10
	s_delay_alu instid0(VALU_DEP_1) | instskip(NEXT) | instid1(SALU_CYCLE_1)
	s_bcnt1_i32_b32 s73, s31
	v_dual_mov_b32 v12, s73 :: v_dual_and_b32 v11, s31, v1
	s_delay_alu instid0(VALU_DEP_1)
	v_bcnt_u32_b32 v11, v11, 0
	ds_store_b32 v4, v12
	s_waitcnt lgkmcnt(0)
	s_barrier
	buffer_gl0_inv
	s_and_saveexec_b32 s73, s0
	s_cbranch_execnz .LBB56_85
; %bb.53:                               ;   in Loop: Header=BB56_52 Depth=1
	s_or_b32 exec_lo, exec_lo, s73
	s_and_saveexec_b32 s73, s1
	s_cbranch_execnz .LBB56_86
.LBB56_54:                              ;   in Loop: Header=BB56_52 Depth=1
	s_or_b32 exec_lo, exec_lo, s73
	s_and_saveexec_b32 s73, s2
	s_cbranch_execnz .LBB56_87
.LBB56_55:                              ;   in Loop: Header=BB56_52 Depth=1
	s_or_b32 exec_lo, exec_lo, s73
	s_and_saveexec_b32 s73, s3
	s_cbranch_execnz .LBB56_88
.LBB56_56:                              ;   in Loop: Header=BB56_52 Depth=1
	s_or_b32 exec_lo, exec_lo, s73
	s_and_saveexec_b32 s73, s4
	s_cbranch_execnz .LBB56_89
.LBB56_57:                              ;   in Loop: Header=BB56_52 Depth=1
	s_or_b32 exec_lo, exec_lo, s73
	s_and_saveexec_b32 s73, s5
	s_cbranch_execnz .LBB56_90
.LBB56_58:                              ;   in Loop: Header=BB56_52 Depth=1
	s_or_b32 exec_lo, exec_lo, s73
	s_and_saveexec_b32 s73, s6
	s_cbranch_execnz .LBB56_91
.LBB56_59:                              ;   in Loop: Header=BB56_52 Depth=1
	s_or_b32 exec_lo, exec_lo, s73
	s_and_saveexec_b32 s73, s7
	s_cbranch_execnz .LBB56_92
.LBB56_60:                              ;   in Loop: Header=BB56_52 Depth=1
	s_or_b32 exec_lo, exec_lo, s73
	s_and_saveexec_b32 s73, s8
	s_cbranch_execnz .LBB56_93
.LBB56_61:                              ;   in Loop: Header=BB56_52 Depth=1
	s_or_b32 exec_lo, exec_lo, s73
	s_and_saveexec_b32 s73, s9
	s_cbranch_execnz .LBB56_94
.LBB56_62:                              ;   in Loop: Header=BB56_52 Depth=1
	s_or_b32 exec_lo, exec_lo, s73
	s_and_saveexec_b32 s73, s10
	s_cbranch_execnz .LBB56_95
.LBB56_63:                              ;   in Loop: Header=BB56_52 Depth=1
	s_or_b32 exec_lo, exec_lo, s73
	s_and_saveexec_b32 s73, s11
	s_cbranch_execnz .LBB56_96
.LBB56_64:                              ;   in Loop: Header=BB56_52 Depth=1
	s_or_b32 exec_lo, exec_lo, s73
	s_and_saveexec_b32 s73, s12
	s_cbranch_execnz .LBB56_97
.LBB56_65:                              ;   in Loop: Header=BB56_52 Depth=1
	s_or_b32 exec_lo, exec_lo, s73
	s_and_saveexec_b32 s73, s13
	s_cbranch_execnz .LBB56_98
.LBB56_66:                              ;   in Loop: Header=BB56_52 Depth=1
	s_or_b32 exec_lo, exec_lo, s73
	s_and_saveexec_b32 s73, s14
	s_cbranch_execnz .LBB56_99
.LBB56_67:                              ;   in Loop: Header=BB56_52 Depth=1
	s_or_b32 exec_lo, exec_lo, s73
	s_and_saveexec_b32 s73, s15
	s_cbranch_execnz .LBB56_100
.LBB56_68:                              ;   in Loop: Header=BB56_52 Depth=1
	s_or_b32 exec_lo, exec_lo, s73
	s_and_saveexec_b32 s73, s16
	s_cbranch_execnz .LBB56_101
.LBB56_69:                              ;   in Loop: Header=BB56_52 Depth=1
	s_or_b32 exec_lo, exec_lo, s73
	s_and_saveexec_b32 s73, s17
	s_cbranch_execnz .LBB56_102
.LBB56_70:                              ;   in Loop: Header=BB56_52 Depth=1
	s_or_b32 exec_lo, exec_lo, s73
	s_and_saveexec_b32 s73, s18
	s_cbranch_execnz .LBB56_103
.LBB56_71:                              ;   in Loop: Header=BB56_52 Depth=1
	s_or_b32 exec_lo, exec_lo, s73
	s_and_saveexec_b32 s73, s19
	s_cbranch_execnz .LBB56_104
.LBB56_72:                              ;   in Loop: Header=BB56_52 Depth=1
	s_or_b32 exec_lo, exec_lo, s73
	s_and_saveexec_b32 s73, s20
	s_cbranch_execnz .LBB56_105
.LBB56_73:                              ;   in Loop: Header=BB56_52 Depth=1
	s_or_b32 exec_lo, exec_lo, s73
	s_and_saveexec_b32 s73, s21
	s_cbranch_execnz .LBB56_106
.LBB56_74:                              ;   in Loop: Header=BB56_52 Depth=1
	s_or_b32 exec_lo, exec_lo, s73
	s_and_saveexec_b32 s73, s22
	s_cbranch_execnz .LBB56_107
.LBB56_75:                              ;   in Loop: Header=BB56_52 Depth=1
	s_or_b32 exec_lo, exec_lo, s73
	s_and_saveexec_b32 s73, s23
	s_cbranch_execnz .LBB56_108
.LBB56_76:                              ;   in Loop: Header=BB56_52 Depth=1
	s_or_b32 exec_lo, exec_lo, s73
	s_and_saveexec_b32 s73, s24
	s_cbranch_execnz .LBB56_109
.LBB56_77:                              ;   in Loop: Header=BB56_52 Depth=1
	s_or_b32 exec_lo, exec_lo, s73
	s_and_saveexec_b32 s73, s25
	s_cbranch_execnz .LBB56_110
.LBB56_78:                              ;   in Loop: Header=BB56_52 Depth=1
	s_or_b32 exec_lo, exec_lo, s73
	s_and_saveexec_b32 s73, s26
	s_cbranch_execnz .LBB56_111
.LBB56_79:                              ;   in Loop: Header=BB56_52 Depth=1
	s_or_b32 exec_lo, exec_lo, s73
	s_and_saveexec_b32 s73, s27
	s_cbranch_execnz .LBB56_112
.LBB56_80:                              ;   in Loop: Header=BB56_52 Depth=1
	s_or_b32 exec_lo, exec_lo, s73
	s_and_saveexec_b32 s73, s28
	s_cbranch_execnz .LBB56_113
.LBB56_81:                              ;   in Loop: Header=BB56_52 Depth=1
	s_or_b32 exec_lo, exec_lo, s73
	s_and_saveexec_b32 s73, s29
	s_cbranch_execnz .LBB56_114
.LBB56_82:                              ;   in Loop: Header=BB56_52 Depth=1
	s_or_b32 exec_lo, exec_lo, s73
	s_and_saveexec_b32 s73, s30
	s_cbranch_execnz .LBB56_115
.LBB56_83:                              ;   in Loop: Header=BB56_52 Depth=1
	s_or_b32 exec_lo, exec_lo, s73
	s_and_saveexec_b32 s73, s31
	s_cbranch_execnz .LBB56_116
.LBB56_84:                              ;   in Loop: Header=BB56_52 Depth=1
	s_or_b32 exec_lo, exec_lo, s73
	s_and_saveexec_b32 s31, vcc_lo
	s_cbranch_execz .LBB56_51
	s_branch .LBB56_117
.LBB56_85:                              ;   in Loop: Header=BB56_52 Depth=1
	v_mov_b32_e32 v12, s37
	ds_load_b32 v12, v12
	s_waitcnt lgkmcnt(0)
	v_add_nc_u32_e32 v11, v12, v11
	s_or_b32 exec_lo, exec_lo, s73
	s_and_saveexec_b32 s73, s1
	s_cbranch_execz .LBB56_54
.LBB56_86:                              ;   in Loop: Header=BB56_52 Depth=1
	v_mov_b32_e32 v12, s39
	ds_load_b32 v12, v12
	s_waitcnt lgkmcnt(0)
	v_add_nc_u32_e32 v11, v12, v11
	s_or_b32 exec_lo, exec_lo, s73
	s_and_saveexec_b32 s73, s2
	s_cbranch_execz .LBB56_55
.LBB56_87:                              ;   in Loop: Header=BB56_52 Depth=1
	v_mov_b32_e32 v12, s43
	ds_load_b32 v12, v12
	s_waitcnt lgkmcnt(0)
	v_add_nc_u32_e32 v11, v12, v11
	s_or_b32 exec_lo, exec_lo, s73
	s_and_saveexec_b32 s73, s3
	s_cbranch_execz .LBB56_56
.LBB56_88:                              ;   in Loop: Header=BB56_52 Depth=1
	v_mov_b32_e32 v12, s44
	ds_load_b32 v12, v12
	s_waitcnt lgkmcnt(0)
	v_add_nc_u32_e32 v11, v12, v11
	s_or_b32 exec_lo, exec_lo, s73
	s_and_saveexec_b32 s73, s4
	s_cbranch_execz .LBB56_57
.LBB56_89:                              ;   in Loop: Header=BB56_52 Depth=1
	v_mov_b32_e32 v12, s45
	ds_load_b32 v12, v12
	s_waitcnt lgkmcnt(0)
	v_add_nc_u32_e32 v11, v12, v11
	s_or_b32 exec_lo, exec_lo, s73
	s_and_saveexec_b32 s73, s5
	s_cbranch_execz .LBB56_58
.LBB56_90:                              ;   in Loop: Header=BB56_52 Depth=1
	v_mov_b32_e32 v12, s46
	ds_load_b32 v12, v12
	s_waitcnt lgkmcnt(0)
	v_add_nc_u32_e32 v11, v12, v11
	s_or_b32 exec_lo, exec_lo, s73
	s_and_saveexec_b32 s73, s6
	s_cbranch_execz .LBB56_59
.LBB56_91:                              ;   in Loop: Header=BB56_52 Depth=1
	v_mov_b32_e32 v12, s47
	ds_load_b32 v12, v12
	s_waitcnt lgkmcnt(0)
	v_add_nc_u32_e32 v11, v12, v11
	s_or_b32 exec_lo, exec_lo, s73
	s_and_saveexec_b32 s73, s7
	s_cbranch_execz .LBB56_60
.LBB56_92:                              ;   in Loop: Header=BB56_52 Depth=1
	v_mov_b32_e32 v12, s48
	ds_load_b32 v12, v12
	s_waitcnt lgkmcnt(0)
	v_add_nc_u32_e32 v11, v12, v11
	s_or_b32 exec_lo, exec_lo, s73
	s_and_saveexec_b32 s73, s8
	s_cbranch_execz .LBB56_61
.LBB56_93:                              ;   in Loop: Header=BB56_52 Depth=1
	v_mov_b32_e32 v12, s49
	ds_load_b32 v12, v12
	s_waitcnt lgkmcnt(0)
	v_add_nc_u32_e32 v11, v12, v11
	s_or_b32 exec_lo, exec_lo, s73
	s_and_saveexec_b32 s73, s9
	s_cbranch_execz .LBB56_62
.LBB56_94:                              ;   in Loop: Header=BB56_52 Depth=1
	v_mov_b32_e32 v12, s50
	ds_load_b32 v12, v12
	s_waitcnt lgkmcnt(0)
	v_add_nc_u32_e32 v11, v12, v11
	s_or_b32 exec_lo, exec_lo, s73
	s_and_saveexec_b32 s73, s10
	s_cbranch_execz .LBB56_63
.LBB56_95:                              ;   in Loop: Header=BB56_52 Depth=1
	v_mov_b32_e32 v12, s51
	ds_load_b32 v12, v12
	s_waitcnt lgkmcnt(0)
	v_add_nc_u32_e32 v11, v12, v11
	s_or_b32 exec_lo, exec_lo, s73
	s_and_saveexec_b32 s73, s11
	s_cbranch_execz .LBB56_64
.LBB56_96:                              ;   in Loop: Header=BB56_52 Depth=1
	v_mov_b32_e32 v12, s52
	ds_load_b32 v12, v12
	s_waitcnt lgkmcnt(0)
	v_add_nc_u32_e32 v11, v12, v11
	s_or_b32 exec_lo, exec_lo, s73
	s_and_saveexec_b32 s73, s12
	s_cbranch_execz .LBB56_65
.LBB56_97:                              ;   in Loop: Header=BB56_52 Depth=1
	v_mov_b32_e32 v12, s53
	ds_load_b32 v12, v12
	s_waitcnt lgkmcnt(0)
	v_add_nc_u32_e32 v11, v12, v11
	s_or_b32 exec_lo, exec_lo, s73
	s_and_saveexec_b32 s73, s13
	s_cbranch_execz .LBB56_66
.LBB56_98:                              ;   in Loop: Header=BB56_52 Depth=1
	v_mov_b32_e32 v12, s54
	ds_load_b32 v12, v12
	s_waitcnt lgkmcnt(0)
	v_add_nc_u32_e32 v11, v12, v11
	s_or_b32 exec_lo, exec_lo, s73
	s_and_saveexec_b32 s73, s14
	s_cbranch_execz .LBB56_67
.LBB56_99:                              ;   in Loop: Header=BB56_52 Depth=1
	v_mov_b32_e32 v12, s55
	ds_load_b32 v12, v12
	s_waitcnt lgkmcnt(0)
	v_add_nc_u32_e32 v11, v12, v11
	s_or_b32 exec_lo, exec_lo, s73
	s_and_saveexec_b32 s73, s15
	s_cbranch_execz .LBB56_68
.LBB56_100:                             ;   in Loop: Header=BB56_52 Depth=1
	v_mov_b32_e32 v12, s56
	ds_load_b32 v12, v12
	s_waitcnt lgkmcnt(0)
	v_add_nc_u32_e32 v11, v12, v11
	s_or_b32 exec_lo, exec_lo, s73
	s_and_saveexec_b32 s73, s16
	s_cbranch_execz .LBB56_69
.LBB56_101:                             ;   in Loop: Header=BB56_52 Depth=1
	v_mov_b32_e32 v12, s57
	ds_load_b32 v12, v12
	s_waitcnt lgkmcnt(0)
	v_add_nc_u32_e32 v11, v12, v11
	s_or_b32 exec_lo, exec_lo, s73
	s_and_saveexec_b32 s73, s17
	s_cbranch_execz .LBB56_70
.LBB56_102:                             ;   in Loop: Header=BB56_52 Depth=1
	v_mov_b32_e32 v12, s58
	ds_load_b32 v12, v12
	s_waitcnt lgkmcnt(0)
	v_add_nc_u32_e32 v11, v12, v11
	s_or_b32 exec_lo, exec_lo, s73
	s_and_saveexec_b32 s73, s18
	s_cbranch_execz .LBB56_71
.LBB56_103:                             ;   in Loop: Header=BB56_52 Depth=1
	v_mov_b32_e32 v12, s59
	ds_load_b32 v12, v12
	s_waitcnt lgkmcnt(0)
	v_add_nc_u32_e32 v11, v12, v11
	s_or_b32 exec_lo, exec_lo, s73
	s_and_saveexec_b32 s73, s19
	s_cbranch_execz .LBB56_72
.LBB56_104:                             ;   in Loop: Header=BB56_52 Depth=1
	v_mov_b32_e32 v12, s60
	ds_load_b32 v12, v12
	s_waitcnt lgkmcnt(0)
	v_add_nc_u32_e32 v11, v12, v11
	s_or_b32 exec_lo, exec_lo, s73
	s_and_saveexec_b32 s73, s20
	s_cbranch_execz .LBB56_73
.LBB56_105:                             ;   in Loop: Header=BB56_52 Depth=1
	v_mov_b32_e32 v12, s61
	ds_load_b32 v12, v12
	s_waitcnt lgkmcnt(0)
	v_add_nc_u32_e32 v11, v12, v11
	s_or_b32 exec_lo, exec_lo, s73
	s_and_saveexec_b32 s73, s21
	s_cbranch_execz .LBB56_74
.LBB56_106:                             ;   in Loop: Header=BB56_52 Depth=1
	v_mov_b32_e32 v12, s62
	ds_load_b32 v12, v12
	s_waitcnt lgkmcnt(0)
	v_add_nc_u32_e32 v11, v12, v11
	s_or_b32 exec_lo, exec_lo, s73
	s_and_saveexec_b32 s73, s22
	s_cbranch_execz .LBB56_75
.LBB56_107:                             ;   in Loop: Header=BB56_52 Depth=1
	v_mov_b32_e32 v12, s63
	ds_load_b32 v12, v12
	s_waitcnt lgkmcnt(0)
	v_add_nc_u32_e32 v11, v12, v11
	s_or_b32 exec_lo, exec_lo, s73
	s_and_saveexec_b32 s73, s23
	s_cbranch_execz .LBB56_76
.LBB56_108:                             ;   in Loop: Header=BB56_52 Depth=1
	v_mov_b32_e32 v12, s64
	ds_load_b32 v12, v12
	s_waitcnt lgkmcnt(0)
	v_add_nc_u32_e32 v11, v12, v11
	s_or_b32 exec_lo, exec_lo, s73
	s_and_saveexec_b32 s73, s24
	s_cbranch_execz .LBB56_77
.LBB56_109:                             ;   in Loop: Header=BB56_52 Depth=1
	v_mov_b32_e32 v12, s65
	ds_load_b32 v12, v12
	s_waitcnt lgkmcnt(0)
	v_add_nc_u32_e32 v11, v12, v11
	s_or_b32 exec_lo, exec_lo, s73
	s_and_saveexec_b32 s73, s25
	s_cbranch_execz .LBB56_78
.LBB56_110:                             ;   in Loop: Header=BB56_52 Depth=1
	v_mov_b32_e32 v12, s66
	ds_load_b32 v12, v12
	s_waitcnt lgkmcnt(0)
	v_add_nc_u32_e32 v11, v12, v11
	s_or_b32 exec_lo, exec_lo, s73
	s_and_saveexec_b32 s73, s26
	s_cbranch_execz .LBB56_79
.LBB56_111:                             ;   in Loop: Header=BB56_52 Depth=1
	v_mov_b32_e32 v12, s67
	ds_load_b32 v12, v12
	s_waitcnt lgkmcnt(0)
	v_add_nc_u32_e32 v11, v12, v11
	s_or_b32 exec_lo, exec_lo, s73
	s_and_saveexec_b32 s73, s27
	s_cbranch_execz .LBB56_80
.LBB56_112:                             ;   in Loop: Header=BB56_52 Depth=1
	v_mov_b32_e32 v12, s69
	ds_load_b32 v12, v12
	s_waitcnt lgkmcnt(0)
	v_add_nc_u32_e32 v11, v12, v11
	s_or_b32 exec_lo, exec_lo, s73
	s_and_saveexec_b32 s73, s28
	s_cbranch_execz .LBB56_81
.LBB56_113:                             ;   in Loop: Header=BB56_52 Depth=1
	v_mov_b32_e32 v12, s70
	ds_load_b32 v12, v12
	s_waitcnt lgkmcnt(0)
	v_add_nc_u32_e32 v11, v12, v11
	s_or_b32 exec_lo, exec_lo, s73
	s_and_saveexec_b32 s73, s29
	s_cbranch_execz .LBB56_82
.LBB56_114:                             ;   in Loop: Header=BB56_52 Depth=1
	v_mov_b32_e32 v12, s71
	ds_load_b32 v12, v12
	s_waitcnt lgkmcnt(0)
	v_add_nc_u32_e32 v11, v12, v11
	s_or_b32 exec_lo, exec_lo, s73
	s_and_saveexec_b32 s73, s30
	s_cbranch_execz .LBB56_83
.LBB56_115:                             ;   in Loop: Header=BB56_52 Depth=1
	v_mov_b32_e32 v12, s72
	ds_load_b32 v12, v12
	s_waitcnt lgkmcnt(0)
	v_add_nc_u32_e32 v11, v12, v11
	s_or_b32 exec_lo, exec_lo, s73
	s_and_saveexec_b32 s73, s31
	s_cbranch_execz .LBB56_84
.LBB56_116:                             ;   in Loop: Header=BB56_52 Depth=1
	s_delay_alu instid0(VALU_DEP_1) | instskip(NEXT) | instid1(VALU_DEP_1)
	v_add3_u32 v12, v8, -1, v11
	v_lshlrev_b32_e32 v13, 3, v12
	v_lshl_add_u32 v12, v12, 2, 0
	s_delay_alu instid0(VALU_DEP_2)
	v_add3_u32 v13, 0, v13, 0x20000
	ds_store_b32 v12, v10
	ds_store_2addr_b32 v13, v2, v3 offset1:1
	s_or_b32 exec_lo, exec_lo, s73
	s_and_saveexec_b32 s31, vcc_lo
	s_cbranch_execz .LBB56_51
.LBB56_117:                             ;   in Loop: Header=BB56_52 Depth=1
	v_mov_b32_e32 v2, s68
	ds_store_b32 v2, v11
	s_branch .LBB56_51
.LBB56_118:
	s_or_b32 exec_lo, exec_lo, s36
	s_ashr_i32 s43, s42, 31
	s_mov_b32 s3, exec_lo
	s_lshl_b64 s[0:1], s[42:43], 2
	s_delay_alu instid0(SALU_CYCLE_1) | instskip(SKIP_4) | instid1(SALU_CYCLE_1)
	s_add_u32 s0, s40, s0
	s_addc_u32 s1, s41, s1
	s_load_b64 s[0:1], s[0:1], 0x0
	s_waitcnt lgkmcnt(0)
	s_sub_i32 s2, s1, s0
	v_cmpx_gt_i32_e64 s2, v0
	s_cbranch_execz .LBB56_128
; %bb.119:
	s_sub_i32 s3, s0, s38
	s_sub_i32 s0, s0, s1
	s_and_b32 s1, s2, 7
	s_cmp_lt_u32 s0, -7
	s_mov_b32 s7, 0
	s_cselect_b32 s4, -1, 0
	s_and_b32 s5, s2, -8
	s_cmp_lg_u32 s1, 0
	s_cselect_b32 s6, -1, 0
	s_branch .LBB56_121
.LBB56_120:                             ;   in Loop: Header=BB56_121 Depth=1
	s_waitcnt lgkmcnt(1)
	s_delay_alu instid0(VALU_DEP_1) | instskip(SKIP_1) | instid1(VALU_DEP_2)
	v_ashrrev_i32_e32 v4, 31, v3
	v_add_nc_u32_e32 v0, 0x400, v0
	v_lshlrev_b64 v[3:4], 3, v[3:4]
	s_delay_alu instid0(VALU_DEP_2) | instskip(SKIP_1) | instid1(VALU_DEP_2)
	v_cmp_le_i32_e32 vcc_lo, s2, v0
	s_or_b32 s7, vcc_lo, s7
	v_add_co_u32 v3, s0, s34, v3
	s_delay_alu instid0(VALU_DEP_1)
	v_add_co_ci_u32_e64 v4, s0, s35, v4, s0
	s_waitcnt lgkmcnt(0)
	global_store_b64 v[3:4], v[1:2], off
	s_and_not1_b32 exec_lo, exec_lo, s7
	s_cbranch_execz .LBB56_128
.LBB56_121:                             ; =>This Loop Header: Depth=1
                                        ;     Child Loop BB56_123 Depth 2
                                        ;     Child Loop BB56_127 Depth 2
	v_lshlrev_b32_e32 v1, 3, v0
	v_lshl_add_u32 v2, v0, 2, 0
	v_mov_b32_e32 v3, s3
	s_and_not1_b32 vcc_lo, exec_lo, s4
	s_mov_b32 s0, 0
	v_add3_u32 v1, 0, v1, 0x20000
	ds_load_b32 v4, v2
	ds_load_2addr_b32 v[1:2], v1 offset1:1
	s_cbranch_vccnz .LBB56_125
; %bb.122:                              ;   in Loop: Header=BB56_121 Depth=1
	v_mov_b32_e32 v3, s3
	s_mov_b32 s8, 0
	s_set_inst_prefetch_distance 0x1
	.p2align	6
.LBB56_123:                             ;   Parent Loop BB56_121 Depth=1
                                        ; =>  This Inner Loop Header: Depth=2
	v_mov_b32_e32 v11, s8
	s_add_i32 s0, s0, 8
	s_add_i32 s8, s8, 32
	s_cmp_eq_u32 s5, s0
	ds_load_2addr_b32 v[5:6], v11 offset1:1
	ds_load_2addr_b32 v[7:8], v11 offset0:2 offset1:3
	ds_load_2addr_b32 v[9:10], v11 offset0:4 offset1:5
	;; [unrolled: 1-line block ×3, first 2 shown]
	s_waitcnt lgkmcnt(3)
	v_cmp_gt_i32_e32 vcc_lo, v4, v5
	v_cndmask_b32_e64 v5, 0, 1, vcc_lo
	s_waitcnt lgkmcnt(2)
	v_cmp_gt_i32_e32 vcc_lo, v4, v7
	v_cndmask_b32_e64 v7, 0, 1, vcc_lo
	v_cmp_gt_i32_e32 vcc_lo, v4, v6
	v_add_co_ci_u32_e32 v3, vcc_lo, v3, v5, vcc_lo
	s_waitcnt lgkmcnt(1)
	v_cmp_gt_i32_e32 vcc_lo, v4, v9
	v_cndmask_b32_e64 v5, 0, 1, vcc_lo
	v_cmp_gt_i32_e32 vcc_lo, v4, v8
	v_add_co_ci_u32_e32 v3, vcc_lo, v3, v7, vcc_lo
	;; [unrolled: 5-line block ×3, first 2 shown]
	v_cmp_gt_i32_e32 vcc_lo, v4, v12
	s_delay_alu instid0(VALU_DEP_2)
	v_add_co_ci_u32_e32 v3, vcc_lo, v3, v6, vcc_lo
	s_cbranch_scc0 .LBB56_123
; %bb.124:                              ;   in Loop: Header=BB56_121 Depth=1
	s_set_inst_prefetch_distance 0x2
	s_mov_b32 s0, s5
.LBB56_125:                             ;   in Loop: Header=BB56_121 Depth=1
	s_and_not1_b32 vcc_lo, exec_lo, s6
	s_cbranch_vccnz .LBB56_120
; %bb.126:                              ;   in Loop: Header=BB56_121 Depth=1
	s_lshl_b32 s0, s0, 2
	s_mov_b32 s8, s1
	s_add_i32 s0, s0, 0
.LBB56_127:                             ;   Parent Loop BB56_121 Depth=1
                                        ; =>  This Inner Loop Header: Depth=2
	s_delay_alu instid0(SALU_CYCLE_1)
	v_mov_b32_e32 v5, s0
	s_add_i32 s8, s8, -1
	s_add_i32 s0, s0, 4
	s_cmp_lg_u32 s8, 0
	ds_load_b32 v5, v5
	s_waitcnt lgkmcnt(0)
	v_cmp_gt_i32_e32 vcc_lo, v4, v5
	v_add_co_ci_u32_e32 v3, vcc_lo, 0, v3, vcc_lo
	s_cbranch_scc1 .LBB56_127
	s_branch .LBB56_120
.LBB56_128:
	s_nop 0
	s_sendmsg sendmsg(MSG_DEALLOC_VGPRS)
	s_endpgm
	.section	.rodata,"a",@progbits
	.p2align	6, 0x0
	.amdhsa_kernel _ZN9rocsparseL41csrgemm_numeric_fill_block_per_row_kernelILj1024ELj64ELj32768ELj137ELj32Eii21rocsparse_complex_numIfEEEvT5_PKS3_S5_NS_24const_host_device_scalarIT6_EEPKT4_S5_PKS7_SB_S5_SD_S8_SB_S5_SD_SB_S5_PS7_21rocsparse_index_base_SF_SF_SF_bbb
		.amdhsa_group_segment_fixed_size 0
		.amdhsa_private_segment_fixed_size 0
		.amdhsa_kernarg_size 156
		.amdhsa_user_sgpr_count 15
		.amdhsa_user_sgpr_dispatch_ptr 0
		.amdhsa_user_sgpr_queue_ptr 0
		.amdhsa_user_sgpr_kernarg_segment_ptr 1
		.amdhsa_user_sgpr_dispatch_id 0
		.amdhsa_user_sgpr_private_segment_size 0
		.amdhsa_wavefront_size32 1
		.amdhsa_uses_dynamic_stack 0
		.amdhsa_enable_private_segment 0
		.amdhsa_system_sgpr_workgroup_id_x 1
		.amdhsa_system_sgpr_workgroup_id_y 0
		.amdhsa_system_sgpr_workgroup_id_z 0
		.amdhsa_system_sgpr_workgroup_info 0
		.amdhsa_system_vgpr_workitem_id 0
		.amdhsa_next_free_vgpr 16
		.amdhsa_next_free_sgpr 74
		.amdhsa_reserve_vcc 1
		.amdhsa_float_round_mode_32 0
		.amdhsa_float_round_mode_16_64 0
		.amdhsa_float_denorm_mode_32 3
		.amdhsa_float_denorm_mode_16_64 3
		.amdhsa_dx10_clamp 1
		.amdhsa_ieee_mode 1
		.amdhsa_fp16_overflow 0
		.amdhsa_workgroup_processor_mode 1
		.amdhsa_memory_ordered 1
		.amdhsa_forward_progress 0
		.amdhsa_shared_vgpr_count 0
		.amdhsa_exception_fp_ieee_invalid_op 0
		.amdhsa_exception_fp_denorm_src 0
		.amdhsa_exception_fp_ieee_div_zero 0
		.amdhsa_exception_fp_ieee_overflow 0
		.amdhsa_exception_fp_ieee_underflow 0
		.amdhsa_exception_fp_ieee_inexact 0
		.amdhsa_exception_int_div_zero 0
	.end_amdhsa_kernel
	.section	.text._ZN9rocsparseL41csrgemm_numeric_fill_block_per_row_kernelILj1024ELj64ELj32768ELj137ELj32Eii21rocsparse_complex_numIfEEEvT5_PKS3_S5_NS_24const_host_device_scalarIT6_EEPKT4_S5_PKS7_SB_S5_SD_S8_SB_S5_SD_SB_S5_PS7_21rocsparse_index_base_SF_SF_SF_bbb,"axG",@progbits,_ZN9rocsparseL41csrgemm_numeric_fill_block_per_row_kernelILj1024ELj64ELj32768ELj137ELj32Eii21rocsparse_complex_numIfEEEvT5_PKS3_S5_NS_24const_host_device_scalarIT6_EEPKT4_S5_PKS7_SB_S5_SD_S8_SB_S5_SD_SB_S5_PS7_21rocsparse_index_base_SF_SF_SF_bbb,comdat
.Lfunc_end56:
	.size	_ZN9rocsparseL41csrgemm_numeric_fill_block_per_row_kernelILj1024ELj64ELj32768ELj137ELj32Eii21rocsparse_complex_numIfEEEvT5_PKS3_S5_NS_24const_host_device_scalarIT6_EEPKT4_S5_PKS7_SB_S5_SD_S8_SB_S5_SD_SB_S5_PS7_21rocsparse_index_base_SF_SF_SF_bbb, .Lfunc_end56-_ZN9rocsparseL41csrgemm_numeric_fill_block_per_row_kernelILj1024ELj64ELj32768ELj137ELj32Eii21rocsparse_complex_numIfEEEvT5_PKS3_S5_NS_24const_host_device_scalarIT6_EEPKT4_S5_PKS7_SB_S5_SD_S8_SB_S5_SD_SB_S5_PS7_21rocsparse_index_base_SF_SF_SF_bbb
                                        ; -- End function
	.section	.AMDGPU.csdata,"",@progbits
; Kernel info:
; codeLenInByte = 4608
; NumSgprs: 76
; NumVgprs: 16
; ScratchSize: 0
; MemoryBound: 0
; FloatMode: 240
; IeeeMode: 1
; LDSByteSize: 0 bytes/workgroup (compile time only)
; SGPRBlocks: 9
; VGPRBlocks: 1
; NumSGPRsForWavesPerEU: 76
; NumVGPRsForWavesPerEU: 16
; Occupancy: 16
; WaveLimiterHint : 1
; COMPUTE_PGM_RSRC2:SCRATCH_EN: 0
; COMPUTE_PGM_RSRC2:USER_SGPR: 15
; COMPUTE_PGM_RSRC2:TRAP_HANDLER: 0
; COMPUTE_PGM_RSRC2:TGID_X_EN: 1
; COMPUTE_PGM_RSRC2:TGID_Y_EN: 0
; COMPUTE_PGM_RSRC2:TGID_Z_EN: 0
; COMPUTE_PGM_RSRC2:TIDIG_COMP_CNT: 0
	.section	.text._ZN9rocsparseL41csrgemm_numeric_fill_block_per_row_kernelILj1024ELj64ELj32768ELj137ELj64Eii21rocsparse_complex_numIfEEEvT5_PKS3_S5_NS_24const_host_device_scalarIT6_EEPKT4_S5_PKS7_SB_S5_SD_S8_SB_S5_SD_SB_S5_PS7_21rocsparse_index_base_SF_SF_SF_bbb,"axG",@progbits,_ZN9rocsparseL41csrgemm_numeric_fill_block_per_row_kernelILj1024ELj64ELj32768ELj137ELj64Eii21rocsparse_complex_numIfEEEvT5_PKS3_S5_NS_24const_host_device_scalarIT6_EEPKT4_S5_PKS7_SB_S5_SD_S8_SB_S5_SD_SB_S5_PS7_21rocsparse_index_base_SF_SF_SF_bbb,comdat
	.globl	_ZN9rocsparseL41csrgemm_numeric_fill_block_per_row_kernelILj1024ELj64ELj32768ELj137ELj64Eii21rocsparse_complex_numIfEEEvT5_PKS3_S5_NS_24const_host_device_scalarIT6_EEPKT4_S5_PKS7_SB_S5_SD_S8_SB_S5_SD_SB_S5_PS7_21rocsparse_index_base_SF_SF_SF_bbb ; -- Begin function _ZN9rocsparseL41csrgemm_numeric_fill_block_per_row_kernelILj1024ELj64ELj32768ELj137ELj64Eii21rocsparse_complex_numIfEEEvT5_PKS3_S5_NS_24const_host_device_scalarIT6_EEPKT4_S5_PKS7_SB_S5_SD_S8_SB_S5_SD_SB_S5_PS7_21rocsparse_index_base_SF_SF_SF_bbb
	.p2align	8
	.type	_ZN9rocsparseL41csrgemm_numeric_fill_block_per_row_kernelILj1024ELj64ELj32768ELj137ELj64Eii21rocsparse_complex_numIfEEEvT5_PKS3_S5_NS_24const_host_device_scalarIT6_EEPKT4_S5_PKS7_SB_S5_SD_S8_SB_S5_SD_SB_S5_PS7_21rocsparse_index_base_SF_SF_SF_bbb,@function
_ZN9rocsparseL41csrgemm_numeric_fill_block_per_row_kernelILj1024ELj64ELj32768ELj137ELj64Eii21rocsparse_complex_numIfEEEvT5_PKS3_S5_NS_24const_host_device_scalarIT6_EEPKT4_S5_PKS7_SB_S5_SD_S8_SB_S5_SD_SB_S5_PS7_21rocsparse_index_base_SF_SF_SF_bbb: ; @_ZN9rocsparseL41csrgemm_numeric_fill_block_per_row_kernelILj1024ELj64ELj32768ELj137ELj64Eii21rocsparse_complex_numIfEEEvT5_PKS3_S5_NS_24const_host_device_scalarIT6_EEPKT4_S5_PKS7_SB_S5_SD_S8_SB_S5_SD_SB_S5_PS7_21rocsparse_index_base_SF_SF_SF_bbb
; %bb.0:
	s_clause 0x7
	s_load_b32 s12, s[0:1], 0x98
	s_load_b64 s[40:41], s[0:1], 0x70
	s_load_b128 s[28:31], s[0:1], 0x60
	s_load_b256 s[4:11], s[0:1], 0x40
	s_load_b128 s[36:39], s[0:1], 0x8
	s_load_b256 s[16:23], s[0:1], 0x20
	s_load_b64 s[34:35], s[0:1], 0x80
	s_load_b128 s[24:27], s[0:1], 0x88
	s_mov_b32 s3, 0
	s_mov_b32 s13, 0
	s_waitcnt lgkmcnt(0)
	s_bitcmp1_b32 s12, 0
	s_cselect_b32 s42, -1, 0
	s_bitcmp1_b32 s12, 16
	s_cselect_b32 s2, -1, 0
	s_delay_alu instid0(SALU_CYCLE_1) | instskip(SKIP_2) | instid1(VALU_DEP_1)
	s_xor_b32 s14, s2, -1
	s_bitcmp0_b32 s12, 0
	v_cndmask_b32_e64 v1, 0, 1, s14
	v_cmp_ne_u32_e32 vcc_lo, 1, v1
	s_cbranch_scc1 .LBB57_5
; %bb.1:
	s_load_b64 s[2:3], s[0:1], 0x18
	s_and_b32 vcc_lo, exec_lo, vcc_lo
	s_waitcnt lgkmcnt(0)
	s_mov_b32 s13, s2
	s_cbranch_vccnz .LBB57_3
; %bb.2:
	s_load_b32 s13, s[2:3], 0x0
.LBB57_3:
	s_and_not1_b32 vcc_lo, exec_lo, s14
	s_cbranch_vccnz .LBB57_5
; %bb.4:
	s_load_b32 s3, s[2:3], 0x4
.LBB57_5:
	s_bitcmp1_b32 s12, 8
	s_cselect_b32 s14, -1, 0
	s_bfe_u32 s2, s12, 0x10008
	s_mov_b32 s12, 0
	s_cmp_eq_u32 s2, 0
	s_mov_b32 s2, 0
	s_cbranch_scc1 .LBB57_11
; %bb.6:
	v_cmp_ne_u32_e32 vcc_lo, 1, v1
	s_mov_b32 s2, s8
	s_cbranch_vccnz .LBB57_8
; %bb.7:
	s_load_b32 s2, s[8:9], 0x0
.LBB57_8:
	v_cmp_ne_u32_e32 vcc_lo, 1, v1
	s_cbranch_vccnz .LBB57_10
; %bb.9:
	s_load_b32 s9, s[8:9], 0x4
.LBB57_10:
	s_waitcnt lgkmcnt(0)
	s_mov_b32 s12, s9
.LBB57_11:
	s_load_b32 s33, s[0:1], 0x0
	v_lshlrev_b32_e32 v7, 3, v0
	v_lshl_add_u32 v5, v0, 2, 0
	v_or_b32_e32 v6, 0xfffffc00, v0
	v_mov_b32_e32 v1, 0
	s_mov_b32 s0, 0
	s_delay_alu instid0(VALU_DEP_2)
	v_dual_mov_b32 v3, v5 :: v_dual_mov_b32 v8, v6
	s_waitcnt lgkmcnt(0)
	v_mov_b32_e32 v4, s33
	v_add3_u32 v2, v7, 0, 0x20004
.LBB57_12:                              ; =>This Inner Loop Header: Depth=1
	s_delay_alu instid0(VALU_DEP_3)
	v_add_nc_u32_e32 v8, 0x400, v8
	ds_store_b32 v3, v4
	v_add_nc_u32_e32 v9, -4, v2
	v_add_nc_u32_e32 v2, 0x2000, v2
	v_add_nc_u32_e32 v3, 0x1000, v3
	v_cmp_lt_u32_e32 vcc_lo, 0x7bff, v8
	ds_store_2addr_b32 v9, v1, v1 offset1:1
	s_or_b32 s0, vcc_lo, s0
	s_delay_alu instid0(SALU_CYCLE_1)
	s_and_not1_b32 exec_lo, exec_lo, s0
	s_cbranch_execnz .LBB57_12
; %bb.13:
	s_or_b32 exec_lo, exec_lo, s0
	s_waitcnt lgkmcnt(0)
	s_barrier
	buffer_gl0_inv
	s_load_b32 s0, s[36:37], 0x0
	s_mov_b32 s1, 0
	v_lshrrev_b32_e32 v8, 6, v0
	s_waitcnt lgkmcnt(0)
	s_add_i32 s0, s0, s15
	s_delay_alu instid0(SALU_CYCLE_1) | instskip(NEXT) | instid1(SALU_CYCLE_1)
	s_lshl_b64 s[0:1], s[0:1], 2
	s_add_u32 s0, s38, s0
	s_addc_u32 s1, s39, s1
	s_and_b32 vcc_lo, exec_lo, s42
	s_load_b32 s36, s[0:1], 0x0
	s_cbranch_vccz .LBB57_33
; %bb.14:
	s_waitcnt lgkmcnt(0)
	s_ashr_i32 s37, s36, 31
	v_subrev_nc_u32_e32 v1, s24, v8
	s_lshl_b64 s[0:1], s[36:37], 2
	s_delay_alu instid0(SALU_CYCLE_1)
	s_add_u32 s0, s16, s0
	s_addc_u32 s1, s17, s1
	s_load_b64 s[0:1], s[0:1], 0x0
	s_waitcnt lgkmcnt(0)
	v_add_nc_u32_e32 v1, s0, v1
	s_sub_i32 s0, s1, s24
	s_mov_b32 s1, exec_lo
	s_delay_alu instid0(VALU_DEP_1)
	v_cmpx_gt_i32_e64 s0, v1
	s_cbranch_execz .LBB57_32
; %bb.15:
	v_and_b32_e32 v2, 63, v0
	s_mov_b32 s8, 0
	s_delay_alu instid0(VALU_DEP_1)
	v_subrev_nc_u32_e32 v9, s25, v2
	s_branch .LBB57_17
.LBB57_16:                              ;   in Loop: Header=BB57_17 Depth=1
	s_or_b32 exec_lo, exec_lo, s9
	v_add_nc_u32_e32 v1, 16, v1
	s_delay_alu instid0(VALU_DEP_1) | instskip(SKIP_1) | instid1(SALU_CYCLE_1)
	v_cmp_le_i32_e32 vcc_lo, s0, v1
	s_or_b32 s8, vcc_lo, s8
	s_and_not1_b32 exec_lo, exec_lo, s8
	s_cbranch_execz .LBB57_32
.LBB57_17:                              ; =>This Loop Header: Depth=1
                                        ;     Child Loop BB57_20 Depth 2
                                        ;       Child Loop BB57_22 Depth 3
	v_ashrrev_i32_e32 v2, 31, v1
	s_mov_b32 s9, exec_lo
	s_delay_alu instid0(VALU_DEP_1) | instskip(NEXT) | instid1(VALU_DEP_1)
	v_lshlrev_b64 v[3:4], 2, v[1:2]
	v_add_co_u32 v3, vcc_lo, s18, v3
	s_delay_alu instid0(VALU_DEP_2) | instskip(SKIP_3) | instid1(VALU_DEP_1)
	v_add_co_ci_u32_e32 v4, vcc_lo, s19, v4, vcc_lo
	global_load_b32 v3, v[3:4], off
	s_waitcnt vmcnt(0)
	v_subrev_nc_u32_e32 v3, s24, v3
	v_ashrrev_i32_e32 v4, 31, v3
	s_delay_alu instid0(VALU_DEP_1) | instskip(NEXT) | instid1(VALU_DEP_1)
	v_lshlrev_b64 v[3:4], 2, v[3:4]
	v_add_co_u32 v3, vcc_lo, s22, v3
	s_delay_alu instid0(VALU_DEP_2) | instskip(SKIP_4) | instid1(VALU_DEP_1)
	v_add_co_ci_u32_e32 v4, vcc_lo, s23, v4, vcc_lo
	global_load_b64 v[3:4], v[3:4], off
	s_waitcnt vmcnt(0)
	v_subrev_nc_u32_e32 v10, s25, v4
	v_add_nc_u32_e32 v3, v3, v9
	v_cmpx_lt_i32_e64 v3, v10
	s_cbranch_execz .LBB57_16
; %bb.18:                               ;   in Loop: Header=BB57_17 Depth=1
	v_lshlrev_b64 v[11:12], 3, v[1:2]
	s_mov_b32 s15, 0
	s_delay_alu instid0(VALU_DEP_1) | instskip(NEXT) | instid1(VALU_DEP_2)
	v_add_co_u32 v11, vcc_lo, s20, v11
	v_add_co_ci_u32_e32 v12, vcc_lo, s21, v12, vcc_lo
	global_load_b64 v[12:13], v[11:12], off
	s_waitcnt vmcnt(0)
	v_mul_f32_e64 v2, v13, -s3
	s_delay_alu instid0(VALU_DEP_1) | instskip(NEXT) | instid1(VALU_DEP_1)
	v_dual_mul_f32 v11, s13, v13 :: v_dual_fmac_f32 v2, s13, v12
	v_fmac_f32_e32 v11, s3, v12
	s_branch .LBB57_20
.LBB57_19:                              ;   in Loop: Header=BB57_20 Depth=2
	s_or_b32 exec_lo, exec_lo, s16
	v_add_nc_u32_e32 v3, 64, v3
	s_delay_alu instid0(VALU_DEP_1) | instskip(SKIP_1) | instid1(SALU_CYCLE_1)
	v_cmp_ge_i32_e32 vcc_lo, v3, v10
	s_or_b32 s15, vcc_lo, s15
	s_and_not1_b32 exec_lo, exec_lo, s15
	s_cbranch_execz .LBB57_16
.LBB57_20:                              ;   Parent Loop BB57_17 Depth=1
                                        ; =>  This Loop Header: Depth=2
                                        ;       Child Loop BB57_22 Depth 3
	v_ashrrev_i32_e32 v4, 31, v3
	s_mov_b32 s16, 0
	s_delay_alu instid0(VALU_DEP_1) | instskip(SKIP_1) | instid1(VALU_DEP_2)
	v_lshlrev_b64 v[12:13], 2, v[3:4]
	v_lshlrev_b64 v[14:15], 3, v[3:4]
	v_add_co_u32 v12, vcc_lo, s4, v12
	s_delay_alu instid0(VALU_DEP_3)
	v_add_co_ci_u32_e32 v13, vcc_lo, s5, v13, vcc_lo
	global_load_b32 v4, v[12:13], off
	v_add_co_u32 v12, vcc_lo, s6, v14
	v_add_co_ci_u32_e32 v13, vcc_lo, s7, v15, vcc_lo
	global_load_b64 v[14:15], v[12:13], off
	s_waitcnt vmcnt(1)
	v_subrev_nc_u32_e32 v4, s25, v4
	s_delay_alu instid0(VALU_DEP_1) | instskip(SKIP_3) | instid1(VALU_DEP_2)
	v_mul_lo_u32 v16, 0x89, v4
	s_waitcnt vmcnt(0)
	v_mul_f32_e64 v12, v15, -v11
	v_mul_f32_e32 v13, v2, v15
	v_fmac_f32_e32 v12, v2, v14
	s_delay_alu instid0(VALU_DEP_2)
	v_dual_fmac_f32 v13, v11, v14 :: v_dual_and_b32 v14, 0x7fff, v16
	s_branch .LBB57_22
.LBB57_21:                              ;   in Loop: Header=BB57_22 Depth=3
	s_or_b32 exec_lo, exec_lo, s17
	s_xor_b32 s17, s37, -1
	s_delay_alu instid0(SALU_CYCLE_1) | instskip(NEXT) | instid1(SALU_CYCLE_1)
	s_and_b32 s17, exec_lo, s17
	s_or_b32 s16, s17, s16
	s_delay_alu instid0(SALU_CYCLE_1)
	s_and_not1_b32 exec_lo, exec_lo, s16
	s_cbranch_execz .LBB57_19
.LBB57_22:                              ;   Parent Loop BB57_17 Depth=1
                                        ;     Parent Loop BB57_20 Depth=2
                                        ; =>    This Inner Loop Header: Depth=3
	s_delay_alu instid0(VALU_DEP_1)
	v_lshl_add_u32 v15, v14, 2, 0
	s_mov_b32 s17, exec_lo
                                        ; implicit-def: $sgpr37
	ds_load_b32 v16, v15
	s_waitcnt lgkmcnt(0)
	v_cmpx_ne_u32_e64 v16, v4
	s_xor_b32 s17, exec_lo, s17
	s_cbranch_execz .LBB57_30
; %bb.23:                               ;   in Loop: Header=BB57_22 Depth=3
	s_mov_b32 s38, exec_lo
                                        ; implicit-def: $sgpr37
	v_cmpx_ne_u32_e64 s33, v16
	s_xor_b32 s38, exec_lo, s38
; %bb.24:                               ;   in Loop: Header=BB57_22 Depth=3
	v_add_nc_u32_e32 v14, 1, v14
	s_mov_b32 s37, -1
                                        ; implicit-def: $vgpr15
	s_delay_alu instid0(VALU_DEP_1)
	v_and_b32_e32 v14, 0x7fff, v14
; %bb.25:                               ;   in Loop: Header=BB57_22 Depth=3
	s_and_not1_saveexec_b32 s38, s38
	s_cbranch_execz .LBB57_29
; %bb.26:                               ;   in Loop: Header=BB57_22 Depth=3
	v_mov_b32_e32 v16, s33
	s_mov_b32 s42, -1
	s_mov_b32 s39, exec_lo
	ds_cmpstore_rtn_b32 v15, v15, v4, v16
	s_waitcnt lgkmcnt(0)
	v_cmpx_eq_u32_e64 s33, v15
	s_cbranch_execz .LBB57_28
; %bb.27:                               ;   in Loop: Header=BB57_22 Depth=3
	v_lshlrev_b32_e32 v15, 3, v14
	s_xor_b32 s42, exec_lo, -1
	s_delay_alu instid0(VALU_DEP_1)
	v_add3_u32 v15, 0, v15, 0x20000
	ds_add_f32 v15, v12
	ds_add_f32 v15, v13 offset:4
.LBB57_28:                              ;   in Loop: Header=BB57_22 Depth=3
	s_or_b32 exec_lo, exec_lo, s39
	s_delay_alu instid0(SALU_CYCLE_1) | instskip(SKIP_1) | instid1(SALU_CYCLE_1)
	s_and_not1_b32 s37, s37, exec_lo
	s_and_b32 s39, s42, exec_lo
	s_or_b32 s37, s37, s39
.LBB57_29:                              ;   in Loop: Header=BB57_22 Depth=3
	s_or_b32 exec_lo, exec_lo, s38
	s_delay_alu instid0(SALU_CYCLE_1)
	s_and_b32 s37, s37, exec_lo
.LBB57_30:                              ;   in Loop: Header=BB57_22 Depth=3
	s_and_not1_saveexec_b32 s17, s17
	s_cbranch_execz .LBB57_21
; %bb.31:                               ;   in Loop: Header=BB57_22 Depth=3
	v_lshlrev_b32_e32 v15, 3, v14
	s_and_not1_b32 s37, s37, exec_lo
	s_delay_alu instid0(VALU_DEP_1)
	v_add3_u32 v15, 0, v15, 0x20000
	ds_add_f32 v15, v12
	ds_add_f32 v15, v13 offset:4
	s_branch .LBB57_21
.LBB57_32:
	s_or_b32 exec_lo, exec_lo, s1
.LBB57_33:
	s_delay_alu instid0(SALU_CYCLE_1)
	s_and_not1_b32 vcc_lo, exec_lo, s14
	s_cbranch_vccnz .LBB57_50
; %bb.34:
	s_waitcnt lgkmcnt(0)
	s_ashr_i32 s37, s36, 31
	v_subrev_nc_u32_e32 v1, s27, v0
	s_lshl_b64 s[0:1], s[36:37], 2
	s_delay_alu instid0(SALU_CYCLE_1)
	s_add_u32 s0, s10, s0
	s_addc_u32 s1, s11, s1
	s_load_b64 s[0:1], s[0:1], 0x0
	s_waitcnt lgkmcnt(0)
	v_add_nc_u32_e32 v1, s0, v1
	s_sub_i32 s0, s1, s27
	s_mov_b32 s1, exec_lo
	s_delay_alu instid0(VALU_DEP_1)
	v_cmpx_gt_i32_e64 s0, v1
	s_cbranch_execz .LBB57_49
; %bb.35:
	s_mov_b32 s3, 0
	s_branch .LBB57_37
.LBB57_36:                              ;   in Loop: Header=BB57_37 Depth=1
	s_or_b32 exec_lo, exec_lo, s4
	v_add_nc_u32_e32 v1, 0x400, v1
	s_delay_alu instid0(VALU_DEP_1) | instskip(SKIP_1) | instid1(SALU_CYCLE_1)
	v_cmp_le_i32_e32 vcc_lo, s0, v1
	s_or_b32 s3, vcc_lo, s3
	s_and_not1_b32 exec_lo, exec_lo, s3
	s_cbranch_execz .LBB57_49
.LBB57_37:                              ; =>This Loop Header: Depth=1
                                        ;     Child Loop BB57_39 Depth 2
	v_ashrrev_i32_e32 v2, 31, v1
	s_mov_b32 s4, 0
	s_delay_alu instid0(VALU_DEP_1) | instskip(SKIP_1) | instid1(VALU_DEP_2)
	v_lshlrev_b64 v[3:4], 2, v[1:2]
	v_lshlrev_b64 v[9:10], 3, v[1:2]
	v_add_co_u32 v3, vcc_lo, s28, v3
	s_delay_alu instid0(VALU_DEP_3) | instskip(NEXT) | instid1(VALU_DEP_3)
	v_add_co_ci_u32_e32 v4, vcc_lo, s29, v4, vcc_lo
	v_add_co_u32 v2, vcc_lo, s30, v9
	global_load_b32 v4, v[3:4], off
	v_add_co_ci_u32_e32 v3, vcc_lo, s31, v10, vcc_lo
	global_load_b64 v[9:10], v[2:3], off
	s_waitcnt vmcnt(1)
	v_subrev_nc_u32_e32 v2, s27, v4
	s_delay_alu instid0(VALU_DEP_1) | instskip(SKIP_2) | instid1(VALU_DEP_1)
	v_mul_lo_u32 v11, 0x89, v2
	s_waitcnt vmcnt(0)
	v_mul_f32_e64 v3, v10, -s12
	v_dual_mul_f32 v4, s2, v10 :: v_dual_fmac_f32 v3, s2, v9
	s_delay_alu instid0(VALU_DEP_1)
	v_dual_fmac_f32 v4, s12, v9 :: v_dual_and_b32 v9, 0x7fff, v11
	s_branch .LBB57_39
.LBB57_38:                              ;   in Loop: Header=BB57_39 Depth=2
	s_or_b32 exec_lo, exec_lo, s5
	s_xor_b32 s5, s6, -1
	s_delay_alu instid0(SALU_CYCLE_1) | instskip(NEXT) | instid1(SALU_CYCLE_1)
	s_and_b32 s5, exec_lo, s5
	s_or_b32 s4, s5, s4
	s_delay_alu instid0(SALU_CYCLE_1)
	s_and_not1_b32 exec_lo, exec_lo, s4
	s_cbranch_execz .LBB57_36
.LBB57_39:                              ;   Parent Loop BB57_37 Depth=1
                                        ; =>  This Inner Loop Header: Depth=2
	s_delay_alu instid0(VALU_DEP_1)
	v_lshl_add_u32 v10, v9, 2, 0
	s_mov_b32 s5, exec_lo
                                        ; implicit-def: $sgpr6
	ds_load_b32 v11, v10
	s_waitcnt lgkmcnt(0)
	v_cmpx_ne_u32_e64 v11, v2
	s_xor_b32 s5, exec_lo, s5
	s_cbranch_execz .LBB57_47
; %bb.40:                               ;   in Loop: Header=BB57_39 Depth=2
	s_mov_b32 s7, exec_lo
                                        ; implicit-def: $sgpr6
	v_cmpx_ne_u32_e64 s33, v11
	s_xor_b32 s7, exec_lo, s7
; %bb.41:                               ;   in Loop: Header=BB57_39 Depth=2
	v_add_nc_u32_e32 v9, 1, v9
	s_mov_b32 s6, -1
                                        ; implicit-def: $vgpr10
	s_delay_alu instid0(VALU_DEP_1)
	v_and_b32_e32 v9, 0x7fff, v9
; %bb.42:                               ;   in Loop: Header=BB57_39 Depth=2
	s_and_not1_saveexec_b32 s7, s7
	s_cbranch_execz .LBB57_46
; %bb.43:                               ;   in Loop: Header=BB57_39 Depth=2
	v_mov_b32_e32 v11, s33
	s_mov_b32 s9, -1
	s_mov_b32 s8, exec_lo
	ds_cmpstore_rtn_b32 v10, v10, v2, v11
	s_waitcnt lgkmcnt(0)
	v_cmpx_eq_u32_e64 s33, v10
	s_cbranch_execz .LBB57_45
; %bb.44:                               ;   in Loop: Header=BB57_39 Depth=2
	v_lshlrev_b32_e32 v10, 3, v9
	s_xor_b32 s9, exec_lo, -1
	s_delay_alu instid0(VALU_DEP_1)
	v_add3_u32 v10, 0, v10, 0x20000
	ds_add_f32 v10, v3
	ds_add_f32 v10, v4 offset:4
.LBB57_45:                              ;   in Loop: Header=BB57_39 Depth=2
	s_or_b32 exec_lo, exec_lo, s8
	s_delay_alu instid0(SALU_CYCLE_1) | instskip(SKIP_1) | instid1(SALU_CYCLE_1)
	s_and_not1_b32 s6, s6, exec_lo
	s_and_b32 s8, s9, exec_lo
	s_or_b32 s6, s6, s8
.LBB57_46:                              ;   in Loop: Header=BB57_39 Depth=2
	s_or_b32 exec_lo, exec_lo, s7
	s_delay_alu instid0(SALU_CYCLE_1)
	s_and_b32 s6, s6, exec_lo
.LBB57_47:                              ;   in Loop: Header=BB57_39 Depth=2
	s_and_not1_saveexec_b32 s5, s5
	s_cbranch_execz .LBB57_38
; %bb.48:                               ;   in Loop: Header=BB57_39 Depth=2
	v_lshlrev_b32_e32 v10, 3, v9
	s_and_not1_b32 s6, s6, exec_lo
	s_delay_alu instid0(VALU_DEP_1)
	v_add3_u32 v10, 0, v10, 0x20000
	ds_add_f32 v10, v3
	ds_add_f32 v10, v4 offset:4
	s_branch .LBB57_38
.LBB57_49:
	s_or_b32 exec_lo, exec_lo, s1
.LBB57_50:
	v_mbcnt_lo_u32_b32 v1, -1, 0
	s_add_i32 s29, 0, 0x6003c
	s_delay_alu instid0(SALU_CYCLE_1) | instskip(SKIP_1) | instid1(VALU_DEP_3)
	v_dual_mov_b32 v9, s29 :: v_dual_lshlrev_b32 v2, 2, v8
	v_cmp_eq_u32_e32 vcc_lo, 0x3ff, v0
	v_xor_b32_e32 v1, 63, v1
	v_cmp_lt_u32_e64 s0, 63, v0
	s_delay_alu instid0(VALU_DEP_4)
	v_add3_u32 v4, 0, 0x60000, v2
	v_cmp_lt_u32_e64 s1, 0x7f, v0
	v_cmp_lt_u32_e64 s2, 0xbf, v0
	v_lshrrev_b64 v[1:2], v1, -1
	v_cmp_lt_u32_e64 s3, 0xff, v0
	v_cmp_lt_u32_e64 s4, 0x13f, v0
	;; [unrolled: 1-line block ×12, first 2 shown]
	v_add3_u32 v7, v7, 0, 0x20000
	v_mov_b32_e32 v8, 0
	s_mov_b32 s16, 0
	s_add_i32 s17, 0, 0x60000
	s_add_i32 s18, 0, 0x60004
	;; [unrolled: 1-line block ×15, first 2 shown]
	s_waitcnt lgkmcnt(0)
	s_barrier
	buffer_gl0_inv
	s_branch .LBB57_52
.LBB57_51:                              ;   in Loop: Header=BB57_52 Depth=1
	s_or_b32 exec_lo, exec_lo, s15
	s_waitcnt lgkmcnt(0)
	s_barrier
	buffer_gl0_inv
	ds_load_b32 v2, v9
	v_add_nc_u32_e32 v6, 0x400, v6
	v_add_nc_u32_e32 v7, 0x2000, v7
	;; [unrolled: 1-line block ×3, first 2 shown]
	s_delay_alu instid0(VALU_DEP_3) | instskip(NEXT) | instid1(VALU_DEP_1)
	v_cmp_lt_u32_e64 s15, 0x7bff, v6
	s_or_b32 s16, s15, s16
	s_waitcnt lgkmcnt(0)
	v_add_nc_u32_e32 v8, v2, v8
	s_and_not1_b32 exec_lo, exec_lo, s16
	s_cbranch_execz .LBB57_86
.LBB57_52:                              ; =>This Inner Loop Header: Depth=1
	ds_load_b32 v10, v5
	ds_load_2addr_b32 v[2:3], v7 offset1:1
	s_waitcnt lgkmcnt(0)
	s_barrier
	buffer_gl0_inv
	v_cmp_gt_i32_e64 s15, s33, v10
	s_delay_alu instid0(VALU_DEP_1) | instskip(NEXT) | instid1(SALU_CYCLE_1)
	s_bcnt1_i32_b32 s39, s15
	v_dual_mov_b32 v12, s39 :: v_dual_and_b32 v11, s15, v1
	s_delay_alu instid0(VALU_DEP_1)
	v_bcnt_u32_b32 v11, v11, 0
	ds_store_b32 v4, v12
	s_waitcnt lgkmcnt(0)
	s_barrier
	buffer_gl0_inv
	s_and_saveexec_b32 s39, s0
	s_cbranch_execnz .LBB57_69
; %bb.53:                               ;   in Loop: Header=BB57_52 Depth=1
	s_or_b32 exec_lo, exec_lo, s39
	s_and_saveexec_b32 s39, s1
	s_cbranch_execnz .LBB57_70
.LBB57_54:                              ;   in Loop: Header=BB57_52 Depth=1
	s_or_b32 exec_lo, exec_lo, s39
	s_and_saveexec_b32 s39, s2
	s_cbranch_execnz .LBB57_71
.LBB57_55:                              ;   in Loop: Header=BB57_52 Depth=1
	s_or_b32 exec_lo, exec_lo, s39
	s_and_saveexec_b32 s39, s3
	s_cbranch_execnz .LBB57_72
.LBB57_56:                              ;   in Loop: Header=BB57_52 Depth=1
	s_or_b32 exec_lo, exec_lo, s39
	s_and_saveexec_b32 s39, s4
	s_cbranch_execnz .LBB57_73
.LBB57_57:                              ;   in Loop: Header=BB57_52 Depth=1
	s_or_b32 exec_lo, exec_lo, s39
	s_and_saveexec_b32 s39, s5
	s_cbranch_execnz .LBB57_74
.LBB57_58:                              ;   in Loop: Header=BB57_52 Depth=1
	s_or_b32 exec_lo, exec_lo, s39
	s_and_saveexec_b32 s39, s6
	s_cbranch_execnz .LBB57_75
.LBB57_59:                              ;   in Loop: Header=BB57_52 Depth=1
	s_or_b32 exec_lo, exec_lo, s39
	s_and_saveexec_b32 s39, s7
	s_cbranch_execnz .LBB57_76
.LBB57_60:                              ;   in Loop: Header=BB57_52 Depth=1
	s_or_b32 exec_lo, exec_lo, s39
	s_and_saveexec_b32 s39, s8
	s_cbranch_execnz .LBB57_77
.LBB57_61:                              ;   in Loop: Header=BB57_52 Depth=1
	s_or_b32 exec_lo, exec_lo, s39
	s_and_saveexec_b32 s39, s9
	s_cbranch_execnz .LBB57_78
.LBB57_62:                              ;   in Loop: Header=BB57_52 Depth=1
	s_or_b32 exec_lo, exec_lo, s39
	s_and_saveexec_b32 s39, s10
	s_cbranch_execnz .LBB57_79
.LBB57_63:                              ;   in Loop: Header=BB57_52 Depth=1
	s_or_b32 exec_lo, exec_lo, s39
	s_and_saveexec_b32 s39, s11
	s_cbranch_execnz .LBB57_80
.LBB57_64:                              ;   in Loop: Header=BB57_52 Depth=1
	s_or_b32 exec_lo, exec_lo, s39
	s_and_saveexec_b32 s39, s12
	s_cbranch_execnz .LBB57_81
.LBB57_65:                              ;   in Loop: Header=BB57_52 Depth=1
	s_or_b32 exec_lo, exec_lo, s39
	s_and_saveexec_b32 s39, s13
	s_cbranch_execnz .LBB57_82
.LBB57_66:                              ;   in Loop: Header=BB57_52 Depth=1
	s_or_b32 exec_lo, exec_lo, s39
	s_and_saveexec_b32 s39, s14
	s_cbranch_execnz .LBB57_83
.LBB57_67:                              ;   in Loop: Header=BB57_52 Depth=1
	s_or_b32 exec_lo, exec_lo, s39
	s_and_saveexec_b32 s39, s15
	s_cbranch_execnz .LBB57_84
.LBB57_68:                              ;   in Loop: Header=BB57_52 Depth=1
	s_or_b32 exec_lo, exec_lo, s39
	s_and_saveexec_b32 s15, vcc_lo
	s_cbranch_execz .LBB57_51
	s_branch .LBB57_85
.LBB57_69:                              ;   in Loop: Header=BB57_52 Depth=1
	v_mov_b32_e32 v12, s17
	ds_load_b32 v12, v12
	s_waitcnt lgkmcnt(0)
	v_add_nc_u32_e32 v11, v12, v11
	s_or_b32 exec_lo, exec_lo, s39
	s_and_saveexec_b32 s39, s1
	s_cbranch_execz .LBB57_54
.LBB57_70:                              ;   in Loop: Header=BB57_52 Depth=1
	v_mov_b32_e32 v12, s18
	ds_load_b32 v12, v12
	s_waitcnt lgkmcnt(0)
	v_add_nc_u32_e32 v11, v12, v11
	s_or_b32 exec_lo, exec_lo, s39
	s_and_saveexec_b32 s39, s2
	s_cbranch_execz .LBB57_55
.LBB57_71:                              ;   in Loop: Header=BB57_52 Depth=1
	v_mov_b32_e32 v12, s19
	ds_load_b32 v12, v12
	s_waitcnt lgkmcnt(0)
	v_add_nc_u32_e32 v11, v12, v11
	s_or_b32 exec_lo, exec_lo, s39
	s_and_saveexec_b32 s39, s3
	s_cbranch_execz .LBB57_56
.LBB57_72:                              ;   in Loop: Header=BB57_52 Depth=1
	v_mov_b32_e32 v12, s20
	ds_load_b32 v12, v12
	s_waitcnt lgkmcnt(0)
	v_add_nc_u32_e32 v11, v12, v11
	s_or_b32 exec_lo, exec_lo, s39
	s_and_saveexec_b32 s39, s4
	s_cbranch_execz .LBB57_57
.LBB57_73:                              ;   in Loop: Header=BB57_52 Depth=1
	v_mov_b32_e32 v12, s21
	ds_load_b32 v12, v12
	s_waitcnt lgkmcnt(0)
	v_add_nc_u32_e32 v11, v12, v11
	s_or_b32 exec_lo, exec_lo, s39
	s_and_saveexec_b32 s39, s5
	s_cbranch_execz .LBB57_58
.LBB57_74:                              ;   in Loop: Header=BB57_52 Depth=1
	v_mov_b32_e32 v12, s22
	ds_load_b32 v12, v12
	s_waitcnt lgkmcnt(0)
	v_add_nc_u32_e32 v11, v12, v11
	s_or_b32 exec_lo, exec_lo, s39
	s_and_saveexec_b32 s39, s6
	s_cbranch_execz .LBB57_59
.LBB57_75:                              ;   in Loop: Header=BB57_52 Depth=1
	v_mov_b32_e32 v12, s23
	ds_load_b32 v12, v12
	s_waitcnt lgkmcnt(0)
	v_add_nc_u32_e32 v11, v12, v11
	s_or_b32 exec_lo, exec_lo, s39
	s_and_saveexec_b32 s39, s7
	s_cbranch_execz .LBB57_60
.LBB57_76:                              ;   in Loop: Header=BB57_52 Depth=1
	v_mov_b32_e32 v12, s24
	ds_load_b32 v12, v12
	s_waitcnt lgkmcnt(0)
	v_add_nc_u32_e32 v11, v12, v11
	s_or_b32 exec_lo, exec_lo, s39
	s_and_saveexec_b32 s39, s8
	s_cbranch_execz .LBB57_61
.LBB57_77:                              ;   in Loop: Header=BB57_52 Depth=1
	v_mov_b32_e32 v12, s25
	ds_load_b32 v12, v12
	s_waitcnt lgkmcnt(0)
	v_add_nc_u32_e32 v11, v12, v11
	s_or_b32 exec_lo, exec_lo, s39
	s_and_saveexec_b32 s39, s9
	s_cbranch_execz .LBB57_62
.LBB57_78:                              ;   in Loop: Header=BB57_52 Depth=1
	v_mov_b32_e32 v12, s27
	ds_load_b32 v12, v12
	s_waitcnt lgkmcnt(0)
	v_add_nc_u32_e32 v11, v12, v11
	s_or_b32 exec_lo, exec_lo, s39
	s_and_saveexec_b32 s39, s10
	s_cbranch_execz .LBB57_63
.LBB57_79:                              ;   in Loop: Header=BB57_52 Depth=1
	v_mov_b32_e32 v12, s28
	ds_load_b32 v12, v12
	s_waitcnt lgkmcnt(0)
	v_add_nc_u32_e32 v11, v12, v11
	s_or_b32 exec_lo, exec_lo, s39
	s_and_saveexec_b32 s39, s11
	s_cbranch_execz .LBB57_64
.LBB57_80:                              ;   in Loop: Header=BB57_52 Depth=1
	v_mov_b32_e32 v12, s30
	ds_load_b32 v12, v12
	s_waitcnt lgkmcnt(0)
	v_add_nc_u32_e32 v11, v12, v11
	s_or_b32 exec_lo, exec_lo, s39
	s_and_saveexec_b32 s39, s12
	s_cbranch_execz .LBB57_65
.LBB57_81:                              ;   in Loop: Header=BB57_52 Depth=1
	v_mov_b32_e32 v12, s31
	ds_load_b32 v12, v12
	s_waitcnt lgkmcnt(0)
	v_add_nc_u32_e32 v11, v12, v11
	s_or_b32 exec_lo, exec_lo, s39
	s_and_saveexec_b32 s39, s13
	s_cbranch_execz .LBB57_66
.LBB57_82:                              ;   in Loop: Header=BB57_52 Depth=1
	v_mov_b32_e32 v12, s37
	ds_load_b32 v12, v12
	s_waitcnt lgkmcnt(0)
	v_add_nc_u32_e32 v11, v12, v11
	s_or_b32 exec_lo, exec_lo, s39
	s_and_saveexec_b32 s39, s14
	s_cbranch_execz .LBB57_67
.LBB57_83:                              ;   in Loop: Header=BB57_52 Depth=1
	v_mov_b32_e32 v12, s38
	ds_load_b32 v12, v12
	s_waitcnt lgkmcnt(0)
	v_add_nc_u32_e32 v11, v12, v11
	s_or_b32 exec_lo, exec_lo, s39
	s_and_saveexec_b32 s39, s15
	s_cbranch_execz .LBB57_68
.LBB57_84:                              ;   in Loop: Header=BB57_52 Depth=1
	s_delay_alu instid0(VALU_DEP_1) | instskip(NEXT) | instid1(VALU_DEP_1)
	v_add3_u32 v12, v8, -1, v11
	v_lshlrev_b32_e32 v13, 3, v12
	v_lshl_add_u32 v12, v12, 2, 0
	s_delay_alu instid0(VALU_DEP_2)
	v_add3_u32 v13, 0, v13, 0x20000
	ds_store_b32 v12, v10
	ds_store_2addr_b32 v13, v2, v3 offset1:1
	s_or_b32 exec_lo, exec_lo, s39
	s_and_saveexec_b32 s15, vcc_lo
	s_cbranch_execz .LBB57_51
.LBB57_85:                              ;   in Loop: Header=BB57_52 Depth=1
	v_mov_b32_e32 v2, s29
	ds_store_b32 v2, v11
	s_branch .LBB57_51
.LBB57_86:
	s_or_b32 exec_lo, exec_lo, s16
	s_ashr_i32 s37, s36, 31
	s_mov_b32 s3, exec_lo
	s_lshl_b64 s[0:1], s[36:37], 2
	s_delay_alu instid0(SALU_CYCLE_1) | instskip(SKIP_4) | instid1(SALU_CYCLE_1)
	s_add_u32 s0, s40, s0
	s_addc_u32 s1, s41, s1
	s_load_b64 s[0:1], s[0:1], 0x0
	s_waitcnt lgkmcnt(0)
	s_sub_i32 s2, s1, s0
	v_cmpx_gt_i32_e64 s2, v0
	s_cbranch_execz .LBB57_96
; %bb.87:
	s_sub_i32 s3, s0, s26
	s_sub_i32 s0, s0, s1
	s_and_b32 s1, s2, 7
	s_cmp_lt_u32 s0, -7
	s_mov_b32 s7, 0
	s_cselect_b32 s4, -1, 0
	s_and_b32 s5, s2, -8
	s_cmp_lg_u32 s1, 0
	s_cselect_b32 s6, -1, 0
	s_branch .LBB57_89
.LBB57_88:                              ;   in Loop: Header=BB57_89 Depth=1
	s_waitcnt lgkmcnt(1)
	s_delay_alu instid0(VALU_DEP_1) | instskip(SKIP_1) | instid1(VALU_DEP_2)
	v_ashrrev_i32_e32 v4, 31, v3
	v_add_nc_u32_e32 v0, 0x400, v0
	v_lshlrev_b64 v[3:4], 3, v[3:4]
	s_delay_alu instid0(VALU_DEP_2) | instskip(SKIP_1) | instid1(VALU_DEP_2)
	v_cmp_le_i32_e32 vcc_lo, s2, v0
	s_or_b32 s7, vcc_lo, s7
	v_add_co_u32 v3, s0, s34, v3
	s_delay_alu instid0(VALU_DEP_1)
	v_add_co_ci_u32_e64 v4, s0, s35, v4, s0
	s_waitcnt lgkmcnt(0)
	global_store_b64 v[3:4], v[1:2], off
	s_and_not1_b32 exec_lo, exec_lo, s7
	s_cbranch_execz .LBB57_96
.LBB57_89:                              ; =>This Loop Header: Depth=1
                                        ;     Child Loop BB57_91 Depth 2
                                        ;     Child Loop BB57_95 Depth 2
	v_lshlrev_b32_e32 v1, 3, v0
	v_lshl_add_u32 v2, v0, 2, 0
	v_mov_b32_e32 v3, s3
	s_and_not1_b32 vcc_lo, exec_lo, s4
	s_mov_b32 s0, 0
	v_add3_u32 v1, 0, v1, 0x20000
	ds_load_b32 v4, v2
	ds_load_2addr_b32 v[1:2], v1 offset1:1
	s_cbranch_vccnz .LBB57_93
; %bb.90:                               ;   in Loop: Header=BB57_89 Depth=1
	v_mov_b32_e32 v3, s3
	s_mov_b32 s8, 0
	s_set_inst_prefetch_distance 0x1
	.p2align	6
.LBB57_91:                              ;   Parent Loop BB57_89 Depth=1
                                        ; =>  This Inner Loop Header: Depth=2
	v_mov_b32_e32 v11, s8
	s_add_i32 s0, s0, 8
	s_add_i32 s8, s8, 32
	s_cmp_eq_u32 s5, s0
	ds_load_2addr_b32 v[5:6], v11 offset1:1
	ds_load_2addr_b32 v[7:8], v11 offset0:2 offset1:3
	ds_load_2addr_b32 v[9:10], v11 offset0:4 offset1:5
	;; [unrolled: 1-line block ×3, first 2 shown]
	s_waitcnt lgkmcnt(3)
	v_cmp_gt_i32_e32 vcc_lo, v4, v5
	v_cndmask_b32_e64 v5, 0, 1, vcc_lo
	s_waitcnt lgkmcnt(2)
	v_cmp_gt_i32_e32 vcc_lo, v4, v7
	v_cndmask_b32_e64 v7, 0, 1, vcc_lo
	v_cmp_gt_i32_e32 vcc_lo, v4, v6
	v_add_co_ci_u32_e32 v3, vcc_lo, v3, v5, vcc_lo
	s_waitcnt lgkmcnt(1)
	v_cmp_gt_i32_e32 vcc_lo, v4, v9
	v_cndmask_b32_e64 v5, 0, 1, vcc_lo
	v_cmp_gt_i32_e32 vcc_lo, v4, v8
	v_add_co_ci_u32_e32 v3, vcc_lo, v3, v7, vcc_lo
	;; [unrolled: 5-line block ×3, first 2 shown]
	v_cmp_gt_i32_e32 vcc_lo, v4, v12
	s_delay_alu instid0(VALU_DEP_2)
	v_add_co_ci_u32_e32 v3, vcc_lo, v3, v6, vcc_lo
	s_cbranch_scc0 .LBB57_91
; %bb.92:                               ;   in Loop: Header=BB57_89 Depth=1
	s_set_inst_prefetch_distance 0x2
	s_mov_b32 s0, s5
.LBB57_93:                              ;   in Loop: Header=BB57_89 Depth=1
	s_and_not1_b32 vcc_lo, exec_lo, s6
	s_cbranch_vccnz .LBB57_88
; %bb.94:                               ;   in Loop: Header=BB57_89 Depth=1
	s_lshl_b32 s0, s0, 2
	s_mov_b32 s8, s1
	s_add_i32 s0, s0, 0
.LBB57_95:                              ;   Parent Loop BB57_89 Depth=1
                                        ; =>  This Inner Loop Header: Depth=2
	s_delay_alu instid0(SALU_CYCLE_1)
	v_mov_b32_e32 v5, s0
	s_add_i32 s8, s8, -1
	s_add_i32 s0, s0, 4
	s_cmp_lg_u32 s8, 0
	ds_load_b32 v5, v5
	s_waitcnt lgkmcnt(0)
	v_cmp_gt_i32_e32 vcc_lo, v4, v5
	v_add_co_ci_u32_e32 v3, vcc_lo, 0, v3, vcc_lo
	s_cbranch_scc1 .LBB57_95
	s_branch .LBB57_88
.LBB57_96:
	s_nop 0
	s_sendmsg sendmsg(MSG_DEALLOC_VGPRS)
	s_endpgm
	.section	.rodata,"a",@progbits
	.p2align	6, 0x0
	.amdhsa_kernel _ZN9rocsparseL41csrgemm_numeric_fill_block_per_row_kernelILj1024ELj64ELj32768ELj137ELj64Eii21rocsparse_complex_numIfEEEvT5_PKS3_S5_NS_24const_host_device_scalarIT6_EEPKT4_S5_PKS7_SB_S5_SD_S8_SB_S5_SD_SB_S5_PS7_21rocsparse_index_base_SF_SF_SF_bbb
		.amdhsa_group_segment_fixed_size 0
		.amdhsa_private_segment_fixed_size 0
		.amdhsa_kernarg_size 156
		.amdhsa_user_sgpr_count 15
		.amdhsa_user_sgpr_dispatch_ptr 0
		.amdhsa_user_sgpr_queue_ptr 0
		.amdhsa_user_sgpr_kernarg_segment_ptr 1
		.amdhsa_user_sgpr_dispatch_id 0
		.amdhsa_user_sgpr_private_segment_size 0
		.amdhsa_wavefront_size32 1
		.amdhsa_uses_dynamic_stack 0
		.amdhsa_enable_private_segment 0
		.amdhsa_system_sgpr_workgroup_id_x 1
		.amdhsa_system_sgpr_workgroup_id_y 0
		.amdhsa_system_sgpr_workgroup_id_z 0
		.amdhsa_system_sgpr_workgroup_info 0
		.amdhsa_system_vgpr_workitem_id 0
		.amdhsa_next_free_vgpr 17
		.amdhsa_next_free_sgpr 43
		.amdhsa_reserve_vcc 1
		.amdhsa_float_round_mode_32 0
		.amdhsa_float_round_mode_16_64 0
		.amdhsa_float_denorm_mode_32 3
		.amdhsa_float_denorm_mode_16_64 3
		.amdhsa_dx10_clamp 1
		.amdhsa_ieee_mode 1
		.amdhsa_fp16_overflow 0
		.amdhsa_workgroup_processor_mode 1
		.amdhsa_memory_ordered 1
		.amdhsa_forward_progress 0
		.amdhsa_shared_vgpr_count 0
		.amdhsa_exception_fp_ieee_invalid_op 0
		.amdhsa_exception_fp_denorm_src 0
		.amdhsa_exception_fp_ieee_div_zero 0
		.amdhsa_exception_fp_ieee_overflow 0
		.amdhsa_exception_fp_ieee_underflow 0
		.amdhsa_exception_fp_ieee_inexact 0
		.amdhsa_exception_int_div_zero 0
	.end_amdhsa_kernel
	.section	.text._ZN9rocsparseL41csrgemm_numeric_fill_block_per_row_kernelILj1024ELj64ELj32768ELj137ELj64Eii21rocsparse_complex_numIfEEEvT5_PKS3_S5_NS_24const_host_device_scalarIT6_EEPKT4_S5_PKS7_SB_S5_SD_S8_SB_S5_SD_SB_S5_PS7_21rocsparse_index_base_SF_SF_SF_bbb,"axG",@progbits,_ZN9rocsparseL41csrgemm_numeric_fill_block_per_row_kernelILj1024ELj64ELj32768ELj137ELj64Eii21rocsparse_complex_numIfEEEvT5_PKS3_S5_NS_24const_host_device_scalarIT6_EEPKT4_S5_PKS7_SB_S5_SD_S8_SB_S5_SD_SB_S5_PS7_21rocsparse_index_base_SF_SF_SF_bbb,comdat
.Lfunc_end57:
	.size	_ZN9rocsparseL41csrgemm_numeric_fill_block_per_row_kernelILj1024ELj64ELj32768ELj137ELj64Eii21rocsparse_complex_numIfEEEvT5_PKS3_S5_NS_24const_host_device_scalarIT6_EEPKT4_S5_PKS7_SB_S5_SD_S8_SB_S5_SD_SB_S5_PS7_21rocsparse_index_base_SF_SF_SF_bbb, .Lfunc_end57-_ZN9rocsparseL41csrgemm_numeric_fill_block_per_row_kernelILj1024ELj64ELj32768ELj137ELj64Eii21rocsparse_complex_numIfEEEvT5_PKS3_S5_NS_24const_host_device_scalarIT6_EEPKT4_S5_PKS7_SB_S5_SD_S8_SB_S5_SD_SB_S5_PS7_21rocsparse_index_base_SF_SF_SF_bbb
                                        ; -- End function
	.section	.AMDGPU.csdata,"",@progbits
; Kernel info:
; codeLenInByte = 3584
; NumSgprs: 45
; NumVgprs: 17
; ScratchSize: 0
; MemoryBound: 0
; FloatMode: 240
; IeeeMode: 1
; LDSByteSize: 0 bytes/workgroup (compile time only)
; SGPRBlocks: 5
; VGPRBlocks: 2
; NumSGPRsForWavesPerEU: 45
; NumVGPRsForWavesPerEU: 17
; Occupancy: 16
; WaveLimiterHint : 1
; COMPUTE_PGM_RSRC2:SCRATCH_EN: 0
; COMPUTE_PGM_RSRC2:USER_SGPR: 15
; COMPUTE_PGM_RSRC2:TRAP_HANDLER: 0
; COMPUTE_PGM_RSRC2:TGID_X_EN: 1
; COMPUTE_PGM_RSRC2:TGID_Y_EN: 0
; COMPUTE_PGM_RSRC2:TGID_Z_EN: 0
; COMPUTE_PGM_RSRC2:TIDIG_COMP_CNT: 0
	.section	.text._ZN9rocsparseL51csrgemm_numeric_fill_block_per_row_multipass_kernelILj512ELj16ELj2048ELj32Eii21rocsparse_complex_numIfEEEvT4_PKS3_S5_NS_24const_host_device_scalarIT5_EEPKT3_S5_PKS7_SB_S5_SD_S8_SB_S5_SD_SB_S5_PS7_PS9_21rocsparse_index_base_SG_SG_SG_bbb,"axG",@progbits,_ZN9rocsparseL51csrgemm_numeric_fill_block_per_row_multipass_kernelILj512ELj16ELj2048ELj32Eii21rocsparse_complex_numIfEEEvT4_PKS3_S5_NS_24const_host_device_scalarIT5_EEPKT3_S5_PKS7_SB_S5_SD_S8_SB_S5_SD_SB_S5_PS7_PS9_21rocsparse_index_base_SG_SG_SG_bbb,comdat
	.globl	_ZN9rocsparseL51csrgemm_numeric_fill_block_per_row_multipass_kernelILj512ELj16ELj2048ELj32Eii21rocsparse_complex_numIfEEEvT4_PKS3_S5_NS_24const_host_device_scalarIT5_EEPKT3_S5_PKS7_SB_S5_SD_S8_SB_S5_SD_SB_S5_PS7_PS9_21rocsparse_index_base_SG_SG_SG_bbb ; -- Begin function _ZN9rocsparseL51csrgemm_numeric_fill_block_per_row_multipass_kernelILj512ELj16ELj2048ELj32Eii21rocsparse_complex_numIfEEEvT4_PKS3_S5_NS_24const_host_device_scalarIT5_EEPKT3_S5_PKS7_SB_S5_SD_S8_SB_S5_SD_SB_S5_PS7_PS9_21rocsparse_index_base_SG_SG_SG_bbb
	.p2align	8
	.type	_ZN9rocsparseL51csrgemm_numeric_fill_block_per_row_multipass_kernelILj512ELj16ELj2048ELj32Eii21rocsparse_complex_numIfEEEvT4_PKS3_S5_NS_24const_host_device_scalarIT5_EEPKT3_S5_PKS7_SB_S5_SD_S8_SB_S5_SD_SB_S5_PS7_PS9_21rocsparse_index_base_SG_SG_SG_bbb,@function
_ZN9rocsparseL51csrgemm_numeric_fill_block_per_row_multipass_kernelILj512ELj16ELj2048ELj32Eii21rocsparse_complex_numIfEEEvT4_PKS3_S5_NS_24const_host_device_scalarIT5_EEPKT3_S5_PKS7_SB_S5_SD_S8_SB_S5_SD_SB_S5_PS7_PS9_21rocsparse_index_base_SG_SG_SG_bbb: ; @_ZN9rocsparseL51csrgemm_numeric_fill_block_per_row_multipass_kernelILj512ELj16ELj2048ELj32Eii21rocsparse_complex_numIfEEEvT4_PKS3_S5_NS_24const_host_device_scalarIT5_EEPKT3_S5_PKS7_SB_S5_SD_S8_SB_S5_SD_SB_S5_PS7_PS9_21rocsparse_index_base_SG_SG_SG_bbb
; %bb.0:
	s_clause 0x6
	s_load_b32 s10, s[0:1], 0xa0
	s_load_b256 s[20:27], s[0:1], 0x80
	s_load_b64 s[2:3], s[0:1], 0x70
	s_load_b128 s[28:31], s[0:1], 0x60
	s_load_b256 s[36:43], s[0:1], 0x40
	s_load_b128 s[4:7], s[0:1], 0x8
	s_load_b256 s[44:51], s[0:1], 0x20
	s_mov_b32 s35, 0
	s_mov_b32 s33, 0
	s_waitcnt lgkmcnt(0)
	s_bitcmp1_b32 s10, 0
	s_cselect_b32 s8, -1, 0
	s_bitcmp1_b32 s10, 16
	s_cselect_b32 s9, -1, 0
	s_delay_alu instid0(SALU_CYCLE_1)
	s_xor_b32 s9, s9, -1
	s_bitcmp0_b32 s10, 0
	s_cbranch_scc1 .LBB58_5
; %bb.1:
	s_load_b64 s[34:35], s[0:1], 0x18
	s_and_not1_b32 vcc_lo, exec_lo, s9
	s_waitcnt lgkmcnt(0)
	s_mov_b32 s33, s34
	s_cbranch_vccnz .LBB58_3
; %bb.2:
	s_load_b32 s33, s[34:35], 0x0
.LBB58_3:
	s_and_not1_b32 vcc_lo, exec_lo, s9
	s_cbranch_vccnz .LBB58_5
; %bb.4:
	s_load_b32 s35, s[34:35], 0x4
.LBB58_5:
	s_bitcmp1_b32 s10, 8
	s_mov_b32 s53, 0
	s_cselect_b32 s34, -1, 0
	s_bfe_u32 s10, s10, 0x10008
	s_mov_b32 s52, 0
	s_cmp_eq_u32 s10, 0
	s_cbranch_scc1 .LBB58_11
; %bb.6:
	v_cndmask_b32_e64 v1, 0, 1, s9
	s_and_not1_b32 vcc_lo, exec_lo, s9
	s_mov_b32 s52, s40
	s_cbranch_vccnz .LBB58_8
; %bb.7:
	s_load_b32 s52, s[40:41], 0x0
.LBB58_8:
	s_delay_alu instid0(VALU_DEP_1)
	v_cmp_ne_u32_e32 vcc_lo, 1, v1
	s_cbranch_vccnz .LBB58_10
; %bb.9:
	s_load_b32 s41, s[40:41], 0x4
.LBB58_10:
	s_waitcnt lgkmcnt(0)
	s_mov_b32 s53, s41
.LBB58_11:
	s_load_b32 s4, s[4:5], 0x0
	s_mov_b32 s41, 0
	s_waitcnt lgkmcnt(0)
	s_add_i32 s40, s4, s15
	s_delay_alu instid0(SALU_CYCLE_1) | instskip(NEXT) | instid1(SALU_CYCLE_1)
	s_lshl_b64 s[4:5], s[40:41], 2
	s_add_u32 s4, s6, s4
	s_addc_u32 s5, s7, s5
	s_and_not1_b32 vcc_lo, exec_lo, s8
	s_load_b32 s4, s[4:5], 0x0
	s_mov_b32 s6, 0
	s_cbranch_vccz .LBB58_14
; %bb.12:
	s_and_not1_b32 vcc_lo, exec_lo, s8
	s_cbranch_vccz .LBB58_15
.LBB58_13:
	s_load_b32 s40, s[0:1], 0x0
	s_waitcnt lgkmcnt(0)
	s_cmp_lt_i32 s40, 1
	s_cbranch_scc0 .LBB58_16
	s_branch .LBB58_69
.LBB58_14:
	s_waitcnt lgkmcnt(0)
	s_ashr_i32 s5, s4, 31
	s_delay_alu instid0(SALU_CYCLE_1) | instskip(NEXT) | instid1(SALU_CYCLE_1)
	s_lshl_b64 s[6:7], s[4:5], 2
	s_add_u32 s6, s44, s6
	s_addc_u32 s7, s45, s7
	s_load_b32 s5, s[6:7], 0x0
	s_waitcnt lgkmcnt(0)
	s_sub_i32 s6, s5, s24
	s_and_not1_b32 vcc_lo, exec_lo, s8
	s_cbranch_vccnz .LBB58_13
.LBB58_15:
	s_waitcnt lgkmcnt(0)
	s_ashr_i32 s5, s4, 31
	s_delay_alu instid0(SALU_CYCLE_1) | instskip(NEXT) | instid1(SALU_CYCLE_1)
	s_lshl_b64 s[10:11], s[4:5], 2
	s_add_u32 s10, s44, s10
	s_addc_u32 s11, s45, s11
	s_load_b32 s5, s[10:11], 0x4
	s_waitcnt lgkmcnt(0)
	s_sub_i32 s41, s5, s24
	s_load_b32 s40, s[0:1], 0x0
	s_waitcnt lgkmcnt(0)
	s_cmp_lt_i32 s40, 1
	s_cbranch_scc1 .LBB58_69
.LBB58_16:
	v_lshrrev_b32_e32 v1, 4, v0
	v_mbcnt_lo_u32_b32 v2, -1, 0
	s_ashr_i32 s5, s4, 31
	v_subrev_nc_u32_e32 v13, s27, v0
	s_lshl_b64 s[4:5], s[4:5], 2
	v_add_nc_u32_e32 v14, s6, v1
	v_xor_b32_e32 v1, 8, v2
	s_add_u32 s0, s2, s4
	v_xor_b32_e32 v3, 4, v2
	v_xor_b32_e32 v4, 2, v2
	s_addc_u32 s1, s3, s5
	v_cmp_gt_i32_e64 s2, 32, v1
	v_xor_b32_e32 v5, 1, v2
	s_load_b32 s3, s[0:1], 0x0
	v_xor_b32_e32 v6, 63, v2
	v_cmp_eq_u32_e64 s0, 0, v0
	v_cndmask_b32_e64 v1, v2, v1, s2
	v_cmp_gt_i32_e64 s2, 32, v3
	v_cmp_gt_u32_e64 s6, 0x80, v0
	v_cmp_gt_u32_e64 s7, 0xa0, v0
	;; [unrolled: 1-line block ×3, first 2 shown]
	v_lshlrev_b32_e32 v15, 2, v1
	v_cndmask_b32_e64 v3, v2, v3, s2
	v_cmp_gt_i32_e64 s2, 32, v4
	v_cmp_gt_u32_e64 s10, 0x100, v0
	v_cmp_gt_u32_e64 s11, 0x120, v0
	;; [unrolled: 1-line block ×4, first 2 shown]
	v_cndmask_b32_e64 v4, v2, v4, s2
	v_cmp_gt_i32_e64 s2, 32, v5
	v_cmp_gt_u32_e64 s14, 0x180, v0
	v_cmp_gt_u32_e64 s15, 0x1a0, v0
	;; [unrolled: 1-line block ×3, first 2 shown]
	s_waitcnt lgkmcnt(0)
	s_sub_i32 s18, s3, s26
	v_cndmask_b32_e64 v2, v2, v5, s2
	v_dual_mov_b32 v21, s18 :: v_dual_and_b32 v12, 15, v0
	v_lshrrev_b32_e32 v5, 3, v0
	s_add_u32 s42, s42, s4
	s_delay_alu instid0(VALU_DEP_3)
	v_lshlrev_b32_e32 v18, 2, v2
	v_lshrrev_b64 v[1:2], v6, -1
	v_mov_b32_e32 v2, 0
	v_lshlrev_b32_e32 v16, 2, v3
	s_addc_u32 s43, s43, s5
	v_cmp_eq_u32_e64 s1, 15, v12
	v_dual_mov_b32 v24, 0x800 :: v_dual_lshlrev_b32 v17, 2, v4
	v_mov_b32_e32 v3, v2
	v_cmp_gt_i32_e32 vcc_lo, s41, v14
	v_dual_mov_b32 v22, 1 :: v_dual_and_b32 v19, 60, v5
	v_cmp_eq_u32_e64 s2, 0x1ff, v0
	v_cmp_gt_u32_e64 s3, 32, v0
	s_and_b32 s26, s8, vcc_lo
	v_cmp_gt_u32_e64 s4, 64, v0
	v_cmp_gt_u32_e64 s5, 0x60, v0
	;; [unrolled: 1-line block ×4, first 2 shown]
	s_add_u32 s44, s50, 4
	v_or_b32_e32 v20, 0xfffffe00, v0
	v_dual_mov_b32 v23, v2 :: v_dual_lshlrev_b32 v0, 3, v0
	s_addc_u32 s45, s51, 0
	s_add_u32 s54, s20, -8
	s_addc_u32 s21, s21, -1
	s_branch .LBB58_18
.LBB58_17:                              ;   in Loop: Header=BB58_18 Depth=1
	s_or_b32 exec_lo, exec_lo, s18
	ds_load_b32 v23, v2 offset:18432
	s_waitcnt lgkmcnt(0)
	s_barrier
	buffer_gl0_inv
	v_cmp_le_i32_e32 vcc_lo, s40, v23
	v_add_nc_u32_e32 v24, 0x800, v23
	s_cbranch_vccnz .LBB58_69
.LBB58_18:                              ; =>This Loop Header: Depth=1
                                        ;     Child Loop BB58_19 Depth 2
                                        ;     Child Loop BB58_25 Depth 2
                                        ;       Child Loop BB58_31 Depth 3
                                        ;     Child Loop BB58_48 Depth 2
                                        ;     Child Loop BB58_60 Depth 2
	;; [unrolled: 1-line block ×3, first 2 shown]
	v_mov_b32_e32 v4, v0
	v_mov_b32_e32 v5, v20
	s_mov_b32 s18, 0
.LBB58_19:                              ;   Parent Loop BB58_18 Depth=1
                                        ; =>  This Inner Loop Header: Depth=2
	ds_store_b8 v5, v2 offset:16896
	v_add_nc_u32_e32 v5, 0x200, v5
	ds_store_b64 v4, v[2:3]
	v_add_nc_u32_e32 v4, 0x1000, v4
	v_cmp_lt_u32_e32 vcc_lo, 0x5ff, v5
	s_or_b32 s18, vcc_lo, s18
	s_delay_alu instid0(SALU_CYCLE_1)
	s_and_not1_b32 exec_lo, exec_lo, s18
	s_cbranch_execnz .LBB58_19
; %bb.20:                               ;   in Loop: Header=BB58_18 Depth=1
	s_or_b32 exec_lo, exec_lo, s18
	s_and_saveexec_b32 s18, s0
	s_cbranch_execz .LBB58_22
; %bb.21:                               ;   in Loop: Header=BB58_18 Depth=1
	v_mov_b32_e32 v4, s40
	ds_store_b32 v2, v4 offset:18432
.LBB58_22:                              ;   in Loop: Header=BB58_18 Depth=1
	s_or_b32 exec_lo, exec_lo, s18
	v_mov_b32_e32 v25, s40
	s_waitcnt lgkmcnt(0)
	s_barrier
	buffer_gl0_inv
	s_and_saveexec_b32 s55, s26
	s_cbranch_execz .LBB58_44
; %bb.23:                               ;   in Loop: Header=BB58_18 Depth=1
	v_cmp_ne_u32_e64 s18, 0, v23
	v_dual_mov_b32 v25, s40 :: v_dual_mov_b32 v4, v14
	s_mov_b32 s56, 0
	s_branch .LBB58_25
.LBB58_24:                              ;   in Loop: Header=BB58_25 Depth=2
	s_or_b32 exec_lo, exec_lo, s19
	v_add_nc_u32_e32 v4, 32, v4
	s_delay_alu instid0(VALU_DEP_1) | instskip(SKIP_1) | instid1(SALU_CYCLE_1)
	v_cmp_le_i32_e32 vcc_lo, s41, v4
	s_or_b32 s56, vcc_lo, s56
	s_and_not1_b32 exec_lo, exec_lo, s56
	s_cbranch_execz .LBB58_43
.LBB58_25:                              ;   Parent Loop BB58_18 Depth=1
                                        ; =>  This Loop Header: Depth=2
                                        ;       Child Loop BB58_31 Depth 3
	s_delay_alu instid0(VALU_DEP_1) | instskip(NEXT) | instid1(VALU_DEP_1)
	v_ashrrev_i32_e32 v5, 31, v4
	v_lshlrev_b64 v[6:7], 2, v[4:5]
	v_lshlrev_b64 v[10:11], 3, v[4:5]
	s_waitcnt lgkmcnt(0)
	s_delay_alu instid0(VALU_DEP_2) | instskip(NEXT) | instid1(VALU_DEP_3)
	v_add_co_u32 v8, vcc_lo, s46, v6
	v_add_co_ci_u32_e32 v9, vcc_lo, s47, v7, vcc_lo
	global_load_b32 v5, v[8:9], off
	v_add_co_u32 v8, vcc_lo, s48, v10
	v_add_co_ci_u32_e32 v9, vcc_lo, s49, v11, vcc_lo
	s_and_b32 vcc_lo, exec_lo, s18
	global_load_b64 v[8:9], v[8:9], off
	s_waitcnt vmcnt(1)
	v_subrev_nc_u32_e32 v10, s24, v5
	s_delay_alu instid0(VALU_DEP_1)
	v_ashrrev_i32_e32 v11, 31, v10
	s_cbranch_vccz .LBB58_42
; %bb.26:                               ;   in Loop: Header=BB58_25 Depth=2
	v_add_co_u32 v26, vcc_lo, s22, v6
	v_add_co_ci_u32_e32 v27, vcc_lo, s23, v7, vcc_lo
	global_load_b32 v5, v[26:27], off
	s_cbranch_execnz .LBB58_28
.LBB58_27:                              ;   in Loop: Header=BB58_25 Depth=2
	s_delay_alu instid0(VALU_DEP_1) | instskip(NEXT) | instid1(VALU_DEP_1)
	v_lshlrev_b64 v[26:27], 2, v[10:11]
	v_add_co_u32 v26, vcc_lo, s50, v26
	s_delay_alu instid0(VALU_DEP_2)
	v_add_co_ci_u32_e32 v27, vcc_lo, s51, v27, vcc_lo
	global_load_b32 v5, v[26:27], off
	s_waitcnt vmcnt(0)
	v_subrev_nc_u32_e32 v5, s25, v5
.LBB58_28:                              ;   in Loop: Header=BB58_25 Depth=2
	v_lshlrev_b64 v[10:11], 2, v[10:11]
	s_waitcnt vmcnt(0)
	s_delay_alu instid0(VALU_DEP_2) | instskip(SKIP_1) | instid1(VALU_DEP_2)
	v_add_nc_u32_e32 v5, v5, v12
	s_mov_b32 s57, exec_lo
	v_add_co_u32 v10, vcc_lo, s44, v10
	s_delay_alu instid0(VALU_DEP_3) | instskip(SKIP_3) | instid1(VALU_DEP_1)
	v_add_co_ci_u32_e32 v11, vcc_lo, s45, v11, vcc_lo
	global_load_b32 v10, v[10:11], off
	s_waitcnt vmcnt(0)
	v_subrev_nc_u32_e32 v10, s25, v10
	v_cmpx_lt_i32_e64 v5, v10
	s_cbranch_execz .LBB58_40
; %bb.29:                               ;   in Loop: Header=BB58_25 Depth=2
	v_mul_f32_e64 v11, v9, -s35
	v_mul_f32_e32 v26, s33, v9
	s_mov_b32 s59, 0
                                        ; implicit-def: $sgpr58
                                        ; implicit-def: $sgpr60
	s_delay_alu instid0(VALU_DEP_2) | instskip(NEXT) | instid1(VALU_DEP_2)
	v_fmac_f32_e32 v11, s33, v8
	v_fmac_f32_e32 v26, s35, v8
	v_mov_b32_e32 v8, v5
	s_branch .LBB58_31
.LBB58_30:                              ;   in Loop: Header=BB58_31 Depth=3
	s_or_b32 exec_lo, exec_lo, s20
	s_delay_alu instid0(SALU_CYCLE_1) | instskip(SKIP_4) | instid1(SALU_CYCLE_1)
	s_and_b32 s19, exec_lo, s61
	v_mov_b32_e32 v8, v28
	s_or_b32 s59, s19, s59
	s_and_not1_b32 s19, s58, exec_lo
	s_and_b32 s20, s60, exec_lo
	s_or_b32 s58, s19, s20
	s_and_not1_b32 exec_lo, exec_lo, s59
	s_cbranch_execz .LBB58_37
.LBB58_31:                              ;   Parent Loop BB58_18 Depth=1
                                        ;     Parent Loop BB58_25 Depth=2
                                        ; =>    This Inner Loop Header: Depth=3
	s_delay_alu instid0(VALU_DEP_1) | instskip(NEXT) | instid1(VALU_DEP_1)
	v_ashrrev_i32_e32 v9, 31, v8
	v_lshlrev_b64 v[27:28], 2, v[8:9]
	s_delay_alu instid0(VALU_DEP_1) | instskip(NEXT) | instid1(VALU_DEP_2)
	v_add_co_u32 v27, vcc_lo, s36, v27
	v_add_co_ci_u32_e32 v28, vcc_lo, s37, v28, vcc_lo
	global_load_b32 v27, v[27:28], off
	s_waitcnt vmcnt(0)
	v_subrev_nc_u32_e32 v27, s25, v27
	s_delay_alu instid0(VALU_DEP_1) | instskip(SKIP_2) | instid1(VALU_DEP_2)
	v_cmp_lt_i32_e64 s19, v27, v23
	v_cmp_ge_i32_e64 s20, v27, v24
	v_cmp_lt_i32_e32 vcc_lo, v27, v24
	s_or_b32 s61, s19, s20
	s_mov_b32 s19, 0
                                        ; implicit-def: $sgpr20
	s_and_saveexec_b32 s62, s61
	s_delay_alu instid0(SALU_CYCLE_1)
	s_xor_b32 s61, exec_lo, s62
; %bb.32:                               ;   in Loop: Header=BB58_31 Depth=3
	s_mov_b32 s20, -1
	s_and_b32 s19, vcc_lo, exec_lo
; %bb.33:                               ;   in Loop: Header=BB58_31 Depth=3
	s_and_not1_saveexec_b32 s61, s61
	s_cbranch_execz .LBB58_35
; %bb.34:                               ;   in Loop: Header=BB58_31 Depth=3
	v_lshlrev_b64 v[28:29], 3, v[8:9]
	v_sub_nc_u32_e32 v9, v27, v23
	s_or_b32 s19, s19, exec_lo
	ds_store_b8 v9, v22 offset:16384
	v_add_co_u32 v28, vcc_lo, s38, v28
	v_add_co_ci_u32_e32 v29, vcc_lo, s39, v29, vcc_lo
	global_load_b64 v[28:29], v[28:29], off
	s_waitcnt vmcnt(0)
	v_mul_f32_e64 v30, v29, -v26
	v_mul_f32_e32 v29, v11, v29
	s_delay_alu instid0(VALU_DEP_2) | instskip(NEXT) | instid1(VALU_DEP_2)
	v_dual_fmac_f32 v30, v11, v28 :: v_dual_lshlrev_b32 v31, 3, v9
	v_fmac_f32_e32 v29, v26, v28
	ds_add_f32 v31, v30
	ds_add_f32 v31, v29 offset:4
.LBB58_35:                              ;   in Loop: Header=BB58_31 Depth=3
	s_or_b32 exec_lo, exec_lo, s61
	v_mov_b32_e32 v9, v8
	s_and_not1_b32 s60, s60, exec_lo
	s_and_b32 s20, s20, exec_lo
	s_mov_b32 s61, -1
	s_or_b32 s60, s60, s20
                                        ; implicit-def: $vgpr28
	s_and_saveexec_b32 s20, s19
	s_cbranch_execz .LBB58_30
; %bb.36:                               ;   in Loop: Header=BB58_31 Depth=3
	v_dual_mov_b32 v9, v8 :: v_dual_add_nc_u32 v28, 16, v8
	s_and_not1_b32 s60, s60, exec_lo
	s_delay_alu instid0(VALU_DEP_1)
	v_cmp_ge_i32_e32 vcc_lo, v28, v10
	s_or_not1_b32 s61, vcc_lo, exec_lo
	s_branch .LBB58_30
.LBB58_37:                              ;   in Loop: Header=BB58_25 Depth=2
	s_or_b32 exec_lo, exec_lo, s59
	s_and_saveexec_b32 s19, s58
	s_delay_alu instid0(SALU_CYCLE_1)
	s_xor_b32 s19, exec_lo, s19
; %bb.38:                               ;   in Loop: Header=BB58_25 Depth=2
	v_min_i32_e32 v25, v27, v25
	v_mov_b32_e32 v5, v9
; %bb.39:                               ;   in Loop: Header=BB58_25 Depth=2
	s_or_b32 exec_lo, exec_lo, s19
.LBB58_40:                              ;   in Loop: Header=BB58_25 Depth=2
	s_delay_alu instid0(SALU_CYCLE_1)
	s_or_b32 exec_lo, exec_lo, s57
	ds_bpermute_b32 v8, v15, v5
	s_waitcnt lgkmcnt(0)
	v_min_i32_e32 v5, v8, v5
	ds_bpermute_b32 v8, v16, v5
	s_waitcnt lgkmcnt(0)
	v_min_i32_e32 v5, v8, v5
	;; [unrolled: 3-line block ×3, first 2 shown]
	ds_bpermute_b32 v8, v18, v5
	s_and_saveexec_b32 s19, s1
	s_cbranch_execz .LBB58_24
; %bb.41:                               ;   in Loop: Header=BB58_25 Depth=2
	s_waitcnt lgkmcnt(0)
	v_min_i32_e32 v8, v8, v5
	v_add_co_u32 v5, vcc_lo, s22, v6
	v_add_co_ci_u32_e32 v6, vcc_lo, s23, v7, vcc_lo
	global_store_b32 v[5:6], v8, off
	s_branch .LBB58_24
.LBB58_42:                              ;   in Loop: Header=BB58_25 Depth=2
                                        ; implicit-def: $vgpr5
	s_branch .LBB58_27
.LBB58_43:                              ;   in Loop: Header=BB58_18 Depth=1
	s_or_b32 exec_lo, exec_lo, s56
.LBB58_44:                              ;   in Loop: Header=BB58_18 Depth=1
	s_delay_alu instid0(SALU_CYCLE_1) | instskip(NEXT) | instid1(SALU_CYCLE_1)
	s_or_b32 exec_lo, exec_lo, s55
	s_and_not1_b32 vcc_lo, exec_lo, s34
	s_cbranch_vccnz .LBB58_58
; %bb.45:                               ;   in Loop: Header=BB58_18 Depth=1
	s_load_b64 s[18:19], s[42:43], 0x0
	s_mov_b32 s20, exec_lo
	s_waitcnt lgkmcnt(0)
	v_add_nc_u32_e32 v4, s18, v13
	s_sub_i32 s55, s19, s27
	s_delay_alu instid0(VALU_DEP_1) | instid1(SALU_CYCLE_1)
	v_cmpx_gt_i32_e64 s55, v4
	s_cbranch_execz .LBB58_57
; %bb.46:                               ;   in Loop: Header=BB58_18 Depth=1
	s_mov_b32 s56, 0
                                        ; implicit-def: $sgpr57
                                        ; implicit-def: $sgpr58
	s_branch .LBB58_48
.LBB58_47:                              ;   in Loop: Header=BB58_48 Depth=2
	s_or_b32 exec_lo, exec_lo, s59
	s_delay_alu instid0(SALU_CYCLE_1) | instskip(NEXT) | instid1(SALU_CYCLE_1)
	s_and_b32 s18, exec_lo, s19
	s_or_b32 s56, s18, s56
	s_and_not1_b32 s18, s57, exec_lo
	s_and_b32 s19, s58, exec_lo
	s_delay_alu instid0(SALU_CYCLE_1)
	s_or_b32 s57, s18, s19
	s_and_not1_b32 exec_lo, exec_lo, s56
	s_cbranch_execz .LBB58_54
.LBB58_48:                              ;   Parent Loop BB58_18 Depth=1
                                        ; =>  This Inner Loop Header: Depth=2
	v_ashrrev_i32_e32 v5, 31, v4
	s_delay_alu instid0(VALU_DEP_1) | instskip(NEXT) | instid1(VALU_DEP_1)
	v_lshlrev_b64 v[6:7], 2, v[4:5]
	v_add_co_u32 v6, vcc_lo, s28, v6
	s_delay_alu instid0(VALU_DEP_2) | instskip(SKIP_3) | instid1(VALU_DEP_1)
	v_add_co_ci_u32_e32 v7, vcc_lo, s29, v7, vcc_lo
	global_load_b32 v6, v[6:7], off
	s_waitcnt vmcnt(0)
	v_subrev_nc_u32_e32 v6, s27, v6
	v_cmp_lt_i32_e64 s18, v6, v23
	v_cmp_ge_i32_e64 s19, v6, v24
	v_cmp_lt_i32_e32 vcc_lo, v6, v24
	s_delay_alu instid0(VALU_DEP_2) | instskip(SKIP_2) | instid1(SALU_CYCLE_1)
	s_or_b32 s59, s18, s19
	s_mov_b32 s18, 0
                                        ; implicit-def: $sgpr19
	s_and_saveexec_b32 s60, s59
	s_xor_b32 s59, exec_lo, s60
; %bb.49:                               ;   in Loop: Header=BB58_48 Depth=2
	s_mov_b32 s19, -1
	s_and_b32 s18, vcc_lo, exec_lo
; %bb.50:                               ;   in Loop: Header=BB58_48 Depth=2
	s_and_not1_saveexec_b32 s59, s59
	s_cbranch_execz .LBB58_52
; %bb.51:                               ;   in Loop: Header=BB58_48 Depth=2
	v_lshlrev_b64 v[7:8], 3, v[4:5]
	v_sub_nc_u32_e32 v5, v6, v23
	s_or_b32 s18, s18, exec_lo
	s_delay_alu instid0(VALU_DEP_1) | instskip(NEXT) | instid1(VALU_DEP_3)
	v_lshlrev_b32_e32 v10, 3, v5
	v_add_co_u32 v7, vcc_lo, s30, v7
	s_delay_alu instid0(VALU_DEP_4) | instskip(SKIP_4) | instid1(VALU_DEP_1)
	v_add_co_ci_u32_e32 v8, vcc_lo, s31, v8, vcc_lo
	ds_store_b8 v5, v22 offset:16384
	global_load_b64 v[7:8], v[7:8], off
	s_waitcnt vmcnt(0)
	v_mul_f32_e64 v9, v8, -s53
	v_dual_mul_f32 v8, s52, v8 :: v_dual_fmac_f32 v9, s52, v7
	s_delay_alu instid0(VALU_DEP_1)
	v_fmac_f32_e32 v8, s53, v7
	ds_add_f32 v10, v9
	ds_add_f32 v10, v8 offset:4
.LBB58_52:                              ;   in Loop: Header=BB58_48 Depth=2
	s_or_b32 exec_lo, exec_lo, s59
	s_delay_alu instid0(SALU_CYCLE_1)
	s_and_not1_b32 s58, s58, exec_lo
	s_and_b32 s59, s19, exec_lo
	s_mov_b32 s19, -1
	s_or_b32 s58, s58, s59
	s_and_saveexec_b32 s59, s18
	s_cbranch_execz .LBB58_47
; %bb.53:                               ;   in Loop: Header=BB58_48 Depth=2
	v_add_nc_u32_e32 v4, 0x200, v4
	s_and_not1_b32 s58, s58, exec_lo
	s_delay_alu instid0(VALU_DEP_1)
	v_cmp_le_i32_e32 vcc_lo, s55, v4
	s_or_not1_b32 s19, vcc_lo, exec_lo
	s_branch .LBB58_47
.LBB58_54:                              ;   in Loop: Header=BB58_18 Depth=1
	s_or_b32 exec_lo, exec_lo, s56
	s_and_saveexec_b32 s18, s57
	s_delay_alu instid0(SALU_CYCLE_1)
	s_xor_b32 s18, exec_lo, s18
; %bb.55:                               ;   in Loop: Header=BB58_18 Depth=1
	v_min_i32_e32 v25, v6, v25
; %bb.56:                               ;   in Loop: Header=BB58_18 Depth=1
	s_or_b32 exec_lo, exec_lo, s18
.LBB58_57:                              ;   in Loop: Header=BB58_18 Depth=1
	s_delay_alu instid0(SALU_CYCLE_1)
	s_or_b32 exec_lo, exec_lo, s20
.LBB58_58:                              ;   in Loop: Header=BB58_18 Depth=1
	ds_bpermute_b32 v4, v15, v25
	s_waitcnt lgkmcnt(0)
	v_min_i32_e32 v4, v4, v25
	ds_bpermute_b32 v5, v16, v4
	s_waitcnt lgkmcnt(0)
	v_min_i32_e32 v4, v5, v4
	;; [unrolled: 3-line block ×3, first 2 shown]
	ds_bpermute_b32 v5, v18, v4
	s_and_saveexec_b32 s18, s1
	s_cbranch_execz .LBB58_63
; %bb.59:                               ;   in Loop: Header=BB58_18 Depth=1
	s_waitcnt lgkmcnt(0)
	v_min_i32_e32 v4, v5, v4
	s_mov_b32 s20, exec_lo
	s_brev_b32 s19, -2
.LBB58_60:                              ;   Parent Loop BB58_18 Depth=1
                                        ; =>  This Inner Loop Header: Depth=2
	s_ctz_i32_b32 s55, s20
	s_delay_alu instid0(VALU_DEP_1) | instid1(SALU_CYCLE_1)
	v_readlane_b32 s56, v4, s55
	s_lshl_b32 s55, 1, s55
	s_delay_alu instid0(SALU_CYCLE_1) | instskip(NEXT) | instid1(VALU_DEP_1)
	s_and_not1_b32 s20, s20, s55
	s_min_i32 s19, s19, s56
	s_cmp_lg_u32 s20, 0
	s_cbranch_scc1 .LBB58_60
; %bb.61:                               ;   in Loop: Header=BB58_18 Depth=1
	v_mbcnt_lo_u32_b32 v4, exec_lo, 0
	s_mov_b32 s20, exec_lo
	s_delay_alu instid0(VALU_DEP_1)
	v_cmpx_eq_u32_e32 0, v4
	s_xor_b32 s20, exec_lo, s20
	s_cbranch_execz .LBB58_63
; %bb.62:                               ;   in Loop: Header=BB58_18 Depth=1
	v_mov_b32_e32 v4, s19
	ds_min_i32 v2, v4 offset:18432
.LBB58_63:                              ;   in Loop: Header=BB58_18 Depth=1
	s_or_b32 exec_lo, exec_lo, s18
	v_mov_b32_e32 v6, v0
	v_mov_b32_e32 v7, v20
	s_mov_b32 s18, 0
	s_waitcnt lgkmcnt(0)
	s_waitcnt_vscnt null, 0x0
	s_barrier
	buffer_gl0_inv
	s_branch .LBB58_65
.LBB58_64:                              ;   in Loop: Header=BB58_65 Depth=2
	s_or_b32 exec_lo, exec_lo, s19
	s_waitcnt lgkmcnt(0)
	s_waitcnt_vscnt null, 0x0
	s_barrier
	buffer_gl0_inv
	ds_load_b32 v4, v2 offset:60
	v_add_nc_u32_e32 v7, 0x200, v7
	v_add_nc_u32_e32 v6, 0x1000, v6
	s_delay_alu instid0(VALU_DEP_2)
	v_cmp_lt_u32_e32 vcc_lo, 0x5ff, v7
	s_or_b32 s18, vcc_lo, s18
	s_waitcnt lgkmcnt(0)
	v_add_nc_u32_e32 v21, v4, v21
	s_and_not1_b32 exec_lo, exec_lo, s18
	s_cbranch_execz .LBB58_17
.LBB58_65:                              ;   Parent Loop BB58_18 Depth=1
                                        ; =>  This Inner Loop Header: Depth=2
	ds_load_u8 v31, v7 offset:16896
	ds_load_b64 v[4:5], v6
	s_waitcnt lgkmcnt(0)
	s_barrier
	buffer_gl0_inv
	v_cmp_ne_u16_e32 vcc_lo, 0, v31
	s_bcnt1_i32_b32 s19, vcc_lo
	v_and_b32_e32 v32, vcc_lo, v1
	v_mov_b32_e32 v8, s19
	s_mov_b32 s19, exec_lo
	ds_store_b32 v19, v8
	s_waitcnt lgkmcnt(0)
	s_barrier
	buffer_gl0_inv
	ds_load_b128 v[8:11], v2
	ds_load_b128 v[23:26], v2 offset:16
	ds_load_b128 v[27:30], v2 offset:32
	s_waitcnt lgkmcnt(2)
	v_cndmask_b32_e64 v8, v8, 0, s3
	v_cndmask_b32_e64 v33, v9, 0, s4
	v_cndmask_b32_e64 v34, v10, 0, s5
	v_cndmask_b32_e64 v11, v11, 0, s6
	s_waitcnt lgkmcnt(1)
	v_cndmask_b32_e64 v23, v23, 0, s7
	v_bcnt_u32_b32 v32, v32, v8
	ds_load_b96 v[8:10], v2 offset:48
	v_cndmask_b32_e64 v24, v24, 0, s8
	v_cndmask_b32_e64 v25, v25, 0, s9
	v_add3_u32 v32, v32, v33, v34
	s_delay_alu instid0(VALU_DEP_1) | instskip(SKIP_3) | instid1(VALU_DEP_3)
	v_add3_u32 v11, v32, v11, v23
	v_cndmask_b32_e64 v23, v26, 0, s10
	s_waitcnt lgkmcnt(1)
	v_cndmask_b32_e64 v26, v27, 0, s11
	v_add3_u32 v11, v11, v24, v25
	v_cndmask_b32_e64 v24, v28, 0, s12
	v_cndmask_b32_e64 v25, v29, 0, s13
	s_delay_alu instid0(VALU_DEP_3)
	v_add3_u32 v11, v11, v23, v26
	v_cndmask_b32_e64 v23, v30, 0, s14
	s_waitcnt lgkmcnt(0)
	v_cndmask_b32_e64 v8, v8, 0, s15
	v_cndmask_b32_e64 v9, v9, 0, s16
	;; [unrolled: 1-line block ×3, first 2 shown]
	v_add3_u32 v11, v11, v24, v25
	s_delay_alu instid0(VALU_DEP_1) | instskip(SKIP_1) | instid1(VALU_DEP_2)
	v_add3_u32 v8, v11, v23, v8
	v_and_b32_e32 v11, 1, v31
	v_add3_u32 v8, v8, v9, v10
	s_delay_alu instid0(VALU_DEP_2)
	v_cmpx_eq_u32_e32 1, v11
	s_cbranch_execz .LBB58_67
; %bb.66:                               ;   in Loop: Header=BB58_65 Depth=2
	s_delay_alu instid0(VALU_DEP_2) | instskip(NEXT) | instid1(VALU_DEP_1)
	v_add_nc_u32_e32 v9, v8, v21
	v_ashrrev_i32_e32 v10, 31, v9
	s_delay_alu instid0(VALU_DEP_1) | instskip(NEXT) | instid1(VALU_DEP_1)
	v_lshlrev_b64 v[9:10], 3, v[9:10]
	v_add_co_u32 v9, vcc_lo, s54, v9
	s_delay_alu instid0(VALU_DEP_2)
	v_add_co_ci_u32_e32 v10, vcc_lo, s21, v10, vcc_lo
	global_store_b64 v[9:10], v[4:5], off
.LBB58_67:                              ;   in Loop: Header=BB58_65 Depth=2
	s_or_b32 exec_lo, exec_lo, s19
	s_and_saveexec_b32 s19, s2
	s_cbranch_execz .LBB58_64
; %bb.68:                               ;   in Loop: Header=BB58_65 Depth=2
	ds_store_b32 v2, v8 offset:60
	s_branch .LBB58_64
.LBB58_69:
	s_endpgm
	.section	.rodata,"a",@progbits
	.p2align	6, 0x0
	.amdhsa_kernel _ZN9rocsparseL51csrgemm_numeric_fill_block_per_row_multipass_kernelILj512ELj16ELj2048ELj32Eii21rocsparse_complex_numIfEEEvT4_PKS3_S5_NS_24const_host_device_scalarIT5_EEPKT3_S5_PKS7_SB_S5_SD_S8_SB_S5_SD_SB_S5_PS7_PS9_21rocsparse_index_base_SG_SG_SG_bbb
		.amdhsa_group_segment_fixed_size 18436
		.amdhsa_private_segment_fixed_size 0
		.amdhsa_kernarg_size 164
		.amdhsa_user_sgpr_count 15
		.amdhsa_user_sgpr_dispatch_ptr 0
		.amdhsa_user_sgpr_queue_ptr 0
		.amdhsa_user_sgpr_kernarg_segment_ptr 1
		.amdhsa_user_sgpr_dispatch_id 0
		.amdhsa_user_sgpr_private_segment_size 0
		.amdhsa_wavefront_size32 1
		.amdhsa_uses_dynamic_stack 0
		.amdhsa_enable_private_segment 0
		.amdhsa_system_sgpr_workgroup_id_x 1
		.amdhsa_system_sgpr_workgroup_id_y 0
		.amdhsa_system_sgpr_workgroup_id_z 0
		.amdhsa_system_sgpr_workgroup_info 0
		.amdhsa_system_vgpr_workitem_id 0
		.amdhsa_next_free_vgpr 35
		.amdhsa_next_free_sgpr 63
		.amdhsa_reserve_vcc 1
		.amdhsa_float_round_mode_32 0
		.amdhsa_float_round_mode_16_64 0
		.amdhsa_float_denorm_mode_32 3
		.amdhsa_float_denorm_mode_16_64 3
		.amdhsa_dx10_clamp 1
		.amdhsa_ieee_mode 1
		.amdhsa_fp16_overflow 0
		.amdhsa_workgroup_processor_mode 1
		.amdhsa_memory_ordered 1
		.amdhsa_forward_progress 0
		.amdhsa_shared_vgpr_count 0
		.amdhsa_exception_fp_ieee_invalid_op 0
		.amdhsa_exception_fp_denorm_src 0
		.amdhsa_exception_fp_ieee_div_zero 0
		.amdhsa_exception_fp_ieee_overflow 0
		.amdhsa_exception_fp_ieee_underflow 0
		.amdhsa_exception_fp_ieee_inexact 0
		.amdhsa_exception_int_div_zero 0
	.end_amdhsa_kernel
	.section	.text._ZN9rocsparseL51csrgemm_numeric_fill_block_per_row_multipass_kernelILj512ELj16ELj2048ELj32Eii21rocsparse_complex_numIfEEEvT4_PKS3_S5_NS_24const_host_device_scalarIT5_EEPKT3_S5_PKS7_SB_S5_SD_S8_SB_S5_SD_SB_S5_PS7_PS9_21rocsparse_index_base_SG_SG_SG_bbb,"axG",@progbits,_ZN9rocsparseL51csrgemm_numeric_fill_block_per_row_multipass_kernelILj512ELj16ELj2048ELj32Eii21rocsparse_complex_numIfEEEvT4_PKS3_S5_NS_24const_host_device_scalarIT5_EEPKT3_S5_PKS7_SB_S5_SD_S8_SB_S5_SD_SB_S5_PS7_PS9_21rocsparse_index_base_SG_SG_SG_bbb,comdat
.Lfunc_end58:
	.size	_ZN9rocsparseL51csrgemm_numeric_fill_block_per_row_multipass_kernelILj512ELj16ELj2048ELj32Eii21rocsparse_complex_numIfEEEvT4_PKS3_S5_NS_24const_host_device_scalarIT5_EEPKT3_S5_PKS7_SB_S5_SD_S8_SB_S5_SD_SB_S5_PS7_PS9_21rocsparse_index_base_SG_SG_SG_bbb, .Lfunc_end58-_ZN9rocsparseL51csrgemm_numeric_fill_block_per_row_multipass_kernelILj512ELj16ELj2048ELj32Eii21rocsparse_complex_numIfEEEvT4_PKS3_S5_NS_24const_host_device_scalarIT5_EEPKT3_S5_PKS7_SB_S5_SD_S8_SB_S5_SD_SB_S5_PS7_PS9_21rocsparse_index_base_SG_SG_SG_bbb
                                        ; -- End function
	.section	.AMDGPU.csdata,"",@progbits
; Kernel info:
; codeLenInByte = 2908
; NumSgprs: 65
; NumVgprs: 35
; ScratchSize: 0
; MemoryBound: 0
; FloatMode: 240
; IeeeMode: 1
; LDSByteSize: 18436 bytes/workgroup (compile time only)
; SGPRBlocks: 8
; VGPRBlocks: 4
; NumSGPRsForWavesPerEU: 65
; NumVGPRsForWavesPerEU: 35
; Occupancy: 16
; WaveLimiterHint : 1
; COMPUTE_PGM_RSRC2:SCRATCH_EN: 0
; COMPUTE_PGM_RSRC2:USER_SGPR: 15
; COMPUTE_PGM_RSRC2:TRAP_HANDLER: 0
; COMPUTE_PGM_RSRC2:TGID_X_EN: 1
; COMPUTE_PGM_RSRC2:TGID_Y_EN: 0
; COMPUTE_PGM_RSRC2:TGID_Z_EN: 0
; COMPUTE_PGM_RSRC2:TIDIG_COMP_CNT: 0
	.section	.text._ZN9rocsparseL51csrgemm_numeric_fill_block_per_row_multipass_kernelILj512ELj16ELj2048ELj64Eii21rocsparse_complex_numIfEEEvT4_PKS3_S5_NS_24const_host_device_scalarIT5_EEPKT3_S5_PKS7_SB_S5_SD_S8_SB_S5_SD_SB_S5_PS7_PS9_21rocsparse_index_base_SG_SG_SG_bbb,"axG",@progbits,_ZN9rocsparseL51csrgemm_numeric_fill_block_per_row_multipass_kernelILj512ELj16ELj2048ELj64Eii21rocsparse_complex_numIfEEEvT4_PKS3_S5_NS_24const_host_device_scalarIT5_EEPKT3_S5_PKS7_SB_S5_SD_S8_SB_S5_SD_SB_S5_PS7_PS9_21rocsparse_index_base_SG_SG_SG_bbb,comdat
	.globl	_ZN9rocsparseL51csrgemm_numeric_fill_block_per_row_multipass_kernelILj512ELj16ELj2048ELj64Eii21rocsparse_complex_numIfEEEvT4_PKS3_S5_NS_24const_host_device_scalarIT5_EEPKT3_S5_PKS7_SB_S5_SD_S8_SB_S5_SD_SB_S5_PS7_PS9_21rocsparse_index_base_SG_SG_SG_bbb ; -- Begin function _ZN9rocsparseL51csrgemm_numeric_fill_block_per_row_multipass_kernelILj512ELj16ELj2048ELj64Eii21rocsparse_complex_numIfEEEvT4_PKS3_S5_NS_24const_host_device_scalarIT5_EEPKT3_S5_PKS7_SB_S5_SD_S8_SB_S5_SD_SB_S5_PS7_PS9_21rocsparse_index_base_SG_SG_SG_bbb
	.p2align	8
	.type	_ZN9rocsparseL51csrgemm_numeric_fill_block_per_row_multipass_kernelILj512ELj16ELj2048ELj64Eii21rocsparse_complex_numIfEEEvT4_PKS3_S5_NS_24const_host_device_scalarIT5_EEPKT3_S5_PKS7_SB_S5_SD_S8_SB_S5_SD_SB_S5_PS7_PS9_21rocsparse_index_base_SG_SG_SG_bbb,@function
_ZN9rocsparseL51csrgemm_numeric_fill_block_per_row_multipass_kernelILj512ELj16ELj2048ELj64Eii21rocsparse_complex_numIfEEEvT4_PKS3_S5_NS_24const_host_device_scalarIT5_EEPKT3_S5_PKS7_SB_S5_SD_S8_SB_S5_SD_SB_S5_PS7_PS9_21rocsparse_index_base_SG_SG_SG_bbb: ; @_ZN9rocsparseL51csrgemm_numeric_fill_block_per_row_multipass_kernelILj512ELj16ELj2048ELj64Eii21rocsparse_complex_numIfEEEvT4_PKS3_S5_NS_24const_host_device_scalarIT5_EEPKT3_S5_PKS7_SB_S5_SD_S8_SB_S5_SD_SB_S5_PS7_PS9_21rocsparse_index_base_SG_SG_SG_bbb
; %bb.0:
	s_clause 0x6
	s_load_b32 s10, s[0:1], 0xa0
	s_load_b256 s[16:23], s[0:1], 0x80
	s_load_b64 s[2:3], s[0:1], 0x70
	s_load_b128 s[44:47], s[0:1], 0x60
	s_load_b256 s[24:31], s[0:1], 0x40
	s_load_b128 s[4:7], s[0:1], 0x8
	s_load_b256 s[36:43], s[0:1], 0x20
	s_mov_b32 s13, 0
	s_mov_b32 s33, 0
	s_waitcnt lgkmcnt(0)
	s_bitcmp1_b32 s10, 0
	s_cselect_b32 s8, -1, 0
	s_bitcmp1_b32 s10, 16
	s_cselect_b32 s9, -1, 0
	s_delay_alu instid0(SALU_CYCLE_1)
	s_xor_b32 s9, s9, -1
	s_bitcmp0_b32 s10, 0
	s_cbranch_scc1 .LBB59_5
; %bb.1:
	s_load_b64 s[12:13], s[0:1], 0x18
	s_and_not1_b32 vcc_lo, exec_lo, s9
	s_waitcnt lgkmcnt(0)
	s_mov_b32 s33, s12
	s_cbranch_vccnz .LBB59_3
; %bb.2:
	s_load_b32 s33, s[12:13], 0x0
.LBB59_3:
	s_and_not1_b32 vcc_lo, exec_lo, s9
	s_cbranch_vccnz .LBB59_5
; %bb.4:
	s_load_b32 s13, s[12:13], 0x4
.LBB59_5:
	s_bitcmp1_b32 s10, 8
	s_mov_b32 s48, 0
	s_cselect_b32 s34, -1, 0
	s_bfe_u32 s10, s10, 0x10008
	s_mov_b32 s35, 0
	s_cmp_eq_u32 s10, 0
	s_cbranch_scc1 .LBB59_11
; %bb.6:
	v_cndmask_b32_e64 v1, 0, 1, s9
	s_and_not1_b32 vcc_lo, exec_lo, s9
	s_mov_b32 s35, s28
	s_cbranch_vccnz .LBB59_8
; %bb.7:
	s_load_b32 s35, s[28:29], 0x0
.LBB59_8:
	s_delay_alu instid0(VALU_DEP_1)
	v_cmp_ne_u32_e32 vcc_lo, 1, v1
	s_cbranch_vccnz .LBB59_10
; %bb.9:
	s_load_b32 s29, s[28:29], 0x4
.LBB59_10:
	s_waitcnt lgkmcnt(0)
	s_mov_b32 s48, s29
.LBB59_11:
	s_load_b32 s4, s[4:5], 0x0
	s_waitcnt lgkmcnt(0)
	s_add_i32 s14, s4, s15
	s_mov_b32 s15, 0
	s_delay_alu instid0(SALU_CYCLE_1) | instskip(NEXT) | instid1(SALU_CYCLE_1)
	s_lshl_b64 s[4:5], s[14:15], 2
	s_add_u32 s4, s6, s4
	s_addc_u32 s5, s7, s5
	s_and_not1_b32 vcc_lo, exec_lo, s8
	s_load_b32 s4, s[4:5], 0x0
	s_mov_b32 s6, 0
	s_cbranch_vccz .LBB59_14
; %bb.12:
	s_and_not1_b32 vcc_lo, exec_lo, s8
	s_cbranch_vccz .LBB59_15
.LBB59_13:
	s_load_b32 s14, s[0:1], 0x0
	s_waitcnt lgkmcnt(0)
	s_cmp_lt_i32 s14, 1
	s_cbranch_scc0 .LBB59_16
	s_branch .LBB59_69
.LBB59_14:
	s_waitcnt lgkmcnt(0)
	s_ashr_i32 s5, s4, 31
	s_delay_alu instid0(SALU_CYCLE_1) | instskip(NEXT) | instid1(SALU_CYCLE_1)
	s_lshl_b64 s[6:7], s[4:5], 2
	s_add_u32 s6, s36, s6
	s_addc_u32 s7, s37, s7
	s_load_b32 s5, s[6:7], 0x0
	s_waitcnt lgkmcnt(0)
	s_sub_i32 s6, s5, s20
	s_and_not1_b32 vcc_lo, exec_lo, s8
	s_cbranch_vccnz .LBB59_13
.LBB59_15:
	s_waitcnt lgkmcnt(0)
	s_ashr_i32 s5, s4, 31
	s_delay_alu instid0(SALU_CYCLE_1) | instskip(NEXT) | instid1(SALU_CYCLE_1)
	s_lshl_b64 s[10:11], s[4:5], 2
	s_add_u32 s10, s36, s10
	s_addc_u32 s11, s37, s11
	s_load_b32 s5, s[10:11], 0x4
	s_waitcnt lgkmcnt(0)
	s_sub_i32 s15, s5, s20
	s_load_b32 s14, s[0:1], 0x0
	s_waitcnt lgkmcnt(0)
	s_cmp_lt_i32 s14, 1
	s_cbranch_scc1 .LBB59_69
.LBB59_16:
	v_mbcnt_lo_u32_b32 v1, -1, 0
	s_ashr_i32 s5, s4, 31
	v_lshrrev_b32_e32 v3, 4, v0
	s_lshl_b64 s[4:5], s[4:5], 2
	v_subrev_nc_u32_e32 v13, s23, v0
	v_xor_b32_e32 v2, 8, v1
	s_add_u32 s0, s2, s4
	v_xor_b32_e32 v4, 4, v1
	v_xor_b32_e32 v5, 2, v1
	s_addc_u32 s1, s3, s5
	v_cmp_gt_i32_e64 s2, 32, v2
	v_xor_b32_e32 v6, 1, v1
	s_load_b32 s3, s[0:1], 0x0
	v_xor_b32_e32 v7, 63, v1
	v_dual_mov_b32 v22, 1 :: v_dual_and_b32 v19, 28, v3
	v_cndmask_b32_e64 v2, v1, v2, s2
	v_cmp_gt_i32_e64 s2, 32, v4
	v_cmp_eq_u32_e64 s0, 0, v0
	v_cmp_gt_u32_e64 s7, 0x140, v0
	v_cmp_gt_u32_e64 s9, 0x1c0, v0
	v_lshlrev_b32_e32 v15, 2, v2
	v_cndmask_b32_e64 v4, v1, v4, s2
	v_cmp_gt_i32_e64 s2, 32, v5
	v_or_b32_e32 v20, 0xfffffe00, v0
	v_mov_b32_e32 v24, 0x800
	s_delay_alu instid0(VALU_DEP_3) | instskip(SKIP_3) | instid1(SALU_CYCLE_1)
	v_cndmask_b32_e64 v5, v1, v5, s2
	v_cmp_gt_i32_e64 s2, 32, v6
	s_waitcnt lgkmcnt(0)
	s_sub_i32 s10, s3, s22
	v_dual_mov_b32 v21, s10 :: v_dual_and_b32 v12, 15, v0
	s_delay_alu instid0(VALU_DEP_2) | instskip(SKIP_2) | instid1(VALU_DEP_2)
	v_cndmask_b32_e64 v1, v1, v6, s2
	s_add_u32 s28, s30, s4
	s_addc_u32 s29, s31, s5
	v_cmp_eq_u32_e64 s1, 15, v12
	v_lshlrev_b32_e32 v17, 2, v5
	v_lshlrev_b32_e32 v18, 2, v1
	v_lshrrev_b64 v[1:2], v7, -1
	v_mov_b32_e32 v2, 0
	v_add_nc_u32_e32 v14, s6, v3
	v_lshlrev_b32_e32 v16, 2, v4
	v_cmp_eq_u32_e64 s2, 0x1ff, v0
	v_cmp_gt_u32_e64 s3, 64, v0
	v_mov_b32_e32 v23, v2
	v_mov_b32_e32 v3, v2
	v_cmp_gt_i32_e32 vcc_lo, s15, v14
	v_cmp_gt_u32_e64 s4, 0x80, v0
	v_cmp_gt_u32_e64 s5, 0xc0, v0
	;; [unrolled: 1-line block ×3, first 2 shown]
	s_and_b32 s22, s8, vcc_lo
	v_cmp_gt_u32_e64 s8, 0x180, v0
	s_add_u32 s30, s42, 4
	v_lshlrev_b32_e32 v0, 3, v0
	s_addc_u32 s31, s43, 0
	s_add_u32 s16, s16, -8
	s_addc_u32 s17, s17, -1
	s_branch .LBB59_18
.LBB59_17:                              ;   in Loop: Header=BB59_18 Depth=1
	s_or_b32 exec_lo, exec_lo, s10
	ds_load_b32 v23, v2 offset:18432
	s_waitcnt lgkmcnt(0)
	s_barrier
	buffer_gl0_inv
	v_cmp_le_i32_e32 vcc_lo, s14, v23
	v_add_nc_u32_e32 v24, 0x800, v23
	s_cbranch_vccnz .LBB59_69
.LBB59_18:                              ; =>This Loop Header: Depth=1
                                        ;     Child Loop BB59_19 Depth 2
                                        ;     Child Loop BB59_25 Depth 2
                                        ;       Child Loop BB59_31 Depth 3
                                        ;     Child Loop BB59_48 Depth 2
                                        ;     Child Loop BB59_60 Depth 2
	;; [unrolled: 1-line block ×3, first 2 shown]
	v_mov_b32_e32 v4, v0
	v_mov_b32_e32 v5, v20
	s_mov_b32 s10, 0
.LBB59_19:                              ;   Parent Loop BB59_18 Depth=1
                                        ; =>  This Inner Loop Header: Depth=2
	ds_store_b8 v5, v2 offset:16896
	v_add_nc_u32_e32 v5, 0x200, v5
	ds_store_b64 v4, v[2:3]
	v_add_nc_u32_e32 v4, 0x1000, v4
	v_cmp_lt_u32_e32 vcc_lo, 0x5ff, v5
	s_or_b32 s10, vcc_lo, s10
	s_delay_alu instid0(SALU_CYCLE_1)
	s_and_not1_b32 exec_lo, exec_lo, s10
	s_cbranch_execnz .LBB59_19
; %bb.20:                               ;   in Loop: Header=BB59_18 Depth=1
	s_or_b32 exec_lo, exec_lo, s10
	s_and_saveexec_b32 s10, s0
	s_cbranch_execz .LBB59_22
; %bb.21:                               ;   in Loop: Header=BB59_18 Depth=1
	v_mov_b32_e32 v4, s14
	ds_store_b32 v2, v4 offset:18432
.LBB59_22:                              ;   in Loop: Header=BB59_18 Depth=1
	s_or_b32 exec_lo, exec_lo, s10
	v_mov_b32_e32 v25, s14
	s_waitcnt lgkmcnt(0)
	s_barrier
	buffer_gl0_inv
	s_and_saveexec_b32 s36, s22
	s_cbranch_execz .LBB59_44
; %bb.23:                               ;   in Loop: Header=BB59_18 Depth=1
	v_cmp_ne_u32_e64 s10, 0, v23
	v_dual_mov_b32 v25, s14 :: v_dual_mov_b32 v4, v14
	s_mov_b32 s37, 0
	s_branch .LBB59_25
.LBB59_24:                              ;   in Loop: Header=BB59_25 Depth=2
	s_or_b32 exec_lo, exec_lo, s11
	v_add_nc_u32_e32 v4, 32, v4
	s_delay_alu instid0(VALU_DEP_1) | instskip(SKIP_1) | instid1(SALU_CYCLE_1)
	v_cmp_le_i32_e32 vcc_lo, s15, v4
	s_or_b32 s37, vcc_lo, s37
	s_and_not1_b32 exec_lo, exec_lo, s37
	s_cbranch_execz .LBB59_43
.LBB59_25:                              ;   Parent Loop BB59_18 Depth=1
                                        ; =>  This Loop Header: Depth=2
                                        ;       Child Loop BB59_31 Depth 3
	s_delay_alu instid0(VALU_DEP_1) | instskip(NEXT) | instid1(VALU_DEP_1)
	v_ashrrev_i32_e32 v5, 31, v4
	v_lshlrev_b64 v[6:7], 2, v[4:5]
	v_lshlrev_b64 v[10:11], 3, v[4:5]
	s_waitcnt lgkmcnt(0)
	s_delay_alu instid0(VALU_DEP_2) | instskip(NEXT) | instid1(VALU_DEP_3)
	v_add_co_u32 v8, vcc_lo, s38, v6
	v_add_co_ci_u32_e32 v9, vcc_lo, s39, v7, vcc_lo
	global_load_b32 v5, v[8:9], off
	v_add_co_u32 v8, vcc_lo, s40, v10
	v_add_co_ci_u32_e32 v9, vcc_lo, s41, v11, vcc_lo
	s_and_b32 vcc_lo, exec_lo, s10
	global_load_b64 v[8:9], v[8:9], off
	s_waitcnt vmcnt(1)
	v_subrev_nc_u32_e32 v10, s20, v5
	s_delay_alu instid0(VALU_DEP_1)
	v_ashrrev_i32_e32 v11, 31, v10
	s_cbranch_vccz .LBB59_42
; %bb.26:                               ;   in Loop: Header=BB59_25 Depth=2
	v_add_co_u32 v26, vcc_lo, s18, v6
	v_add_co_ci_u32_e32 v27, vcc_lo, s19, v7, vcc_lo
	global_load_b32 v5, v[26:27], off
	s_cbranch_execnz .LBB59_28
.LBB59_27:                              ;   in Loop: Header=BB59_25 Depth=2
	s_delay_alu instid0(VALU_DEP_1) | instskip(NEXT) | instid1(VALU_DEP_1)
	v_lshlrev_b64 v[26:27], 2, v[10:11]
	v_add_co_u32 v26, vcc_lo, s42, v26
	s_delay_alu instid0(VALU_DEP_2)
	v_add_co_ci_u32_e32 v27, vcc_lo, s43, v27, vcc_lo
	global_load_b32 v5, v[26:27], off
	s_waitcnt vmcnt(0)
	v_subrev_nc_u32_e32 v5, s21, v5
.LBB59_28:                              ;   in Loop: Header=BB59_25 Depth=2
	v_lshlrev_b64 v[10:11], 2, v[10:11]
	s_waitcnt vmcnt(0)
	s_delay_alu instid0(VALU_DEP_2) | instskip(SKIP_1) | instid1(VALU_DEP_2)
	v_add_nc_u32_e32 v5, v5, v12
	s_mov_b32 s49, exec_lo
	v_add_co_u32 v10, vcc_lo, s30, v10
	s_delay_alu instid0(VALU_DEP_3) | instskip(SKIP_3) | instid1(VALU_DEP_1)
	v_add_co_ci_u32_e32 v11, vcc_lo, s31, v11, vcc_lo
	global_load_b32 v10, v[10:11], off
	s_waitcnt vmcnt(0)
	v_subrev_nc_u32_e32 v10, s21, v10
	v_cmpx_lt_i32_e64 v5, v10
	s_cbranch_execz .LBB59_40
; %bb.29:                               ;   in Loop: Header=BB59_25 Depth=2
	v_mul_f32_e64 v11, v9, -s13
	v_mul_f32_e32 v26, s33, v9
	s_mov_b32 s51, 0
                                        ; implicit-def: $sgpr50
                                        ; implicit-def: $sgpr52
	s_delay_alu instid0(VALU_DEP_2) | instskip(NEXT) | instid1(VALU_DEP_2)
	v_fmac_f32_e32 v11, s33, v8
	v_fmac_f32_e32 v26, s13, v8
	v_mov_b32_e32 v8, v5
	s_branch .LBB59_31
.LBB59_30:                              ;   in Loop: Header=BB59_31 Depth=3
	s_or_b32 exec_lo, exec_lo, s12
	s_delay_alu instid0(SALU_CYCLE_1) | instskip(SKIP_4) | instid1(SALU_CYCLE_1)
	s_and_b32 s11, exec_lo, s53
	v_mov_b32_e32 v8, v28
	s_or_b32 s51, s11, s51
	s_and_not1_b32 s11, s50, exec_lo
	s_and_b32 s12, s52, exec_lo
	s_or_b32 s50, s11, s12
	s_and_not1_b32 exec_lo, exec_lo, s51
	s_cbranch_execz .LBB59_37
.LBB59_31:                              ;   Parent Loop BB59_18 Depth=1
                                        ;     Parent Loop BB59_25 Depth=2
                                        ; =>    This Inner Loop Header: Depth=3
	s_delay_alu instid0(VALU_DEP_1) | instskip(NEXT) | instid1(VALU_DEP_1)
	v_ashrrev_i32_e32 v9, 31, v8
	v_lshlrev_b64 v[27:28], 2, v[8:9]
	s_delay_alu instid0(VALU_DEP_1) | instskip(NEXT) | instid1(VALU_DEP_2)
	v_add_co_u32 v27, vcc_lo, s24, v27
	v_add_co_ci_u32_e32 v28, vcc_lo, s25, v28, vcc_lo
	global_load_b32 v27, v[27:28], off
	s_waitcnt vmcnt(0)
	v_subrev_nc_u32_e32 v27, s21, v27
	s_delay_alu instid0(VALU_DEP_1) | instskip(SKIP_2) | instid1(VALU_DEP_2)
	v_cmp_lt_i32_e64 s11, v27, v23
	v_cmp_ge_i32_e64 s12, v27, v24
	v_cmp_lt_i32_e32 vcc_lo, v27, v24
	s_or_b32 s53, s11, s12
	s_mov_b32 s11, 0
                                        ; implicit-def: $sgpr12
	s_and_saveexec_b32 s54, s53
	s_delay_alu instid0(SALU_CYCLE_1)
	s_xor_b32 s53, exec_lo, s54
; %bb.32:                               ;   in Loop: Header=BB59_31 Depth=3
	s_mov_b32 s12, -1
	s_and_b32 s11, vcc_lo, exec_lo
; %bb.33:                               ;   in Loop: Header=BB59_31 Depth=3
	s_and_not1_saveexec_b32 s53, s53
	s_cbranch_execz .LBB59_35
; %bb.34:                               ;   in Loop: Header=BB59_31 Depth=3
	v_lshlrev_b64 v[28:29], 3, v[8:9]
	v_sub_nc_u32_e32 v9, v27, v23
	s_or_b32 s11, s11, exec_lo
	ds_store_b8 v9, v22 offset:16384
	v_add_co_u32 v28, vcc_lo, s26, v28
	v_add_co_ci_u32_e32 v29, vcc_lo, s27, v29, vcc_lo
	global_load_b64 v[28:29], v[28:29], off
	s_waitcnt vmcnt(0)
	v_mul_f32_e64 v30, v29, -v26
	v_mul_f32_e32 v29, v11, v29
	s_delay_alu instid0(VALU_DEP_2) | instskip(NEXT) | instid1(VALU_DEP_2)
	v_dual_fmac_f32 v30, v11, v28 :: v_dual_lshlrev_b32 v31, 3, v9
	v_fmac_f32_e32 v29, v26, v28
	ds_add_f32 v31, v30
	ds_add_f32 v31, v29 offset:4
.LBB59_35:                              ;   in Loop: Header=BB59_31 Depth=3
	s_or_b32 exec_lo, exec_lo, s53
	v_mov_b32_e32 v9, v8
	s_and_not1_b32 s52, s52, exec_lo
	s_and_b32 s12, s12, exec_lo
	s_mov_b32 s53, -1
	s_or_b32 s52, s52, s12
                                        ; implicit-def: $vgpr28
	s_and_saveexec_b32 s12, s11
	s_cbranch_execz .LBB59_30
; %bb.36:                               ;   in Loop: Header=BB59_31 Depth=3
	v_dual_mov_b32 v9, v8 :: v_dual_add_nc_u32 v28, 16, v8
	s_and_not1_b32 s52, s52, exec_lo
	s_delay_alu instid0(VALU_DEP_1)
	v_cmp_ge_i32_e32 vcc_lo, v28, v10
	s_or_not1_b32 s53, vcc_lo, exec_lo
	s_branch .LBB59_30
.LBB59_37:                              ;   in Loop: Header=BB59_25 Depth=2
	s_or_b32 exec_lo, exec_lo, s51
	s_and_saveexec_b32 s11, s50
	s_delay_alu instid0(SALU_CYCLE_1)
	s_xor_b32 s11, exec_lo, s11
; %bb.38:                               ;   in Loop: Header=BB59_25 Depth=2
	v_min_i32_e32 v25, v27, v25
	v_mov_b32_e32 v5, v9
; %bb.39:                               ;   in Loop: Header=BB59_25 Depth=2
	s_or_b32 exec_lo, exec_lo, s11
.LBB59_40:                              ;   in Loop: Header=BB59_25 Depth=2
	s_delay_alu instid0(SALU_CYCLE_1)
	s_or_b32 exec_lo, exec_lo, s49
	ds_bpermute_b32 v8, v15, v5
	s_waitcnt lgkmcnt(0)
	v_min_i32_e32 v5, v8, v5
	ds_bpermute_b32 v8, v16, v5
	s_waitcnt lgkmcnt(0)
	v_min_i32_e32 v5, v8, v5
	;; [unrolled: 3-line block ×3, first 2 shown]
	ds_bpermute_b32 v8, v18, v5
	s_and_saveexec_b32 s11, s1
	s_cbranch_execz .LBB59_24
; %bb.41:                               ;   in Loop: Header=BB59_25 Depth=2
	s_waitcnt lgkmcnt(0)
	v_min_i32_e32 v8, v8, v5
	v_add_co_u32 v5, vcc_lo, s18, v6
	v_add_co_ci_u32_e32 v6, vcc_lo, s19, v7, vcc_lo
	global_store_b32 v[5:6], v8, off
	s_branch .LBB59_24
.LBB59_42:                              ;   in Loop: Header=BB59_25 Depth=2
                                        ; implicit-def: $vgpr5
	s_branch .LBB59_27
.LBB59_43:                              ;   in Loop: Header=BB59_18 Depth=1
	s_or_b32 exec_lo, exec_lo, s37
.LBB59_44:                              ;   in Loop: Header=BB59_18 Depth=1
	s_delay_alu instid0(SALU_CYCLE_1) | instskip(NEXT) | instid1(SALU_CYCLE_1)
	s_or_b32 exec_lo, exec_lo, s36
	s_and_not1_b32 vcc_lo, exec_lo, s34
	s_cbranch_vccnz .LBB59_58
; %bb.45:                               ;   in Loop: Header=BB59_18 Depth=1
	s_load_b64 s[10:11], s[28:29], 0x0
	s_mov_b32 s12, exec_lo
	s_waitcnt lgkmcnt(0)
	v_add_nc_u32_e32 v4, s10, v13
	s_sub_i32 s36, s11, s23
	s_delay_alu instid0(VALU_DEP_1) | instid1(SALU_CYCLE_1)
	v_cmpx_gt_i32_e64 s36, v4
	s_cbranch_execz .LBB59_57
; %bb.46:                               ;   in Loop: Header=BB59_18 Depth=1
	s_mov_b32 s37, 0
                                        ; implicit-def: $sgpr49
                                        ; implicit-def: $sgpr50
	s_branch .LBB59_48
.LBB59_47:                              ;   in Loop: Header=BB59_48 Depth=2
	s_or_b32 exec_lo, exec_lo, s51
	s_delay_alu instid0(SALU_CYCLE_1) | instskip(NEXT) | instid1(SALU_CYCLE_1)
	s_and_b32 s10, exec_lo, s11
	s_or_b32 s37, s10, s37
	s_and_not1_b32 s10, s49, exec_lo
	s_and_b32 s11, s50, exec_lo
	s_delay_alu instid0(SALU_CYCLE_1)
	s_or_b32 s49, s10, s11
	s_and_not1_b32 exec_lo, exec_lo, s37
	s_cbranch_execz .LBB59_54
.LBB59_48:                              ;   Parent Loop BB59_18 Depth=1
                                        ; =>  This Inner Loop Header: Depth=2
	v_ashrrev_i32_e32 v5, 31, v4
	s_delay_alu instid0(VALU_DEP_1) | instskip(NEXT) | instid1(VALU_DEP_1)
	v_lshlrev_b64 v[6:7], 2, v[4:5]
	v_add_co_u32 v6, vcc_lo, s44, v6
	s_delay_alu instid0(VALU_DEP_2) | instskip(SKIP_3) | instid1(VALU_DEP_1)
	v_add_co_ci_u32_e32 v7, vcc_lo, s45, v7, vcc_lo
	global_load_b32 v6, v[6:7], off
	s_waitcnt vmcnt(0)
	v_subrev_nc_u32_e32 v6, s23, v6
	v_cmp_lt_i32_e64 s10, v6, v23
	v_cmp_ge_i32_e64 s11, v6, v24
	v_cmp_lt_i32_e32 vcc_lo, v6, v24
	s_delay_alu instid0(VALU_DEP_2) | instskip(SKIP_2) | instid1(SALU_CYCLE_1)
	s_or_b32 s51, s10, s11
	s_mov_b32 s10, 0
                                        ; implicit-def: $sgpr11
	s_and_saveexec_b32 s52, s51
	s_xor_b32 s51, exec_lo, s52
; %bb.49:                               ;   in Loop: Header=BB59_48 Depth=2
	s_mov_b32 s11, -1
	s_and_b32 s10, vcc_lo, exec_lo
; %bb.50:                               ;   in Loop: Header=BB59_48 Depth=2
	s_and_not1_saveexec_b32 s51, s51
	s_cbranch_execz .LBB59_52
; %bb.51:                               ;   in Loop: Header=BB59_48 Depth=2
	v_lshlrev_b64 v[7:8], 3, v[4:5]
	v_sub_nc_u32_e32 v5, v6, v23
	s_or_b32 s10, s10, exec_lo
	s_delay_alu instid0(VALU_DEP_1) | instskip(NEXT) | instid1(VALU_DEP_3)
	v_lshlrev_b32_e32 v10, 3, v5
	v_add_co_u32 v7, vcc_lo, s46, v7
	s_delay_alu instid0(VALU_DEP_4) | instskip(SKIP_4) | instid1(VALU_DEP_1)
	v_add_co_ci_u32_e32 v8, vcc_lo, s47, v8, vcc_lo
	ds_store_b8 v5, v22 offset:16384
	global_load_b64 v[7:8], v[7:8], off
	s_waitcnt vmcnt(0)
	v_mul_f32_e64 v9, v8, -s48
	v_dual_mul_f32 v8, s35, v8 :: v_dual_fmac_f32 v9, s35, v7
	s_delay_alu instid0(VALU_DEP_1)
	v_fmac_f32_e32 v8, s48, v7
	ds_add_f32 v10, v9
	ds_add_f32 v10, v8 offset:4
.LBB59_52:                              ;   in Loop: Header=BB59_48 Depth=2
	s_or_b32 exec_lo, exec_lo, s51
	s_delay_alu instid0(SALU_CYCLE_1)
	s_and_not1_b32 s50, s50, exec_lo
	s_and_b32 s51, s11, exec_lo
	s_mov_b32 s11, -1
	s_or_b32 s50, s50, s51
	s_and_saveexec_b32 s51, s10
	s_cbranch_execz .LBB59_47
; %bb.53:                               ;   in Loop: Header=BB59_48 Depth=2
	v_add_nc_u32_e32 v4, 0x200, v4
	s_and_not1_b32 s50, s50, exec_lo
	s_delay_alu instid0(VALU_DEP_1)
	v_cmp_le_i32_e32 vcc_lo, s36, v4
	s_or_not1_b32 s11, vcc_lo, exec_lo
	s_branch .LBB59_47
.LBB59_54:                              ;   in Loop: Header=BB59_18 Depth=1
	s_or_b32 exec_lo, exec_lo, s37
	s_and_saveexec_b32 s10, s49
	s_delay_alu instid0(SALU_CYCLE_1)
	s_xor_b32 s10, exec_lo, s10
; %bb.55:                               ;   in Loop: Header=BB59_18 Depth=1
	v_min_i32_e32 v25, v6, v25
; %bb.56:                               ;   in Loop: Header=BB59_18 Depth=1
	s_or_b32 exec_lo, exec_lo, s10
.LBB59_57:                              ;   in Loop: Header=BB59_18 Depth=1
	s_delay_alu instid0(SALU_CYCLE_1)
	s_or_b32 exec_lo, exec_lo, s12
.LBB59_58:                              ;   in Loop: Header=BB59_18 Depth=1
	ds_bpermute_b32 v4, v15, v25
	s_waitcnt lgkmcnt(0)
	v_min_i32_e32 v4, v4, v25
	ds_bpermute_b32 v5, v16, v4
	s_waitcnt lgkmcnt(0)
	v_min_i32_e32 v4, v5, v4
	;; [unrolled: 3-line block ×3, first 2 shown]
	ds_bpermute_b32 v5, v18, v4
	s_and_saveexec_b32 s10, s1
	s_cbranch_execz .LBB59_63
; %bb.59:                               ;   in Loop: Header=BB59_18 Depth=1
	s_waitcnt lgkmcnt(0)
	v_min_i32_e32 v4, v5, v4
	s_mov_b32 s12, exec_lo
	s_brev_b32 s11, -2
.LBB59_60:                              ;   Parent Loop BB59_18 Depth=1
                                        ; =>  This Inner Loop Header: Depth=2
	s_ctz_i32_b32 s36, s12
	s_delay_alu instid0(VALU_DEP_1) | instid1(SALU_CYCLE_1)
	v_readlane_b32 s37, v4, s36
	s_lshl_b32 s36, 1, s36
	s_delay_alu instid0(SALU_CYCLE_1) | instskip(NEXT) | instid1(VALU_DEP_1)
	s_and_not1_b32 s12, s12, s36
	s_min_i32 s11, s11, s37
	s_cmp_lg_u32 s12, 0
	s_cbranch_scc1 .LBB59_60
; %bb.61:                               ;   in Loop: Header=BB59_18 Depth=1
	v_mbcnt_lo_u32_b32 v4, exec_lo, 0
	s_mov_b32 s12, exec_lo
	s_delay_alu instid0(VALU_DEP_1)
	v_cmpx_eq_u32_e32 0, v4
	s_xor_b32 s12, exec_lo, s12
	s_cbranch_execz .LBB59_63
; %bb.62:                               ;   in Loop: Header=BB59_18 Depth=1
	v_mov_b32_e32 v4, s11
	ds_min_i32 v2, v4 offset:18432
.LBB59_63:                              ;   in Loop: Header=BB59_18 Depth=1
	s_or_b32 exec_lo, exec_lo, s10
	v_mov_b32_e32 v6, v0
	v_mov_b32_e32 v7, v20
	s_mov_b32 s10, 0
	s_waitcnt lgkmcnt(0)
	s_waitcnt_vscnt null, 0x0
	s_barrier
	buffer_gl0_inv
	s_branch .LBB59_65
.LBB59_64:                              ;   in Loop: Header=BB59_65 Depth=2
	s_or_b32 exec_lo, exec_lo, s11
	s_waitcnt lgkmcnt(0)
	s_waitcnt_vscnt null, 0x0
	s_barrier
	buffer_gl0_inv
	ds_load_b32 v4, v2 offset:28
	v_add_nc_u32_e32 v7, 0x200, v7
	v_add_nc_u32_e32 v6, 0x1000, v6
	s_delay_alu instid0(VALU_DEP_2)
	v_cmp_lt_u32_e32 vcc_lo, 0x5ff, v7
	s_or_b32 s10, vcc_lo, s10
	s_waitcnt lgkmcnt(0)
	v_add_nc_u32_e32 v21, v4, v21
	s_and_not1_b32 exec_lo, exec_lo, s10
	s_cbranch_execz .LBB59_17
.LBB59_65:                              ;   Parent Loop BB59_18 Depth=1
                                        ; =>  This Inner Loop Header: Depth=2
	ds_load_u8 v26, v7 offset:16896
	ds_load_b64 v[4:5], v6
	s_waitcnt lgkmcnt(0)
	s_barrier
	buffer_gl0_inv
	v_cmp_ne_u16_e32 vcc_lo, 0, v26
	s_bcnt1_i32_b32 s11, vcc_lo
	s_delay_alu instid0(SALU_CYCLE_1)
	v_dual_mov_b32 v8, s11 :: v_dual_and_b32 v27, vcc_lo, v1
	s_mov_b32 s11, exec_lo
	ds_store_b32 v19, v8
	s_waitcnt lgkmcnt(0)
	s_barrier
	buffer_gl0_inv
	ds_load_b128 v[8:11], v2
	ds_load_b96 v[23:25], v2 offset:16
	s_waitcnt lgkmcnt(1)
	v_cndmask_b32_e64 v8, v8, 0, s3
	v_cndmask_b32_e64 v9, v9, 0, s4
	;; [unrolled: 1-line block ×4, first 2 shown]
	s_waitcnt lgkmcnt(0)
	v_cndmask_b32_e64 v23, v23, 0, s7
	v_bcnt_u32_b32 v8, v27, v8
	s_delay_alu instid0(VALU_DEP_1) | instskip(SKIP_2) | instid1(VALU_DEP_3)
	v_add3_u32 v8, v8, v9, v10
	v_cndmask_b32_e64 v9, v24, 0, s8
	v_cndmask_b32_e64 v10, v25, 0, s9
	v_add3_u32 v8, v8, v11, v23
	v_and_b32_e32 v11, 1, v26
	s_delay_alu instid0(VALU_DEP_2) | instskip(NEXT) | instid1(VALU_DEP_2)
	v_add3_u32 v8, v8, v9, v10
	v_cmpx_eq_u32_e32 1, v11
	s_cbranch_execz .LBB59_67
; %bb.66:                               ;   in Loop: Header=BB59_65 Depth=2
	s_delay_alu instid0(VALU_DEP_2) | instskip(NEXT) | instid1(VALU_DEP_1)
	v_add_nc_u32_e32 v9, v8, v21
	v_ashrrev_i32_e32 v10, 31, v9
	s_delay_alu instid0(VALU_DEP_1) | instskip(NEXT) | instid1(VALU_DEP_1)
	v_lshlrev_b64 v[9:10], 3, v[9:10]
	v_add_co_u32 v9, vcc_lo, s16, v9
	s_delay_alu instid0(VALU_DEP_2)
	v_add_co_ci_u32_e32 v10, vcc_lo, s17, v10, vcc_lo
	global_store_b64 v[9:10], v[4:5], off
.LBB59_67:                              ;   in Loop: Header=BB59_65 Depth=2
	s_or_b32 exec_lo, exec_lo, s11
	s_and_saveexec_b32 s11, s2
	s_cbranch_execz .LBB59_64
; %bb.68:                               ;   in Loop: Header=BB59_65 Depth=2
	ds_store_b32 v2, v8 offset:28
	s_branch .LBB59_64
.LBB59_69:
	s_endpgm
	.section	.rodata,"a",@progbits
	.p2align	6, 0x0
	.amdhsa_kernel _ZN9rocsparseL51csrgemm_numeric_fill_block_per_row_multipass_kernelILj512ELj16ELj2048ELj64Eii21rocsparse_complex_numIfEEEvT4_PKS3_S5_NS_24const_host_device_scalarIT5_EEPKT3_S5_PKS7_SB_S5_SD_S8_SB_S5_SD_SB_S5_PS7_PS9_21rocsparse_index_base_SG_SG_SG_bbb
		.amdhsa_group_segment_fixed_size 18436
		.amdhsa_private_segment_fixed_size 0
		.amdhsa_kernarg_size 164
		.amdhsa_user_sgpr_count 15
		.amdhsa_user_sgpr_dispatch_ptr 0
		.amdhsa_user_sgpr_queue_ptr 0
		.amdhsa_user_sgpr_kernarg_segment_ptr 1
		.amdhsa_user_sgpr_dispatch_id 0
		.amdhsa_user_sgpr_private_segment_size 0
		.amdhsa_wavefront_size32 1
		.amdhsa_uses_dynamic_stack 0
		.amdhsa_enable_private_segment 0
		.amdhsa_system_sgpr_workgroup_id_x 1
		.amdhsa_system_sgpr_workgroup_id_y 0
		.amdhsa_system_sgpr_workgroup_id_z 0
		.amdhsa_system_sgpr_workgroup_info 0
		.amdhsa_system_vgpr_workitem_id 0
		.amdhsa_next_free_vgpr 32
		.amdhsa_next_free_sgpr 55
		.amdhsa_reserve_vcc 1
		.amdhsa_float_round_mode_32 0
		.amdhsa_float_round_mode_16_64 0
		.amdhsa_float_denorm_mode_32 3
		.amdhsa_float_denorm_mode_16_64 3
		.amdhsa_dx10_clamp 1
		.amdhsa_ieee_mode 1
		.amdhsa_fp16_overflow 0
		.amdhsa_workgroup_processor_mode 1
		.amdhsa_memory_ordered 1
		.amdhsa_forward_progress 0
		.amdhsa_shared_vgpr_count 0
		.amdhsa_exception_fp_ieee_invalid_op 0
		.amdhsa_exception_fp_denorm_src 0
		.amdhsa_exception_fp_ieee_div_zero 0
		.amdhsa_exception_fp_ieee_overflow 0
		.amdhsa_exception_fp_ieee_underflow 0
		.amdhsa_exception_fp_ieee_inexact 0
		.amdhsa_exception_int_div_zero 0
	.end_amdhsa_kernel
	.section	.text._ZN9rocsparseL51csrgemm_numeric_fill_block_per_row_multipass_kernelILj512ELj16ELj2048ELj64Eii21rocsparse_complex_numIfEEEvT4_PKS3_S5_NS_24const_host_device_scalarIT5_EEPKT3_S5_PKS7_SB_S5_SD_S8_SB_S5_SD_SB_S5_PS7_PS9_21rocsparse_index_base_SG_SG_SG_bbb,"axG",@progbits,_ZN9rocsparseL51csrgemm_numeric_fill_block_per_row_multipass_kernelILj512ELj16ELj2048ELj64Eii21rocsparse_complex_numIfEEEvT4_PKS3_S5_NS_24const_host_device_scalarIT5_EEPKT3_S5_PKS7_SB_S5_SD_S8_SB_S5_SD_SB_S5_PS7_PS9_21rocsparse_index_base_SG_SG_SG_bbb,comdat
.Lfunc_end59:
	.size	_ZN9rocsparseL51csrgemm_numeric_fill_block_per_row_multipass_kernelILj512ELj16ELj2048ELj64Eii21rocsparse_complex_numIfEEEvT4_PKS3_S5_NS_24const_host_device_scalarIT5_EEPKT3_S5_PKS7_SB_S5_SD_S8_SB_S5_SD_SB_S5_PS7_PS9_21rocsparse_index_base_SG_SG_SG_bbb, .Lfunc_end59-_ZN9rocsparseL51csrgemm_numeric_fill_block_per_row_multipass_kernelILj512ELj16ELj2048ELj64Eii21rocsparse_complex_numIfEEEvT4_PKS3_S5_NS_24const_host_device_scalarIT5_EEPKT3_S5_PKS7_SB_S5_SD_S8_SB_S5_SD_SB_S5_PS7_PS9_21rocsparse_index_base_SG_SG_SG_bbb
                                        ; -- End function
	.section	.AMDGPU.csdata,"",@progbits
; Kernel info:
; codeLenInByte = 2692
; NumSgprs: 57
; NumVgprs: 32
; ScratchSize: 0
; MemoryBound: 0
; FloatMode: 240
; IeeeMode: 1
; LDSByteSize: 18436 bytes/workgroup (compile time only)
; SGPRBlocks: 7
; VGPRBlocks: 3
; NumSGPRsForWavesPerEU: 57
; NumVGPRsForWavesPerEU: 32
; Occupancy: 16
; WaveLimiterHint : 1
; COMPUTE_PGM_RSRC2:SCRATCH_EN: 0
; COMPUTE_PGM_RSRC2:USER_SGPR: 15
; COMPUTE_PGM_RSRC2:TRAP_HANDLER: 0
; COMPUTE_PGM_RSRC2:TGID_X_EN: 1
; COMPUTE_PGM_RSRC2:TGID_Y_EN: 0
; COMPUTE_PGM_RSRC2:TGID_Z_EN: 0
; COMPUTE_PGM_RSRC2:TIDIG_COMP_CNT: 0
	.section	.text._ZN9rocsparseL38csrgemm_numeric_fill_wf_per_row_kernelILj256ELj8ELj16ELj137Eii21rocsparse_complex_numIdEEEvT4_S3_PKS3_S5_NS_24const_host_device_scalarIT5_EEPKT3_S5_PKS7_SB_S5_SD_S8_SB_S5_SD_SB_S5_PS7_21rocsparse_index_base_SF_SF_SF_bbb,"axG",@progbits,_ZN9rocsparseL38csrgemm_numeric_fill_wf_per_row_kernelILj256ELj8ELj16ELj137Eii21rocsparse_complex_numIdEEEvT4_S3_PKS3_S5_NS_24const_host_device_scalarIT5_EEPKT3_S5_PKS7_SB_S5_SD_S8_SB_S5_SD_SB_S5_PS7_21rocsparse_index_base_SF_SF_SF_bbb,comdat
	.globl	_ZN9rocsparseL38csrgemm_numeric_fill_wf_per_row_kernelILj256ELj8ELj16ELj137Eii21rocsparse_complex_numIdEEEvT4_S3_PKS3_S5_NS_24const_host_device_scalarIT5_EEPKT3_S5_PKS7_SB_S5_SD_S8_SB_S5_SD_SB_S5_PS7_21rocsparse_index_base_SF_SF_SF_bbb ; -- Begin function _ZN9rocsparseL38csrgemm_numeric_fill_wf_per_row_kernelILj256ELj8ELj16ELj137Eii21rocsparse_complex_numIdEEEvT4_S3_PKS3_S5_NS_24const_host_device_scalarIT5_EEPKT3_S5_PKS7_SB_S5_SD_S8_SB_S5_SD_SB_S5_PS7_21rocsparse_index_base_SF_SF_SF_bbb
	.p2align	8
	.type	_ZN9rocsparseL38csrgemm_numeric_fill_wf_per_row_kernelILj256ELj8ELj16ELj137Eii21rocsparse_complex_numIdEEEvT4_S3_PKS3_S5_NS_24const_host_device_scalarIT5_EEPKT3_S5_PKS7_SB_S5_SD_S8_SB_S5_SD_SB_S5_PS7_21rocsparse_index_base_SF_SF_SF_bbb,@function
_ZN9rocsparseL38csrgemm_numeric_fill_wf_per_row_kernelILj256ELj8ELj16ELj137Eii21rocsparse_complex_numIdEEEvT4_S3_PKS3_S5_NS_24const_host_device_scalarIT5_EEPKT3_S5_PKS7_SB_S5_SD_S8_SB_S5_SD_SB_S5_PS7_21rocsparse_index_base_SF_SF_SF_bbb: ; @_ZN9rocsparseL38csrgemm_numeric_fill_wf_per_row_kernelILj256ELj8ELj16ELj137Eii21rocsparse_complex_numIdEEEvT4_S3_PKS3_S5_NS_24const_host_device_scalarIT5_EEPKT3_S5_PKS7_SB_S5_SD_S8_SB_S5_SD_SB_S5_PS7_21rocsparse_index_base_SF_SF_SF_bbb
; %bb.0:
	s_load_b32 s34, s[2:3], 0xa8
	s_load_b64 s[8:9], s[0:1], 0x4
	s_clause 0x1
	s_load_b128 s[4:7], s[2:3], 0x18
	s_load_b128 s[40:43], s[2:3], 0x58
	v_dual_mov_b32 v4, 0 :: v_dual_and_b32 v1, 0x3ff, v0
	s_load_b128 s[24:27], s[2:3], 0x98
	v_bfe_u32 v3, v0, 10, 10
	v_mov_b32_e32 v5, 0
	v_bfe_u32 v0, v0, 20, 10
	s_waitcnt lgkmcnt(0)
	s_bitcmp1_b32 s34, 0
	s_cselect_b32 s33, -1, 0
	s_bitcmp1_b32 s34, 16
	v_mov_b32_e32 v6, s40
	s_cselect_b32 s0, -1, 0
	s_lshr_b32 s1, s8, 16
	s_delay_alu instid0(SALU_CYCLE_1) | instskip(NEXT) | instid1(SALU_CYCLE_1)
	s_mul_i32 s1, s1, s9
	v_mul_lo_u32 v2, s1, v1
	s_xor_b32 s1, s0, -1
	s_bitcmp0_b32 s34, 0
	v_cndmask_b32_e64 v8, 0, 1, s1
	s_delay_alu instid0(VALU_DEP_2) | instskip(SKIP_1) | instid1(VALU_DEP_3)
	v_mad_u32_u24 v9, v3, s9, v2
	v_dual_mov_b32 v2, s4 :: v_dual_mov_b32 v3, s5
	v_cmp_ne_u32_e32 vcc_lo, 1, v8
	v_mov_b32_e32 v11, v5
	s_delay_alu instid0(VALU_DEP_4)
	v_add_lshl_u32 v0, v9, v0, 3
	v_dual_mov_b32 v9, v5 :: v_dual_mov_b32 v10, v4
	v_dual_mov_b32 v7, s41 :: v_dual_mov_b32 v8, v4
	ds_store_2addr_stride64_b64 v0, v[6:7], v[2:3] offset0:20 offset1:24
	s_cbranch_scc1 .LBB60_3
; %bb.1:
	s_mov_b64 s[8:9], src_shared_base
	s_and_b32 s8, s0, exec_lo
	s_cselect_b32 s8, s9, s5
	s_delay_alu instid0(SALU_CYCLE_1) | instskip(SKIP_2) | instid1(VALU_DEP_2)
	v_dual_mov_b32 v3, s8 :: v_dual_add_nc_u32 v2, 0x3000, v0
	v_dual_mov_b32 v11, s7 :: v_dual_mov_b32 v10, s6
	s_and_b32 vcc_lo, exec_lo, vcc_lo
	v_cndmask_b32_e64 v2, s4, v2, s0
	flat_load_b64 v[8:9], v[2:3]
	s_cbranch_vccnz .LBB60_3
; %bb.2:
	v_dual_mov_b32 v2, s4 :: v_dual_mov_b32 v3, s5
	flat_load_b64 v[10:11], v[2:3] offset:8
.LBB60_3:
	s_clause 0x4
	s_load_b64 s[12:13], s[2:3], 0x90
	s_load_b256 s[4:11], s[2:3], 0x68
	s_load_b128 s[28:31], s[2:3], 0x48
	s_load_b128 s[36:39], s[2:3], 0x8
	s_load_b256 s[16:23], s[2:3], 0x28
	s_bitcmp1_b32 s34, 8
	v_dual_mov_b32 v7, v5 :: v_dual_mov_b32 v6, v4
	s_cselect_b32 s14, -1, 0
	s_bfe_u32 s34, s34, 0x10008
	s_delay_alu instid0(SALU_CYCLE_1)
	s_cmp_eq_u32 s34, 0
	s_cbranch_scc1 .LBB60_6
; %bb.4:
	s_mov_b64 s[34:35], src_shared_base
	s_and_b32 s34, s0, exec_lo
	s_cselect_b32 s34, s35, s41
	s_delay_alu instid0(SALU_CYCLE_1) | instskip(SKIP_2) | instid1(VALU_DEP_2)
	v_dual_mov_b32 v3, s34 :: v_dual_add_nc_u32 v0, 0x2800, v0
	v_dual_mov_b32 v4, s42 :: v_dual_mov_b32 v5, s43
	s_and_not1_b32 vcc_lo, exec_lo, s1
	v_cndmask_b32_e64 v2, s40, v0, s0
	flat_load_b64 v[6:7], v[2:3]
	s_cbranch_vccnz .LBB60_6
; %bb.5:
	v_dual_mov_b32 v2, s40 :: v_dual_mov_b32 v3, s41
	flat_load_b64 v[4:5], v[2:3] offset:8
.LBB60_6:
	v_lshrrev_b32_e32 v12, 3, v1
	v_mov_b32_e32 v0, 0
	v_and_b32_e32 v28, 7, v1
	s_load_b64 s[0:1], s[2:3], 0x0
	s_mov_b32 s2, 0
	v_lshlrev_b32_e32 v1, 6, v12
	s_delay_alu instid0(VALU_DEP_2) | instskip(NEXT) | instid1(VALU_DEP_1)
	v_lshlrev_b32_e32 v2, 2, v28
	v_or3_b32 v24, v1, v2, 0x2000
	s_delay_alu instid0(VALU_DEP_1)
	v_mov_b32_e32 v13, v24
	v_mov_b32_e32 v1, v0
	v_lshlrev_b32_e32 v3, 4, v28
	v_or_b32_e32 v23, -8, v28
	s_waitcnt lgkmcnt(0)
	v_dual_mov_b32 v2, v0 :: v_dual_mov_b32 v15, s1
	s_delay_alu instid0(VALU_DEP_3) | instskip(NEXT) | instid1(VALU_DEP_3)
	v_lshl_or_b32 v25, v12, 8, v3
	v_dual_mov_b32 v16, v23 :: v_dual_mov_b32 v3, v0
	s_delay_alu instid0(VALU_DEP_2)
	v_mov_b32_e32 v14, v25
.LBB60_7:                               ; =>This Inner Loop Header: Depth=1
	s_delay_alu instid0(VALU_DEP_2) | instskip(NEXT) | instid1(VALU_DEP_1)
	v_add_co_u32 v16, s3, v16, 8
	s_xor_b32 s3, s3, -1
	ds_store_b32 v13, v15
	ds_store_b128 v14, v[0:3]
	v_add_nc_u32_e32 v14, 0x80, v14
	v_add_nc_u32_e32 v13, 32, v13
	s_and_b32 s3, exec_lo, s3
	s_delay_alu instid0(SALU_CYCLE_1) | instskip(NEXT) | instid1(SALU_CYCLE_1)
	s_or_b32 s2, s3, s2
	s_and_not1_b32 exec_lo, exec_lo, s2
	s_cbranch_execnz .LBB60_7
; %bb.8:
	s_or_b32 exec_lo, exec_lo, s2
	s_lshl_b32 s2, s15, 5
	s_waitcnt vmcnt(0) lgkmcnt(0)
	buffer_gl0_inv
	v_and_or_b32 v0, 0x1fffffe0, s2, v12
	s_delay_alu instid0(VALU_DEP_1)
	v_cmp_gt_i32_e32 vcc_lo, s0, v0
	s_and_saveexec_b32 s0, vcc_lo
	s_cbranch_execz .LBB60_68
; %bb.9:
	s_cmp_eq_u64 s[38:39], 0
	s_cbranch_scc1 .LBB60_11
; %bb.10:
	s_load_b32 s0, s[36:37], 0x0
	s_waitcnt lgkmcnt(0)
	v_add_nc_u32_e32 v0, s0, v0
	s_delay_alu instid0(VALU_DEP_1) | instskip(NEXT) | instid1(VALU_DEP_1)
	v_ashrrev_i32_e32 v1, 31, v0
	v_lshlrev_b64 v[0:1], 2, v[0:1]
	s_delay_alu instid0(VALU_DEP_1) | instskip(NEXT) | instid1(VALU_DEP_2)
	v_add_co_u32 v0, vcc_lo, s38, v0
	v_add_co_ci_u32_e32 v1, vcc_lo, s39, v1, vcc_lo
	global_load_b32 v0, v[0:1], off
.LBB60_11:
	s_waitcnt vmcnt(0)
	v_ashrrev_i32_e32 v1, 31, v0
	v_lshl_or_b32 v26, v12, 6, 0x2000
	v_lshlrev_b32_e32 v27, 8, v12
	s_and_not1_b32 vcc_lo, exec_lo, s33
	s_delay_alu instid0(VALU_DEP_3)
	v_lshlrev_b64 v[0:1], 2, v[0:1]
	s_cbranch_vccnz .LBB60_39
; %bb.12:
	s_delay_alu instid0(VALU_DEP_1) | instskip(NEXT) | instid1(VALU_DEP_2)
	v_add_co_u32 v2, vcc_lo, s16, v0
	v_add_co_ci_u32_e32 v3, vcc_lo, s17, v1, vcc_lo
	v_subrev_nc_u32_e32 v12, s24, v28
	s_mov_b32 s0, exec_lo
	global_load_b64 v[2:3], v[2:3], off
	s_waitcnt vmcnt(0)
	v_subrev_nc_u32_e32 v29, s24, v3
	v_add_nc_u32_e32 v2, v2, v12
	s_delay_alu instid0(VALU_DEP_1)
	v_cmpx_lt_i32_e64 v2, v29
	s_cbranch_execz .LBB60_38
; %bb.13:
	s_mov_b32 s2, 0
	s_branch .LBB60_15
.LBB60_14:                              ;   in Loop: Header=BB60_15 Depth=1
	s_or_b32 exec_lo, exec_lo, s3
	v_add_nc_u32_e32 v2, 8, v2
	s_delay_alu instid0(VALU_DEP_1) | instskip(SKIP_1) | instid1(SALU_CYCLE_1)
	v_cmp_ge_i32_e32 vcc_lo, v2, v29
	s_or_b32 s2, vcc_lo, s2
	s_and_not1_b32 exec_lo, exec_lo, s2
	s_cbranch_execz .LBB60_38
.LBB60_15:                              ; =>This Loop Header: Depth=1
                                        ;     Child Loop BB60_18 Depth 2
                                        ;       Child Loop BB60_20 Depth 3
                                        ;         Child Loop BB60_26 Depth 4
                                        ;         Child Loop BB60_28 Depth 4
	;; [unrolled: 1-line block ×4, first 2 shown]
	v_ashrrev_i32_e32 v3, 31, v2
	s_mov_b32 s3, exec_lo
	s_delay_alu instid0(VALU_DEP_1) | instskip(NEXT) | instid1(VALU_DEP_1)
	v_lshlrev_b64 v[12:13], 2, v[2:3]
	v_add_co_u32 v12, vcc_lo, s18, v12
	s_delay_alu instid0(VALU_DEP_2) | instskip(SKIP_3) | instid1(VALU_DEP_1)
	v_add_co_ci_u32_e32 v13, vcc_lo, s19, v13, vcc_lo
	global_load_b32 v12, v[12:13], off
	s_waitcnt vmcnt(0)
	v_subrev_nc_u32_e32 v12, s24, v12
	v_ashrrev_i32_e32 v13, 31, v12
	s_delay_alu instid0(VALU_DEP_1) | instskip(NEXT) | instid1(VALU_DEP_1)
	v_lshlrev_b64 v[12:13], 2, v[12:13]
	v_add_co_u32 v12, vcc_lo, s22, v12
	s_delay_alu instid0(VALU_DEP_2)
	v_add_co_ci_u32_e32 v13, vcc_lo, s23, v13, vcc_lo
	global_load_b64 v[16:17], v[12:13], off
	s_waitcnt vmcnt(0)
	v_cmpx_lt_i32_e64 v16, v17
	s_cbranch_execz .LBB60_14
; %bb.16:                               ;   in Loop: Header=BB60_15 Depth=1
	v_lshlrev_b64 v[12:13], 4, v[2:3]
	v_subrev_nc_u32_e32 v3, s25, v17
	v_subrev_nc_u32_e32 v16, s25, v16
	s_mov_b32 s15, 0
	s_delay_alu instid0(VALU_DEP_3) | instskip(NEXT) | instid1(VALU_DEP_4)
	v_add_co_u32 v12, vcc_lo, s20, v12
	v_add_co_ci_u32_e32 v13, vcc_lo, s21, v13, vcc_lo
	global_load_b128 v[18:21], v[12:13], off
	s_waitcnt vmcnt(0)
	v_mul_f64 v[12:13], v[20:21], -v[10:11]
	v_mul_f64 v[14:15], v[8:9], v[20:21]
	s_delay_alu instid0(VALU_DEP_2) | instskip(NEXT) | instid1(VALU_DEP_2)
	v_fma_f64 v[12:13], v[8:9], v[18:19], v[12:13]
	v_fma_f64 v[14:15], v[10:11], v[18:19], v[14:15]
	s_branch .LBB60_18
.LBB60_17:                              ;   in Loop: Header=BB60_18 Depth=2
	s_or_b32 exec_lo, exec_lo, s16
	v_add_nc_u32_e32 v16, 1, v16
	s_delay_alu instid0(VALU_DEP_1) | instskip(SKIP_1) | instid1(SALU_CYCLE_1)
	v_cmp_ge_i32_e32 vcc_lo, v16, v3
	s_or_b32 s15, vcc_lo, s15
	s_and_not1_b32 exec_lo, exec_lo, s15
	s_cbranch_execz .LBB60_14
.LBB60_18:                              ;   Parent Loop BB60_15 Depth=1
                                        ; =>  This Loop Header: Depth=2
                                        ;       Child Loop BB60_20 Depth 3
                                        ;         Child Loop BB60_26 Depth 4
                                        ;         Child Loop BB60_28 Depth 4
                                        ;         Child Loop BB60_34 Depth 4
                                        ;         Child Loop BB60_36 Depth 4
	v_ashrrev_i32_e32 v17, 31, v16
	s_mov_b32 s16, 0
	s_delay_alu instid0(VALU_DEP_1) | instskip(NEXT) | instid1(VALU_DEP_1)
	v_lshlrev_b64 v[18:19], 4, v[16:17]
	v_add_co_u32 v18, vcc_lo, s30, v18
	s_delay_alu instid0(VALU_DEP_2) | instskip(SKIP_2) | instid1(VALU_DEP_1)
	v_add_co_ci_u32_e32 v19, vcc_lo, s31, v19, vcc_lo
	global_load_b128 v[19:22], v[18:19], off
	v_lshlrev_b64 v[17:18], 2, v[16:17]
	v_add_co_u32 v17, vcc_lo, s28, v17
	s_delay_alu instid0(VALU_DEP_2)
	v_add_co_ci_u32_e32 v18, vcc_lo, s29, v18, vcc_lo
	global_load_b32 v30, v[17:18], off
	s_waitcnt vmcnt(1)
	v_mul_f64 v[17:18], v[21:22], -v[14:15]
	v_mul_f64 v[21:22], v[12:13], v[21:22]
	s_waitcnt vmcnt(0)
	v_subrev_nc_u32_e32 v30, s25, v30
	s_delay_alu instid0(VALU_DEP_3) | instskip(NEXT) | instid1(VALU_DEP_3)
	v_fma_f64 v[17:18], v[12:13], v[19:20], v[17:18]
	v_fma_f64 v[19:20], v[14:15], v[19:20], v[21:22]
	s_delay_alu instid0(VALU_DEP_3) | instskip(NEXT) | instid1(VALU_DEP_1)
	v_lshl_add_u32 v21, v30, 3, v30
	v_and_b32_e32 v31, 15, v21
	s_branch .LBB60_20
.LBB60_19:                              ;   in Loop: Header=BB60_20 Depth=3
	s_or_b32 exec_lo, exec_lo, s17
	s_xor_b32 s17, s33, -1
	s_delay_alu instid0(SALU_CYCLE_1) | instskip(NEXT) | instid1(SALU_CYCLE_1)
	s_and_b32 s17, exec_lo, s17
	s_or_b32 s16, s17, s16
	s_delay_alu instid0(SALU_CYCLE_1)
	s_and_not1_b32 exec_lo, exec_lo, s16
	s_cbranch_execz .LBB60_17
.LBB60_20:                              ;   Parent Loop BB60_15 Depth=1
                                        ;     Parent Loop BB60_18 Depth=2
                                        ; =>    This Loop Header: Depth=3
                                        ;         Child Loop BB60_26 Depth 4
                                        ;         Child Loop BB60_28 Depth 4
	;; [unrolled: 1-line block ×4, first 2 shown]
	s_delay_alu instid0(VALU_DEP_1)
	v_lshl_add_u32 v21, v31, 2, v26
	s_mov_b32 s17, exec_lo
                                        ; implicit-def: $sgpr33
	ds_load_b32 v22, v21
	s_waitcnt lgkmcnt(0)
	v_cmpx_ne_u32_e64 v22, v30
	s_xor_b32 s17, exec_lo, s17
	s_cbranch_execz .LBB60_32
; %bb.21:                               ;   in Loop: Header=BB60_20 Depth=3
	s_mov_b32 s34, exec_lo
                                        ; implicit-def: $sgpr33
	v_cmpx_ne_u32_e64 s1, v22
	s_xor_b32 s34, exec_lo, s34
; %bb.22:                               ;   in Loop: Header=BB60_20 Depth=3
	v_add_nc_u32_e32 v21, 1, v31
	s_mov_b32 s33, -1
	s_delay_alu instid0(VALU_DEP_1)
	v_and_b32_e32 v31, 15, v21
                                        ; implicit-def: $vgpr21
; %bb.23:                               ;   in Loop: Header=BB60_20 Depth=3
	s_and_not1_saveexec_b32 s34, s34
	s_cbranch_execz .LBB60_31
; %bb.24:                               ;   in Loop: Header=BB60_20 Depth=3
	v_mov_b32_e32 v22, s1
	s_mov_b32 s36, -1
	s_mov_b32 s35, exec_lo
	ds_cmpstore_rtn_b32 v21, v21, v30, v22
	s_waitcnt lgkmcnt(0)
	v_cmpx_eq_u32_e64 s1, v21
	s_cbranch_execz .LBB60_30
; %bb.25:                               ;   in Loop: Header=BB60_20 Depth=3
	v_lshl_add_u32 v32, v31, 4, v27
	s_mov_b32 s36, 0
	ds_load_b64 v[21:22], v32
.LBB60_26:                              ;   Parent Loop BB60_15 Depth=1
                                        ;     Parent Loop BB60_18 Depth=2
                                        ;       Parent Loop BB60_20 Depth=3
                                        ; =>      This Inner Loop Header: Depth=4
	s_waitcnt lgkmcnt(0)
	v_add_f64 v[33:34], v[21:22], v[17:18]
	ds_cmpstore_rtn_b64 v[33:34], v32, v[33:34], v[21:22]
	s_waitcnt lgkmcnt(0)
	v_cmp_eq_u64_e32 vcc_lo, v[33:34], v[21:22]
	v_dual_mov_b32 v21, v33 :: v_dual_mov_b32 v22, v34
	s_or_b32 s36, vcc_lo, s36
	s_delay_alu instid0(SALU_CYCLE_1)
	s_and_not1_b32 exec_lo, exec_lo, s36
	s_cbranch_execnz .LBB60_26
; %bb.27:                               ;   in Loop: Header=BB60_20 Depth=3
	s_or_b32 exec_lo, exec_lo, s36
	ds_load_b64 v[21:22], v32 offset:8
	s_mov_b32 s36, 0
.LBB60_28:                              ;   Parent Loop BB60_15 Depth=1
                                        ;     Parent Loop BB60_18 Depth=2
                                        ;       Parent Loop BB60_20 Depth=3
                                        ; =>      This Inner Loop Header: Depth=4
	s_waitcnt lgkmcnt(0)
	v_add_f64 v[33:34], v[21:22], v[19:20]
	ds_cmpstore_rtn_b64 v[33:34], v32, v[33:34], v[21:22] offset:8
	s_waitcnt lgkmcnt(0)
	v_cmp_eq_u64_e32 vcc_lo, v[33:34], v[21:22]
	v_dual_mov_b32 v21, v33 :: v_dual_mov_b32 v22, v34
	s_or_b32 s36, vcc_lo, s36
	s_delay_alu instid0(SALU_CYCLE_1)
	s_and_not1_b32 exec_lo, exec_lo, s36
	s_cbranch_execnz .LBB60_28
; %bb.29:                               ;   in Loop: Header=BB60_20 Depth=3
	s_or_b32 exec_lo, exec_lo, s36
	s_delay_alu instid0(SALU_CYCLE_1)
	s_xor_b32 s36, exec_lo, -1
.LBB60_30:                              ;   in Loop: Header=BB60_20 Depth=3
	s_or_b32 exec_lo, exec_lo, s35
	s_delay_alu instid0(SALU_CYCLE_1) | instskip(SKIP_1) | instid1(SALU_CYCLE_1)
	s_and_not1_b32 s33, s33, exec_lo
	s_and_b32 s35, s36, exec_lo
	s_or_b32 s33, s33, s35
.LBB60_31:                              ;   in Loop: Header=BB60_20 Depth=3
	s_or_b32 exec_lo, exec_lo, s34
	s_delay_alu instid0(SALU_CYCLE_1)
	s_and_b32 s33, s33, exec_lo
.LBB60_32:                              ;   in Loop: Header=BB60_20 Depth=3
	s_and_not1_saveexec_b32 s17, s17
	s_cbranch_execz .LBB60_19
; %bb.33:                               ;   in Loop: Header=BB60_20 Depth=3
	v_lshl_add_u32 v32, v31, 4, v27
	s_mov_b32 s34, 0
	ds_load_b64 v[21:22], v32
.LBB60_34:                              ;   Parent Loop BB60_15 Depth=1
                                        ;     Parent Loop BB60_18 Depth=2
                                        ;       Parent Loop BB60_20 Depth=3
                                        ; =>      This Inner Loop Header: Depth=4
	s_waitcnt lgkmcnt(0)
	v_add_f64 v[33:34], v[21:22], v[17:18]
	ds_cmpstore_rtn_b64 v[33:34], v32, v[33:34], v[21:22]
	s_waitcnt lgkmcnt(0)
	v_cmp_eq_u64_e32 vcc_lo, v[33:34], v[21:22]
	v_dual_mov_b32 v21, v33 :: v_dual_mov_b32 v22, v34
	s_or_b32 s34, vcc_lo, s34
	s_delay_alu instid0(SALU_CYCLE_1)
	s_and_not1_b32 exec_lo, exec_lo, s34
	s_cbranch_execnz .LBB60_34
; %bb.35:                               ;   in Loop: Header=BB60_20 Depth=3
	s_or_b32 exec_lo, exec_lo, s34
	ds_load_b64 v[21:22], v32 offset:8
	s_mov_b32 s34, 0
.LBB60_36:                              ;   Parent Loop BB60_15 Depth=1
                                        ;     Parent Loop BB60_18 Depth=2
                                        ;       Parent Loop BB60_20 Depth=3
                                        ; =>      This Inner Loop Header: Depth=4
	s_waitcnt lgkmcnt(0)
	v_add_f64 v[33:34], v[21:22], v[19:20]
	ds_cmpstore_rtn_b64 v[33:34], v32, v[33:34], v[21:22] offset:8
	s_waitcnt lgkmcnt(0)
	v_cmp_eq_u64_e32 vcc_lo, v[33:34], v[21:22]
	v_dual_mov_b32 v21, v33 :: v_dual_mov_b32 v22, v34
	s_or_b32 s34, vcc_lo, s34
	s_delay_alu instid0(SALU_CYCLE_1)
	s_and_not1_b32 exec_lo, exec_lo, s34
	s_cbranch_execnz .LBB60_36
; %bb.37:                               ;   in Loop: Header=BB60_20 Depth=3
	s_or_b32 exec_lo, exec_lo, s34
	s_delay_alu instid0(SALU_CYCLE_1)
	s_and_not1_b32 s33, s33, exec_lo
	s_branch .LBB60_19
.LBB60_38:
	s_or_b32 exec_lo, exec_lo, s0
.LBB60_39:
	s_delay_alu instid0(SALU_CYCLE_1)
	s_and_not1_b32 vcc_lo, exec_lo, s14
	s_cbranch_vccnz .LBB60_64
; %bb.40:
	s_delay_alu instid0(VALU_DEP_1) | instskip(NEXT) | instid1(VALU_DEP_2)
	v_add_co_u32 v2, vcc_lo, s4, v0
	v_add_co_ci_u32_e32 v3, vcc_lo, s5, v1, vcc_lo
	v_subrev_nc_u32_e32 v8, s27, v28
	s_mov_b32 s0, exec_lo
	global_load_b64 v[2:3], v[2:3], off
	s_waitcnt vmcnt(0)
	v_subrev_nc_u32_e32 v14, s27, v3
	v_add_nc_u32_e32 v2, v2, v8
	s_delay_alu instid0(VALU_DEP_1)
	v_cmpx_lt_i32_e64 v2, v14
	s_cbranch_execz .LBB60_63
; %bb.41:
	s_mov_b32 s2, 0
	s_branch .LBB60_43
.LBB60_42:                              ;   in Loop: Header=BB60_43 Depth=1
	s_or_b32 exec_lo, exec_lo, s3
	v_add_nc_u32_e32 v2, 8, v2
	s_delay_alu instid0(VALU_DEP_1) | instskip(SKIP_1) | instid1(SALU_CYCLE_1)
	v_cmp_ge_i32_e32 vcc_lo, v2, v14
	s_or_b32 s2, vcc_lo, s2
	s_and_not1_b32 exec_lo, exec_lo, s2
	s_cbranch_execz .LBB60_63
.LBB60_43:                              ; =>This Loop Header: Depth=1
                                        ;     Child Loop BB60_45 Depth 2
                                        ;       Child Loop BB60_51 Depth 3
                                        ;       Child Loop BB60_53 Depth 3
	;; [unrolled: 1-line block ×4, first 2 shown]
	v_ashrrev_i32_e32 v3, 31, v2
	s_mov_b32 s3, 0
	s_delay_alu instid0(VALU_DEP_1) | instskip(NEXT) | instid1(VALU_DEP_1)
	v_lshlrev_b64 v[8:9], 4, v[2:3]
	v_add_co_u32 v8, vcc_lo, s8, v8
	s_delay_alu instid0(VALU_DEP_2) | instskip(SKIP_2) | instid1(VALU_DEP_1)
	v_add_co_ci_u32_e32 v9, vcc_lo, s9, v9, vcc_lo
	global_load_b128 v[10:13], v[8:9], off
	v_lshlrev_b64 v[8:9], 2, v[2:3]
	v_add_co_u32 v8, vcc_lo, s6, v8
	s_delay_alu instid0(VALU_DEP_2)
	v_add_co_ci_u32_e32 v9, vcc_lo, s7, v9, vcc_lo
	global_load_b32 v3, v[8:9], off
	s_waitcnt vmcnt(1)
	v_mul_f64 v[8:9], v[12:13], -v[4:5]
	v_mul_f64 v[12:13], v[6:7], v[12:13]
	s_waitcnt vmcnt(0)
	v_subrev_nc_u32_e32 v3, s27, v3
	s_delay_alu instid0(VALU_DEP_3) | instskip(NEXT) | instid1(VALU_DEP_3)
	v_fma_f64 v[8:9], v[6:7], v[10:11], v[8:9]
	v_fma_f64 v[10:11], v[4:5], v[10:11], v[12:13]
	s_delay_alu instid0(VALU_DEP_3) | instskip(NEXT) | instid1(VALU_DEP_1)
	v_lshl_add_u32 v12, v3, 3, v3
	v_and_b32_e32 v15, 15, v12
	s_branch .LBB60_45
.LBB60_44:                              ;   in Loop: Header=BB60_45 Depth=2
	s_or_b32 exec_lo, exec_lo, s4
	s_xor_b32 s4, s5, -1
	s_delay_alu instid0(SALU_CYCLE_1) | instskip(NEXT) | instid1(SALU_CYCLE_1)
	s_and_b32 s4, exec_lo, s4
	s_or_b32 s3, s4, s3
	s_delay_alu instid0(SALU_CYCLE_1)
	s_and_not1_b32 exec_lo, exec_lo, s3
	s_cbranch_execz .LBB60_42
.LBB60_45:                              ;   Parent Loop BB60_43 Depth=1
                                        ; =>  This Loop Header: Depth=2
                                        ;       Child Loop BB60_51 Depth 3
                                        ;       Child Loop BB60_53 Depth 3
	;; [unrolled: 1-line block ×4, first 2 shown]
	s_delay_alu instid0(VALU_DEP_1)
	v_lshl_add_u32 v12, v15, 2, v26
	s_mov_b32 s4, exec_lo
                                        ; implicit-def: $sgpr5
	ds_load_b32 v13, v12
	s_waitcnt lgkmcnt(0)
	v_cmpx_ne_u32_e64 v13, v3
	s_xor_b32 s4, exec_lo, s4
	s_cbranch_execz .LBB60_57
; %bb.46:                               ;   in Loop: Header=BB60_45 Depth=2
	s_mov_b32 s14, exec_lo
                                        ; implicit-def: $sgpr5
	v_cmpx_ne_u32_e64 s1, v13
	s_xor_b32 s14, exec_lo, s14
; %bb.47:                               ;   in Loop: Header=BB60_45 Depth=2
	v_add_nc_u32_e32 v12, 1, v15
	s_mov_b32 s5, -1
	s_delay_alu instid0(VALU_DEP_1)
	v_and_b32_e32 v15, 15, v12
                                        ; implicit-def: $vgpr12
; %bb.48:                               ;   in Loop: Header=BB60_45 Depth=2
	s_and_not1_saveexec_b32 s14, s14
	s_cbranch_execz .LBB60_56
; %bb.49:                               ;   in Loop: Header=BB60_45 Depth=2
	v_mov_b32_e32 v13, s1
	s_mov_b32 s16, -1
	s_mov_b32 s15, exec_lo
	ds_cmpstore_rtn_b32 v12, v12, v3, v13
	s_waitcnt lgkmcnt(0)
	v_cmpx_eq_u32_e64 s1, v12
	s_cbranch_execz .LBB60_55
; %bb.50:                               ;   in Loop: Header=BB60_45 Depth=2
	v_lshl_add_u32 v16, v15, 4, v27
	s_mov_b32 s16, 0
	ds_load_b64 v[12:13], v16
.LBB60_51:                              ;   Parent Loop BB60_43 Depth=1
                                        ;     Parent Loop BB60_45 Depth=2
                                        ; =>    This Inner Loop Header: Depth=3
	s_waitcnt lgkmcnt(0)
	v_add_f64 v[17:18], v[12:13], v[8:9]
	ds_cmpstore_rtn_b64 v[17:18], v16, v[17:18], v[12:13]
	s_waitcnt lgkmcnt(0)
	v_cmp_eq_u64_e32 vcc_lo, v[17:18], v[12:13]
	v_dual_mov_b32 v12, v17 :: v_dual_mov_b32 v13, v18
	s_or_b32 s16, vcc_lo, s16
	s_delay_alu instid0(SALU_CYCLE_1)
	s_and_not1_b32 exec_lo, exec_lo, s16
	s_cbranch_execnz .LBB60_51
; %bb.52:                               ;   in Loop: Header=BB60_45 Depth=2
	s_or_b32 exec_lo, exec_lo, s16
	ds_load_b64 v[12:13], v16 offset:8
	s_mov_b32 s16, 0
.LBB60_53:                              ;   Parent Loop BB60_43 Depth=1
                                        ;     Parent Loop BB60_45 Depth=2
                                        ; =>    This Inner Loop Header: Depth=3
	s_waitcnt lgkmcnt(0)
	v_add_f64 v[17:18], v[12:13], v[10:11]
	ds_cmpstore_rtn_b64 v[17:18], v16, v[17:18], v[12:13] offset:8
	s_waitcnt lgkmcnt(0)
	v_cmp_eq_u64_e32 vcc_lo, v[17:18], v[12:13]
	v_dual_mov_b32 v12, v17 :: v_dual_mov_b32 v13, v18
	s_or_b32 s16, vcc_lo, s16
	s_delay_alu instid0(SALU_CYCLE_1)
	s_and_not1_b32 exec_lo, exec_lo, s16
	s_cbranch_execnz .LBB60_53
; %bb.54:                               ;   in Loop: Header=BB60_45 Depth=2
	s_or_b32 exec_lo, exec_lo, s16
	s_delay_alu instid0(SALU_CYCLE_1)
	s_xor_b32 s16, exec_lo, -1
.LBB60_55:                              ;   in Loop: Header=BB60_45 Depth=2
	s_or_b32 exec_lo, exec_lo, s15
	s_delay_alu instid0(SALU_CYCLE_1) | instskip(SKIP_1) | instid1(SALU_CYCLE_1)
	s_and_not1_b32 s5, s5, exec_lo
	s_and_b32 s15, s16, exec_lo
	s_or_b32 s5, s5, s15
.LBB60_56:                              ;   in Loop: Header=BB60_45 Depth=2
	s_or_b32 exec_lo, exec_lo, s14
	s_delay_alu instid0(SALU_CYCLE_1)
	s_and_b32 s5, s5, exec_lo
.LBB60_57:                              ;   in Loop: Header=BB60_45 Depth=2
	s_and_not1_saveexec_b32 s4, s4
	s_cbranch_execz .LBB60_44
; %bb.58:                               ;   in Loop: Header=BB60_45 Depth=2
	v_lshl_add_u32 v16, v15, 4, v27
	s_mov_b32 s14, 0
	ds_load_b64 v[12:13], v16
.LBB60_59:                              ;   Parent Loop BB60_43 Depth=1
                                        ;     Parent Loop BB60_45 Depth=2
                                        ; =>    This Inner Loop Header: Depth=3
	s_waitcnt lgkmcnt(0)
	v_add_f64 v[17:18], v[12:13], v[8:9]
	ds_cmpstore_rtn_b64 v[17:18], v16, v[17:18], v[12:13]
	s_waitcnt lgkmcnt(0)
	v_cmp_eq_u64_e32 vcc_lo, v[17:18], v[12:13]
	v_dual_mov_b32 v12, v17 :: v_dual_mov_b32 v13, v18
	s_or_b32 s14, vcc_lo, s14
	s_delay_alu instid0(SALU_CYCLE_1)
	s_and_not1_b32 exec_lo, exec_lo, s14
	s_cbranch_execnz .LBB60_59
; %bb.60:                               ;   in Loop: Header=BB60_45 Depth=2
	s_or_b32 exec_lo, exec_lo, s14
	ds_load_b64 v[12:13], v16 offset:8
	s_mov_b32 s14, 0
.LBB60_61:                              ;   Parent Loop BB60_43 Depth=1
                                        ;     Parent Loop BB60_45 Depth=2
                                        ; =>    This Inner Loop Header: Depth=3
	s_waitcnt lgkmcnt(0)
	v_add_f64 v[17:18], v[12:13], v[10:11]
	ds_cmpstore_rtn_b64 v[17:18], v16, v[17:18], v[12:13] offset:8
	s_waitcnt lgkmcnt(0)
	v_cmp_eq_u64_e32 vcc_lo, v[17:18], v[12:13]
	v_dual_mov_b32 v12, v17 :: v_dual_mov_b32 v13, v18
	s_or_b32 s14, vcc_lo, s14
	s_delay_alu instid0(SALU_CYCLE_1)
	s_and_not1_b32 exec_lo, exec_lo, s14
	s_cbranch_execnz .LBB60_61
; %bb.62:                               ;   in Loop: Header=BB60_45 Depth=2
	s_or_b32 exec_lo, exec_lo, s14
	s_delay_alu instid0(SALU_CYCLE_1)
	s_and_not1_b32 s5, s5, exec_lo
	s_branch .LBB60_44
.LBB60_63:
	s_or_b32 exec_lo, exec_lo, s0
.LBB60_64:
	s_delay_alu instid0(VALU_DEP_1) | instskip(NEXT) | instid1(VALU_DEP_2)
	v_add_co_u32 v0, vcc_lo, s10, v0
	v_add_co_ci_u32_e32 v1, vcc_lo, s11, v1, vcc_lo
	buffer_gl0_inv
	s_mov_b32 s0, 0
	global_load_b32 v0, v[0:1], off
	s_waitcnt vmcnt(0)
	v_subrev_nc_u32_e32 v0, s26, v0
	s_branch .LBB60_66
.LBB60_65:                              ;   in Loop: Header=BB60_66 Depth=1
	s_or_b32 exec_lo, exec_lo, s2
	v_add_co_u32 v23, s2, v23, 8
	s_delay_alu instid0(VALU_DEP_1) | instskip(SKIP_3) | instid1(SALU_CYCLE_1)
	s_xor_b32 s2, s2, -1
	v_add_nc_u32_e32 v25, 0x80, v25
	v_add_nc_u32_e32 v24, 32, v24
	s_and_b32 s2, exec_lo, s2
	s_or_b32 s0, s2, s0
	s_delay_alu instid0(SALU_CYCLE_1)
	s_and_not1_b32 exec_lo, exec_lo, s0
	s_cbranch_execz .LBB60_68
.LBB60_66:                              ; =>This Inner Loop Header: Depth=1
	ds_load_b32 v1, v24
	s_mov_b32 s2, exec_lo
	s_waitcnt lgkmcnt(0)
	v_cmpx_gt_i32_e64 s1, v1
	s_cbranch_execz .LBB60_65
; %bb.67:                               ;   in Loop: Header=BB60_66 Depth=1
	ds_load_b128 v[2:5], v26
	ds_load_b128 v[6:9], v26 offset:16
	ds_load_b128 v[10:13], v26 offset:32
	;; [unrolled: 1-line block ×3, first 2 shown]
	s_waitcnt lgkmcnt(3)
	v_cmp_gt_i32_e32 vcc_lo, v1, v2
	v_cndmask_b32_e64 v2, 0, 1, vcc_lo
	v_cmp_gt_i32_e32 vcc_lo, v1, v4
	v_cndmask_b32_e64 v4, 0, 1, vcc_lo
	v_cmp_gt_i32_e32 vcc_lo, v1, v3
	s_delay_alu instid0(VALU_DEP_4)
	v_add_co_ci_u32_e32 v2, vcc_lo, v0, v2, vcc_lo
	s_waitcnt lgkmcnt(2)
	v_cmp_gt_i32_e32 vcc_lo, v1, v6
	v_cndmask_b32_e64 v3, 0, 1, vcc_lo
	v_cmp_gt_i32_e32 vcc_lo, v1, v5
	v_add_co_ci_u32_e32 v2, vcc_lo, v2, v4, vcc_lo
	v_cmp_gt_i32_e32 vcc_lo, v1, v8
	v_cndmask_b32_e64 v4, 0, 1, vcc_lo
	v_cmp_gt_i32_e32 vcc_lo, v1, v7
	s_delay_alu instid0(VALU_DEP_4)
	v_add_co_ci_u32_e32 v2, vcc_lo, v2, v3, vcc_lo
	s_waitcnt lgkmcnt(1)
	v_cmp_gt_i32_e32 vcc_lo, v1, v10
	v_cndmask_b32_e64 v3, 0, 1, vcc_lo
	v_cmp_gt_i32_e32 vcc_lo, v1, v9
	v_add_co_ci_u32_e32 v2, vcc_lo, v2, v4, vcc_lo
	;; [unrolled: 10-line block ×3, first 2 shown]
	v_cmp_gt_i32_e32 vcc_lo, v1, v16
	v_cndmask_b32_e64 v4, 0, 1, vcc_lo
	v_cmp_gt_i32_e32 vcc_lo, v1, v15
	s_delay_alu instid0(VALU_DEP_4) | instskip(SKIP_1) | instid1(VALU_DEP_2)
	v_add_co_ci_u32_e32 v2, vcc_lo, v2, v3, vcc_lo
	v_cmp_gt_i32_e32 vcc_lo, v1, v17
	v_add_co_ci_u32_e32 v5, vcc_lo, v2, v4, vcc_lo
	ds_load_2addr_b64 v[1:4], v25 offset1:1
	v_ashrrev_i32_e32 v6, 31, v5
	s_delay_alu instid0(VALU_DEP_1) | instskip(NEXT) | instid1(VALU_DEP_1)
	v_lshlrev_b64 v[5:6], 4, v[5:6]
	v_add_co_u32 v5, vcc_lo, s12, v5
	s_delay_alu instid0(VALU_DEP_2)
	v_add_co_ci_u32_e32 v6, vcc_lo, s13, v6, vcc_lo
	s_waitcnt lgkmcnt(0)
	global_store_b128 v[5:6], v[1:4], off
	s_branch .LBB60_65
.LBB60_68:
	s_nop 0
	s_sendmsg sendmsg(MSG_DEALLOC_VGPRS)
	s_endpgm
	.section	.rodata,"a",@progbits
	.p2align	6, 0x0
	.amdhsa_kernel _ZN9rocsparseL38csrgemm_numeric_fill_wf_per_row_kernelILj256ELj8ELj16ELj137Eii21rocsparse_complex_numIdEEEvT4_S3_PKS3_S5_NS_24const_host_device_scalarIT5_EEPKT3_S5_PKS7_SB_S5_SD_S8_SB_S5_SD_SB_S5_PS7_21rocsparse_index_base_SF_SF_SF_bbb
		.amdhsa_group_segment_fixed_size 14336
		.amdhsa_private_segment_fixed_size 0
		.amdhsa_kernarg_size 172
		.amdhsa_user_sgpr_count 15
		.amdhsa_user_sgpr_dispatch_ptr 1
		.amdhsa_user_sgpr_queue_ptr 0
		.amdhsa_user_sgpr_kernarg_segment_ptr 1
		.amdhsa_user_sgpr_dispatch_id 0
		.amdhsa_user_sgpr_private_segment_size 0
		.amdhsa_wavefront_size32 1
		.amdhsa_uses_dynamic_stack 0
		.amdhsa_enable_private_segment 0
		.amdhsa_system_sgpr_workgroup_id_x 1
		.amdhsa_system_sgpr_workgroup_id_y 0
		.amdhsa_system_sgpr_workgroup_id_z 0
		.amdhsa_system_sgpr_workgroup_info 0
		.amdhsa_system_vgpr_workitem_id 2
		.amdhsa_next_free_vgpr 35
		.amdhsa_next_free_sgpr 44
		.amdhsa_reserve_vcc 1
		.amdhsa_float_round_mode_32 0
		.amdhsa_float_round_mode_16_64 0
		.amdhsa_float_denorm_mode_32 3
		.amdhsa_float_denorm_mode_16_64 3
		.amdhsa_dx10_clamp 1
		.amdhsa_ieee_mode 1
		.amdhsa_fp16_overflow 0
		.amdhsa_workgroup_processor_mode 1
		.amdhsa_memory_ordered 1
		.amdhsa_forward_progress 0
		.amdhsa_shared_vgpr_count 0
		.amdhsa_exception_fp_ieee_invalid_op 0
		.amdhsa_exception_fp_denorm_src 0
		.amdhsa_exception_fp_ieee_div_zero 0
		.amdhsa_exception_fp_ieee_overflow 0
		.amdhsa_exception_fp_ieee_underflow 0
		.amdhsa_exception_fp_ieee_inexact 0
		.amdhsa_exception_int_div_zero 0
	.end_amdhsa_kernel
	.section	.text._ZN9rocsparseL38csrgemm_numeric_fill_wf_per_row_kernelILj256ELj8ELj16ELj137Eii21rocsparse_complex_numIdEEEvT4_S3_PKS3_S5_NS_24const_host_device_scalarIT5_EEPKT3_S5_PKS7_SB_S5_SD_S8_SB_S5_SD_SB_S5_PS7_21rocsparse_index_base_SF_SF_SF_bbb,"axG",@progbits,_ZN9rocsparseL38csrgemm_numeric_fill_wf_per_row_kernelILj256ELj8ELj16ELj137Eii21rocsparse_complex_numIdEEEvT4_S3_PKS3_S5_NS_24const_host_device_scalarIT5_EEPKT3_S5_PKS7_SB_S5_SD_S8_SB_S5_SD_SB_S5_PS7_21rocsparse_index_base_SF_SF_SF_bbb,comdat
.Lfunc_end60:
	.size	_ZN9rocsparseL38csrgemm_numeric_fill_wf_per_row_kernelILj256ELj8ELj16ELj137Eii21rocsparse_complex_numIdEEEvT4_S3_PKS3_S5_NS_24const_host_device_scalarIT5_EEPKT3_S5_PKS7_SB_S5_SD_S8_SB_S5_SD_SB_S5_PS7_21rocsparse_index_base_SF_SF_SF_bbb, .Lfunc_end60-_ZN9rocsparseL38csrgemm_numeric_fill_wf_per_row_kernelILj256ELj8ELj16ELj137Eii21rocsparse_complex_numIdEEEvT4_S3_PKS3_S5_NS_24const_host_device_scalarIT5_EEPKT3_S5_PKS7_SB_S5_SD_S8_SB_S5_SD_SB_S5_PS7_21rocsparse_index_base_SF_SF_SF_bbb
                                        ; -- End function
	.section	.AMDGPU.csdata,"",@progbits
; Kernel info:
; codeLenInByte = 2908
; NumSgprs: 46
; NumVgprs: 35
; ScratchSize: 0
; MemoryBound: 0
; FloatMode: 240
; IeeeMode: 1
; LDSByteSize: 14336 bytes/workgroup (compile time only)
; SGPRBlocks: 5
; VGPRBlocks: 4
; NumSGPRsForWavesPerEU: 46
; NumVGPRsForWavesPerEU: 35
; Occupancy: 16
; WaveLimiterHint : 1
; COMPUTE_PGM_RSRC2:SCRATCH_EN: 0
; COMPUTE_PGM_RSRC2:USER_SGPR: 15
; COMPUTE_PGM_RSRC2:TRAP_HANDLER: 0
; COMPUTE_PGM_RSRC2:TGID_X_EN: 1
; COMPUTE_PGM_RSRC2:TGID_Y_EN: 0
; COMPUTE_PGM_RSRC2:TGID_Z_EN: 0
; COMPUTE_PGM_RSRC2:TIDIG_COMP_CNT: 2
	.section	.text._ZN9rocsparseL38csrgemm_numeric_fill_wf_per_row_kernelILj256ELj16ELj32ELj137Eii21rocsparse_complex_numIdEEEvT4_S3_PKS3_S5_NS_24const_host_device_scalarIT5_EEPKT3_S5_PKS7_SB_S5_SD_S8_SB_S5_SD_SB_S5_PS7_21rocsparse_index_base_SF_SF_SF_bbb,"axG",@progbits,_ZN9rocsparseL38csrgemm_numeric_fill_wf_per_row_kernelILj256ELj16ELj32ELj137Eii21rocsparse_complex_numIdEEEvT4_S3_PKS3_S5_NS_24const_host_device_scalarIT5_EEPKT3_S5_PKS7_SB_S5_SD_S8_SB_S5_SD_SB_S5_PS7_21rocsparse_index_base_SF_SF_SF_bbb,comdat
	.globl	_ZN9rocsparseL38csrgemm_numeric_fill_wf_per_row_kernelILj256ELj16ELj32ELj137Eii21rocsparse_complex_numIdEEEvT4_S3_PKS3_S5_NS_24const_host_device_scalarIT5_EEPKT3_S5_PKS7_SB_S5_SD_S8_SB_S5_SD_SB_S5_PS7_21rocsparse_index_base_SF_SF_SF_bbb ; -- Begin function _ZN9rocsparseL38csrgemm_numeric_fill_wf_per_row_kernelILj256ELj16ELj32ELj137Eii21rocsparse_complex_numIdEEEvT4_S3_PKS3_S5_NS_24const_host_device_scalarIT5_EEPKT3_S5_PKS7_SB_S5_SD_S8_SB_S5_SD_SB_S5_PS7_21rocsparse_index_base_SF_SF_SF_bbb
	.p2align	8
	.type	_ZN9rocsparseL38csrgemm_numeric_fill_wf_per_row_kernelILj256ELj16ELj32ELj137Eii21rocsparse_complex_numIdEEEvT4_S3_PKS3_S5_NS_24const_host_device_scalarIT5_EEPKT3_S5_PKS7_SB_S5_SD_S8_SB_S5_SD_SB_S5_PS7_21rocsparse_index_base_SF_SF_SF_bbb,@function
_ZN9rocsparseL38csrgemm_numeric_fill_wf_per_row_kernelILj256ELj16ELj32ELj137Eii21rocsparse_complex_numIdEEEvT4_S3_PKS3_S5_NS_24const_host_device_scalarIT5_EEPKT3_S5_PKS7_SB_S5_SD_S8_SB_S5_SD_SB_S5_PS7_21rocsparse_index_base_SF_SF_SF_bbb: ; @_ZN9rocsparseL38csrgemm_numeric_fill_wf_per_row_kernelILj256ELj16ELj32ELj137Eii21rocsparse_complex_numIdEEEvT4_S3_PKS3_S5_NS_24const_host_device_scalarIT5_EEPKT3_S5_PKS7_SB_S5_SD_S8_SB_S5_SD_SB_S5_PS7_21rocsparse_index_base_SF_SF_SF_bbb
; %bb.0:
	s_load_b32 s34, s[2:3], 0xa8
	s_load_b64 s[8:9], s[0:1], 0x4
	s_clause 0x1
	s_load_b128 s[4:7], s[2:3], 0x18
	s_load_b128 s[40:43], s[2:3], 0x58
	v_dual_mov_b32 v4, 0 :: v_dual_and_b32 v1, 0x3ff, v0
	s_load_b128 s[24:27], s[2:3], 0x98
	v_bfe_u32 v3, v0, 10, 10
	v_mov_b32_e32 v5, 0
	v_bfe_u32 v0, v0, 20, 10
	s_waitcnt lgkmcnt(0)
	s_bitcmp1_b32 s34, 0
	s_cselect_b32 s33, -1, 0
	s_bitcmp1_b32 s34, 16
	v_mov_b32_e32 v6, s40
	s_cselect_b32 s0, -1, 0
	s_lshr_b32 s1, s8, 16
	s_delay_alu instid0(SALU_CYCLE_1) | instskip(NEXT) | instid1(SALU_CYCLE_1)
	s_mul_i32 s1, s1, s9
	v_mul_lo_u32 v2, s1, v1
	s_xor_b32 s1, s0, -1
	s_bitcmp0_b32 s34, 0
	v_cndmask_b32_e64 v8, 0, 1, s1
	s_delay_alu instid0(VALU_DEP_2) | instskip(SKIP_1) | instid1(VALU_DEP_3)
	v_mad_u32_u24 v9, v3, s9, v2
	v_dual_mov_b32 v2, s4 :: v_dual_mov_b32 v3, s5
	v_cmp_ne_u32_e32 vcc_lo, 1, v8
	v_mov_b32_e32 v11, v5
	s_delay_alu instid0(VALU_DEP_4)
	v_add_lshl_u32 v0, v9, v0, 3
	v_dual_mov_b32 v9, v5 :: v_dual_mov_b32 v10, v4
	v_dual_mov_b32 v7, s41 :: v_dual_mov_b32 v8, v4
	ds_store_2addr_stride64_b64 v0, v[6:7], v[2:3] offset0:20 offset1:24
	s_cbranch_scc1 .LBB61_3
; %bb.1:
	s_mov_b64 s[8:9], src_shared_base
	s_and_b32 s8, s0, exec_lo
	s_cselect_b32 s8, s9, s5
	s_delay_alu instid0(SALU_CYCLE_1) | instskip(SKIP_2) | instid1(VALU_DEP_2)
	v_dual_mov_b32 v3, s8 :: v_dual_add_nc_u32 v2, 0x3000, v0
	v_dual_mov_b32 v11, s7 :: v_dual_mov_b32 v10, s6
	s_and_b32 vcc_lo, exec_lo, vcc_lo
	v_cndmask_b32_e64 v2, s4, v2, s0
	flat_load_b64 v[8:9], v[2:3]
	s_cbranch_vccnz .LBB61_3
; %bb.2:
	v_dual_mov_b32 v2, s4 :: v_dual_mov_b32 v3, s5
	flat_load_b64 v[10:11], v[2:3] offset:8
.LBB61_3:
	s_clause 0x4
	s_load_b64 s[12:13], s[2:3], 0x90
	s_load_b256 s[4:11], s[2:3], 0x68
	s_load_b128 s[28:31], s[2:3], 0x48
	s_load_b128 s[36:39], s[2:3], 0x8
	s_load_b256 s[16:23], s[2:3], 0x28
	s_bitcmp1_b32 s34, 8
	v_dual_mov_b32 v7, v5 :: v_dual_mov_b32 v6, v4
	s_cselect_b32 s14, -1, 0
	s_bfe_u32 s34, s34, 0x10008
	s_delay_alu instid0(SALU_CYCLE_1)
	s_cmp_eq_u32 s34, 0
	s_cbranch_scc1 .LBB61_6
; %bb.4:
	s_mov_b64 s[34:35], src_shared_base
	s_and_b32 s34, s0, exec_lo
	s_cselect_b32 s34, s35, s41
	s_delay_alu instid0(SALU_CYCLE_1) | instskip(SKIP_2) | instid1(VALU_DEP_2)
	v_dual_mov_b32 v3, s34 :: v_dual_add_nc_u32 v0, 0x2800, v0
	v_dual_mov_b32 v4, s42 :: v_dual_mov_b32 v5, s43
	s_and_not1_b32 vcc_lo, exec_lo, s1
	v_cndmask_b32_e64 v2, s40, v0, s0
	flat_load_b64 v[6:7], v[2:3]
	s_cbranch_vccnz .LBB61_6
; %bb.5:
	v_dual_mov_b32 v2, s40 :: v_dual_mov_b32 v3, s41
	flat_load_b64 v[4:5], v[2:3] offset:8
.LBB61_6:
	v_lshrrev_b32_e32 v12, 4, v1
	v_mov_b32_e32 v0, 0
	v_and_b32_e32 v28, 15, v1
	s_load_b64 s[0:1], s[2:3], 0x0
	s_mov_b32 s2, 0
	v_lshlrev_b32_e32 v1, 7, v12
	s_delay_alu instid0(VALU_DEP_2) | instskip(NEXT) | instid1(VALU_DEP_1)
	v_lshlrev_b32_e32 v2, 2, v28
	v_or3_b32 v24, v1, v2, 0x2000
	s_delay_alu instid0(VALU_DEP_1)
	v_mov_b32_e32 v13, v24
	v_mov_b32_e32 v1, v0
	v_lshlrev_b32_e32 v3, 4, v28
	v_or_b32_e32 v23, -16, v28
	s_waitcnt lgkmcnt(0)
	v_dual_mov_b32 v2, v0 :: v_dual_mov_b32 v15, s1
	s_delay_alu instid0(VALU_DEP_3) | instskip(NEXT) | instid1(VALU_DEP_3)
	v_lshl_or_b32 v25, v12, 9, v3
	v_dual_mov_b32 v16, v23 :: v_dual_mov_b32 v3, v0
	s_delay_alu instid0(VALU_DEP_2)
	v_mov_b32_e32 v14, v25
.LBB61_7:                               ; =>This Inner Loop Header: Depth=1
	s_delay_alu instid0(VALU_DEP_2) | instskip(NEXT) | instid1(VALU_DEP_1)
	v_add_co_u32 v16, s3, v16, 16
	s_xor_b32 s3, s3, -1
	ds_store_b32 v13, v15
	ds_store_b128 v14, v[0:3]
	v_add_nc_u32_e32 v14, 0x100, v14
	v_add_nc_u32_e32 v13, 64, v13
	s_and_b32 s3, exec_lo, s3
	s_delay_alu instid0(SALU_CYCLE_1) | instskip(NEXT) | instid1(SALU_CYCLE_1)
	s_or_b32 s2, s3, s2
	s_and_not1_b32 exec_lo, exec_lo, s2
	s_cbranch_execnz .LBB61_7
; %bb.8:
	s_or_b32 exec_lo, exec_lo, s2
	s_lshl_b32 s2, s15, 4
	s_waitcnt vmcnt(0) lgkmcnt(0)
	buffer_gl0_inv
	v_and_or_b32 v0, 0xffffff0, s2, v12
	s_delay_alu instid0(VALU_DEP_1)
	v_cmp_gt_i32_e32 vcc_lo, s0, v0
	s_and_saveexec_b32 s0, vcc_lo
	s_cbranch_execz .LBB61_68
; %bb.9:
	s_cmp_eq_u64 s[38:39], 0
	s_cbranch_scc1 .LBB61_11
; %bb.10:
	s_load_b32 s0, s[36:37], 0x0
	s_waitcnt lgkmcnt(0)
	v_add_nc_u32_e32 v0, s0, v0
	s_delay_alu instid0(VALU_DEP_1) | instskip(NEXT) | instid1(VALU_DEP_1)
	v_ashrrev_i32_e32 v1, 31, v0
	v_lshlrev_b64 v[0:1], 2, v[0:1]
	s_delay_alu instid0(VALU_DEP_1) | instskip(NEXT) | instid1(VALU_DEP_2)
	v_add_co_u32 v0, vcc_lo, s38, v0
	v_add_co_ci_u32_e32 v1, vcc_lo, s39, v1, vcc_lo
	global_load_b32 v0, v[0:1], off
.LBB61_11:
	s_waitcnt vmcnt(0)
	v_ashrrev_i32_e32 v1, 31, v0
	v_lshl_or_b32 v26, v12, 7, 0x2000
	v_lshlrev_b32_e32 v27, 9, v12
	s_and_not1_b32 vcc_lo, exec_lo, s33
	s_delay_alu instid0(VALU_DEP_3)
	v_lshlrev_b64 v[0:1], 2, v[0:1]
	s_cbranch_vccnz .LBB61_39
; %bb.12:
	s_delay_alu instid0(VALU_DEP_1) | instskip(NEXT) | instid1(VALU_DEP_2)
	v_add_co_u32 v2, vcc_lo, s16, v0
	v_add_co_ci_u32_e32 v3, vcc_lo, s17, v1, vcc_lo
	v_subrev_nc_u32_e32 v12, s24, v28
	s_mov_b32 s0, exec_lo
	global_load_b64 v[2:3], v[2:3], off
	s_waitcnt vmcnt(0)
	v_subrev_nc_u32_e32 v29, s24, v3
	v_add_nc_u32_e32 v2, v2, v12
	s_delay_alu instid0(VALU_DEP_1)
	v_cmpx_lt_i32_e64 v2, v29
	s_cbranch_execz .LBB61_38
; %bb.13:
	s_mov_b32 s2, 0
	s_branch .LBB61_15
.LBB61_14:                              ;   in Loop: Header=BB61_15 Depth=1
	s_or_b32 exec_lo, exec_lo, s3
	v_add_nc_u32_e32 v2, 16, v2
	s_delay_alu instid0(VALU_DEP_1) | instskip(SKIP_1) | instid1(SALU_CYCLE_1)
	v_cmp_ge_i32_e32 vcc_lo, v2, v29
	s_or_b32 s2, vcc_lo, s2
	s_and_not1_b32 exec_lo, exec_lo, s2
	s_cbranch_execz .LBB61_38
.LBB61_15:                              ; =>This Loop Header: Depth=1
                                        ;     Child Loop BB61_18 Depth 2
                                        ;       Child Loop BB61_20 Depth 3
                                        ;         Child Loop BB61_26 Depth 4
                                        ;         Child Loop BB61_28 Depth 4
	;; [unrolled: 1-line block ×4, first 2 shown]
	v_ashrrev_i32_e32 v3, 31, v2
	s_mov_b32 s3, exec_lo
	s_delay_alu instid0(VALU_DEP_1) | instskip(NEXT) | instid1(VALU_DEP_1)
	v_lshlrev_b64 v[12:13], 2, v[2:3]
	v_add_co_u32 v12, vcc_lo, s18, v12
	s_delay_alu instid0(VALU_DEP_2) | instskip(SKIP_3) | instid1(VALU_DEP_1)
	v_add_co_ci_u32_e32 v13, vcc_lo, s19, v13, vcc_lo
	global_load_b32 v12, v[12:13], off
	s_waitcnt vmcnt(0)
	v_subrev_nc_u32_e32 v12, s24, v12
	v_ashrrev_i32_e32 v13, 31, v12
	s_delay_alu instid0(VALU_DEP_1) | instskip(NEXT) | instid1(VALU_DEP_1)
	v_lshlrev_b64 v[12:13], 2, v[12:13]
	v_add_co_u32 v12, vcc_lo, s22, v12
	s_delay_alu instid0(VALU_DEP_2)
	v_add_co_ci_u32_e32 v13, vcc_lo, s23, v13, vcc_lo
	global_load_b64 v[16:17], v[12:13], off
	s_waitcnt vmcnt(0)
	v_cmpx_lt_i32_e64 v16, v17
	s_cbranch_execz .LBB61_14
; %bb.16:                               ;   in Loop: Header=BB61_15 Depth=1
	v_lshlrev_b64 v[12:13], 4, v[2:3]
	v_subrev_nc_u32_e32 v3, s25, v17
	v_subrev_nc_u32_e32 v16, s25, v16
	s_mov_b32 s15, 0
	s_delay_alu instid0(VALU_DEP_3) | instskip(NEXT) | instid1(VALU_DEP_4)
	v_add_co_u32 v12, vcc_lo, s20, v12
	v_add_co_ci_u32_e32 v13, vcc_lo, s21, v13, vcc_lo
	global_load_b128 v[18:21], v[12:13], off
	s_waitcnt vmcnt(0)
	v_mul_f64 v[12:13], v[20:21], -v[10:11]
	v_mul_f64 v[14:15], v[8:9], v[20:21]
	s_delay_alu instid0(VALU_DEP_2) | instskip(NEXT) | instid1(VALU_DEP_2)
	v_fma_f64 v[12:13], v[8:9], v[18:19], v[12:13]
	v_fma_f64 v[14:15], v[10:11], v[18:19], v[14:15]
	s_branch .LBB61_18
.LBB61_17:                              ;   in Loop: Header=BB61_18 Depth=2
	s_or_b32 exec_lo, exec_lo, s16
	v_add_nc_u32_e32 v16, 1, v16
	s_delay_alu instid0(VALU_DEP_1) | instskip(SKIP_1) | instid1(SALU_CYCLE_1)
	v_cmp_ge_i32_e32 vcc_lo, v16, v3
	s_or_b32 s15, vcc_lo, s15
	s_and_not1_b32 exec_lo, exec_lo, s15
	s_cbranch_execz .LBB61_14
.LBB61_18:                              ;   Parent Loop BB61_15 Depth=1
                                        ; =>  This Loop Header: Depth=2
                                        ;       Child Loop BB61_20 Depth 3
                                        ;         Child Loop BB61_26 Depth 4
                                        ;         Child Loop BB61_28 Depth 4
	;; [unrolled: 1-line block ×4, first 2 shown]
	v_ashrrev_i32_e32 v17, 31, v16
	s_mov_b32 s16, 0
	s_delay_alu instid0(VALU_DEP_1) | instskip(NEXT) | instid1(VALU_DEP_1)
	v_lshlrev_b64 v[18:19], 4, v[16:17]
	v_add_co_u32 v18, vcc_lo, s30, v18
	s_delay_alu instid0(VALU_DEP_2) | instskip(SKIP_2) | instid1(VALU_DEP_1)
	v_add_co_ci_u32_e32 v19, vcc_lo, s31, v19, vcc_lo
	global_load_b128 v[19:22], v[18:19], off
	v_lshlrev_b64 v[17:18], 2, v[16:17]
	v_add_co_u32 v17, vcc_lo, s28, v17
	s_delay_alu instid0(VALU_DEP_2)
	v_add_co_ci_u32_e32 v18, vcc_lo, s29, v18, vcc_lo
	global_load_b32 v30, v[17:18], off
	s_waitcnt vmcnt(1)
	v_mul_f64 v[17:18], v[21:22], -v[14:15]
	v_mul_f64 v[21:22], v[12:13], v[21:22]
	s_waitcnt vmcnt(0)
	v_subrev_nc_u32_e32 v30, s25, v30
	s_delay_alu instid0(VALU_DEP_3) | instskip(NEXT) | instid1(VALU_DEP_3)
	v_fma_f64 v[17:18], v[12:13], v[19:20], v[17:18]
	v_fma_f64 v[19:20], v[14:15], v[19:20], v[21:22]
	s_delay_alu instid0(VALU_DEP_3) | instskip(NEXT) | instid1(VALU_DEP_1)
	v_lshl_add_u32 v21, v30, 3, v30
	v_and_b32_e32 v31, 31, v21
	s_branch .LBB61_20
.LBB61_19:                              ;   in Loop: Header=BB61_20 Depth=3
	s_or_b32 exec_lo, exec_lo, s17
	s_xor_b32 s17, s33, -1
	s_delay_alu instid0(SALU_CYCLE_1) | instskip(NEXT) | instid1(SALU_CYCLE_1)
	s_and_b32 s17, exec_lo, s17
	s_or_b32 s16, s17, s16
	s_delay_alu instid0(SALU_CYCLE_1)
	s_and_not1_b32 exec_lo, exec_lo, s16
	s_cbranch_execz .LBB61_17
.LBB61_20:                              ;   Parent Loop BB61_15 Depth=1
                                        ;     Parent Loop BB61_18 Depth=2
                                        ; =>    This Loop Header: Depth=3
                                        ;         Child Loop BB61_26 Depth 4
                                        ;         Child Loop BB61_28 Depth 4
	;; [unrolled: 1-line block ×4, first 2 shown]
	s_delay_alu instid0(VALU_DEP_1)
	v_lshl_add_u32 v21, v31, 2, v26
	s_mov_b32 s17, exec_lo
                                        ; implicit-def: $sgpr33
	ds_load_b32 v22, v21
	s_waitcnt lgkmcnt(0)
	v_cmpx_ne_u32_e64 v22, v30
	s_xor_b32 s17, exec_lo, s17
	s_cbranch_execz .LBB61_32
; %bb.21:                               ;   in Loop: Header=BB61_20 Depth=3
	s_mov_b32 s34, exec_lo
                                        ; implicit-def: $sgpr33
	v_cmpx_ne_u32_e64 s1, v22
	s_xor_b32 s34, exec_lo, s34
; %bb.22:                               ;   in Loop: Header=BB61_20 Depth=3
	v_add_nc_u32_e32 v21, 1, v31
	s_mov_b32 s33, -1
	s_delay_alu instid0(VALU_DEP_1)
	v_and_b32_e32 v31, 31, v21
                                        ; implicit-def: $vgpr21
; %bb.23:                               ;   in Loop: Header=BB61_20 Depth=3
	s_and_not1_saveexec_b32 s34, s34
	s_cbranch_execz .LBB61_31
; %bb.24:                               ;   in Loop: Header=BB61_20 Depth=3
	v_mov_b32_e32 v22, s1
	s_mov_b32 s36, -1
	s_mov_b32 s35, exec_lo
	ds_cmpstore_rtn_b32 v21, v21, v30, v22
	s_waitcnt lgkmcnt(0)
	v_cmpx_eq_u32_e64 s1, v21
	s_cbranch_execz .LBB61_30
; %bb.25:                               ;   in Loop: Header=BB61_20 Depth=3
	v_lshl_add_u32 v32, v31, 4, v27
	s_mov_b32 s36, 0
	ds_load_b64 v[21:22], v32
.LBB61_26:                              ;   Parent Loop BB61_15 Depth=1
                                        ;     Parent Loop BB61_18 Depth=2
                                        ;       Parent Loop BB61_20 Depth=3
                                        ; =>      This Inner Loop Header: Depth=4
	s_waitcnt lgkmcnt(0)
	v_add_f64 v[33:34], v[21:22], v[17:18]
	ds_cmpstore_rtn_b64 v[33:34], v32, v[33:34], v[21:22]
	s_waitcnt lgkmcnt(0)
	v_cmp_eq_u64_e32 vcc_lo, v[33:34], v[21:22]
	v_dual_mov_b32 v21, v33 :: v_dual_mov_b32 v22, v34
	s_or_b32 s36, vcc_lo, s36
	s_delay_alu instid0(SALU_CYCLE_1)
	s_and_not1_b32 exec_lo, exec_lo, s36
	s_cbranch_execnz .LBB61_26
; %bb.27:                               ;   in Loop: Header=BB61_20 Depth=3
	s_or_b32 exec_lo, exec_lo, s36
	ds_load_b64 v[21:22], v32 offset:8
	s_mov_b32 s36, 0
.LBB61_28:                              ;   Parent Loop BB61_15 Depth=1
                                        ;     Parent Loop BB61_18 Depth=2
                                        ;       Parent Loop BB61_20 Depth=3
                                        ; =>      This Inner Loop Header: Depth=4
	s_waitcnt lgkmcnt(0)
	v_add_f64 v[33:34], v[21:22], v[19:20]
	ds_cmpstore_rtn_b64 v[33:34], v32, v[33:34], v[21:22] offset:8
	s_waitcnt lgkmcnt(0)
	v_cmp_eq_u64_e32 vcc_lo, v[33:34], v[21:22]
	v_dual_mov_b32 v21, v33 :: v_dual_mov_b32 v22, v34
	s_or_b32 s36, vcc_lo, s36
	s_delay_alu instid0(SALU_CYCLE_1)
	s_and_not1_b32 exec_lo, exec_lo, s36
	s_cbranch_execnz .LBB61_28
; %bb.29:                               ;   in Loop: Header=BB61_20 Depth=3
	s_or_b32 exec_lo, exec_lo, s36
	s_delay_alu instid0(SALU_CYCLE_1)
	s_xor_b32 s36, exec_lo, -1
.LBB61_30:                              ;   in Loop: Header=BB61_20 Depth=3
	s_or_b32 exec_lo, exec_lo, s35
	s_delay_alu instid0(SALU_CYCLE_1) | instskip(SKIP_1) | instid1(SALU_CYCLE_1)
	s_and_not1_b32 s33, s33, exec_lo
	s_and_b32 s35, s36, exec_lo
	s_or_b32 s33, s33, s35
.LBB61_31:                              ;   in Loop: Header=BB61_20 Depth=3
	s_or_b32 exec_lo, exec_lo, s34
	s_delay_alu instid0(SALU_CYCLE_1)
	s_and_b32 s33, s33, exec_lo
.LBB61_32:                              ;   in Loop: Header=BB61_20 Depth=3
	s_and_not1_saveexec_b32 s17, s17
	s_cbranch_execz .LBB61_19
; %bb.33:                               ;   in Loop: Header=BB61_20 Depth=3
	v_lshl_add_u32 v32, v31, 4, v27
	s_mov_b32 s34, 0
	ds_load_b64 v[21:22], v32
.LBB61_34:                              ;   Parent Loop BB61_15 Depth=1
                                        ;     Parent Loop BB61_18 Depth=2
                                        ;       Parent Loop BB61_20 Depth=3
                                        ; =>      This Inner Loop Header: Depth=4
	s_waitcnt lgkmcnt(0)
	v_add_f64 v[33:34], v[21:22], v[17:18]
	ds_cmpstore_rtn_b64 v[33:34], v32, v[33:34], v[21:22]
	s_waitcnt lgkmcnt(0)
	v_cmp_eq_u64_e32 vcc_lo, v[33:34], v[21:22]
	v_dual_mov_b32 v21, v33 :: v_dual_mov_b32 v22, v34
	s_or_b32 s34, vcc_lo, s34
	s_delay_alu instid0(SALU_CYCLE_1)
	s_and_not1_b32 exec_lo, exec_lo, s34
	s_cbranch_execnz .LBB61_34
; %bb.35:                               ;   in Loop: Header=BB61_20 Depth=3
	s_or_b32 exec_lo, exec_lo, s34
	ds_load_b64 v[21:22], v32 offset:8
	s_mov_b32 s34, 0
.LBB61_36:                              ;   Parent Loop BB61_15 Depth=1
                                        ;     Parent Loop BB61_18 Depth=2
                                        ;       Parent Loop BB61_20 Depth=3
                                        ; =>      This Inner Loop Header: Depth=4
	s_waitcnt lgkmcnt(0)
	v_add_f64 v[33:34], v[21:22], v[19:20]
	ds_cmpstore_rtn_b64 v[33:34], v32, v[33:34], v[21:22] offset:8
	s_waitcnt lgkmcnt(0)
	v_cmp_eq_u64_e32 vcc_lo, v[33:34], v[21:22]
	v_dual_mov_b32 v21, v33 :: v_dual_mov_b32 v22, v34
	s_or_b32 s34, vcc_lo, s34
	s_delay_alu instid0(SALU_CYCLE_1)
	s_and_not1_b32 exec_lo, exec_lo, s34
	s_cbranch_execnz .LBB61_36
; %bb.37:                               ;   in Loop: Header=BB61_20 Depth=3
	s_or_b32 exec_lo, exec_lo, s34
	s_delay_alu instid0(SALU_CYCLE_1)
	s_and_not1_b32 s33, s33, exec_lo
	s_branch .LBB61_19
.LBB61_38:
	s_or_b32 exec_lo, exec_lo, s0
.LBB61_39:
	s_delay_alu instid0(SALU_CYCLE_1)
	s_and_not1_b32 vcc_lo, exec_lo, s14
	s_cbranch_vccnz .LBB61_64
; %bb.40:
	s_delay_alu instid0(VALU_DEP_1) | instskip(NEXT) | instid1(VALU_DEP_2)
	v_add_co_u32 v2, vcc_lo, s4, v0
	v_add_co_ci_u32_e32 v3, vcc_lo, s5, v1, vcc_lo
	v_subrev_nc_u32_e32 v8, s27, v28
	s_mov_b32 s0, exec_lo
	global_load_b64 v[2:3], v[2:3], off
	s_waitcnt vmcnt(0)
	v_subrev_nc_u32_e32 v14, s27, v3
	v_add_nc_u32_e32 v2, v2, v8
	s_delay_alu instid0(VALU_DEP_1)
	v_cmpx_lt_i32_e64 v2, v14
	s_cbranch_execz .LBB61_63
; %bb.41:
	s_mov_b32 s2, 0
	s_branch .LBB61_43
.LBB61_42:                              ;   in Loop: Header=BB61_43 Depth=1
	s_or_b32 exec_lo, exec_lo, s3
	v_add_nc_u32_e32 v2, 16, v2
	s_delay_alu instid0(VALU_DEP_1) | instskip(SKIP_1) | instid1(SALU_CYCLE_1)
	v_cmp_ge_i32_e32 vcc_lo, v2, v14
	s_or_b32 s2, vcc_lo, s2
	s_and_not1_b32 exec_lo, exec_lo, s2
	s_cbranch_execz .LBB61_63
.LBB61_43:                              ; =>This Loop Header: Depth=1
                                        ;     Child Loop BB61_45 Depth 2
                                        ;       Child Loop BB61_51 Depth 3
                                        ;       Child Loop BB61_53 Depth 3
	;; [unrolled: 1-line block ×4, first 2 shown]
	v_ashrrev_i32_e32 v3, 31, v2
	s_mov_b32 s3, 0
	s_delay_alu instid0(VALU_DEP_1) | instskip(NEXT) | instid1(VALU_DEP_1)
	v_lshlrev_b64 v[8:9], 4, v[2:3]
	v_add_co_u32 v8, vcc_lo, s8, v8
	s_delay_alu instid0(VALU_DEP_2) | instskip(SKIP_2) | instid1(VALU_DEP_1)
	v_add_co_ci_u32_e32 v9, vcc_lo, s9, v9, vcc_lo
	global_load_b128 v[10:13], v[8:9], off
	v_lshlrev_b64 v[8:9], 2, v[2:3]
	v_add_co_u32 v8, vcc_lo, s6, v8
	s_delay_alu instid0(VALU_DEP_2)
	v_add_co_ci_u32_e32 v9, vcc_lo, s7, v9, vcc_lo
	global_load_b32 v3, v[8:9], off
	s_waitcnt vmcnt(1)
	v_mul_f64 v[8:9], v[12:13], -v[4:5]
	v_mul_f64 v[12:13], v[6:7], v[12:13]
	s_waitcnt vmcnt(0)
	v_subrev_nc_u32_e32 v3, s27, v3
	s_delay_alu instid0(VALU_DEP_3) | instskip(NEXT) | instid1(VALU_DEP_3)
	v_fma_f64 v[8:9], v[6:7], v[10:11], v[8:9]
	v_fma_f64 v[10:11], v[4:5], v[10:11], v[12:13]
	s_delay_alu instid0(VALU_DEP_3) | instskip(NEXT) | instid1(VALU_DEP_1)
	v_lshl_add_u32 v12, v3, 3, v3
	v_and_b32_e32 v15, 31, v12
	s_branch .LBB61_45
.LBB61_44:                              ;   in Loop: Header=BB61_45 Depth=2
	s_or_b32 exec_lo, exec_lo, s4
	s_xor_b32 s4, s5, -1
	s_delay_alu instid0(SALU_CYCLE_1) | instskip(NEXT) | instid1(SALU_CYCLE_1)
	s_and_b32 s4, exec_lo, s4
	s_or_b32 s3, s4, s3
	s_delay_alu instid0(SALU_CYCLE_1)
	s_and_not1_b32 exec_lo, exec_lo, s3
	s_cbranch_execz .LBB61_42
.LBB61_45:                              ;   Parent Loop BB61_43 Depth=1
                                        ; =>  This Loop Header: Depth=2
                                        ;       Child Loop BB61_51 Depth 3
                                        ;       Child Loop BB61_53 Depth 3
	;; [unrolled: 1-line block ×4, first 2 shown]
	s_delay_alu instid0(VALU_DEP_1)
	v_lshl_add_u32 v12, v15, 2, v26
	s_mov_b32 s4, exec_lo
                                        ; implicit-def: $sgpr5
	ds_load_b32 v13, v12
	s_waitcnt lgkmcnt(0)
	v_cmpx_ne_u32_e64 v13, v3
	s_xor_b32 s4, exec_lo, s4
	s_cbranch_execz .LBB61_57
; %bb.46:                               ;   in Loop: Header=BB61_45 Depth=2
	s_mov_b32 s14, exec_lo
                                        ; implicit-def: $sgpr5
	v_cmpx_ne_u32_e64 s1, v13
	s_xor_b32 s14, exec_lo, s14
; %bb.47:                               ;   in Loop: Header=BB61_45 Depth=2
	v_add_nc_u32_e32 v12, 1, v15
	s_mov_b32 s5, -1
	s_delay_alu instid0(VALU_DEP_1)
	v_and_b32_e32 v15, 31, v12
                                        ; implicit-def: $vgpr12
; %bb.48:                               ;   in Loop: Header=BB61_45 Depth=2
	s_and_not1_saveexec_b32 s14, s14
	s_cbranch_execz .LBB61_56
; %bb.49:                               ;   in Loop: Header=BB61_45 Depth=2
	v_mov_b32_e32 v13, s1
	s_mov_b32 s16, -1
	s_mov_b32 s15, exec_lo
	ds_cmpstore_rtn_b32 v12, v12, v3, v13
	s_waitcnt lgkmcnt(0)
	v_cmpx_eq_u32_e64 s1, v12
	s_cbranch_execz .LBB61_55
; %bb.50:                               ;   in Loop: Header=BB61_45 Depth=2
	v_lshl_add_u32 v16, v15, 4, v27
	s_mov_b32 s16, 0
	ds_load_b64 v[12:13], v16
.LBB61_51:                              ;   Parent Loop BB61_43 Depth=1
                                        ;     Parent Loop BB61_45 Depth=2
                                        ; =>    This Inner Loop Header: Depth=3
	s_waitcnt lgkmcnt(0)
	v_add_f64 v[17:18], v[12:13], v[8:9]
	ds_cmpstore_rtn_b64 v[17:18], v16, v[17:18], v[12:13]
	s_waitcnt lgkmcnt(0)
	v_cmp_eq_u64_e32 vcc_lo, v[17:18], v[12:13]
	v_dual_mov_b32 v12, v17 :: v_dual_mov_b32 v13, v18
	s_or_b32 s16, vcc_lo, s16
	s_delay_alu instid0(SALU_CYCLE_1)
	s_and_not1_b32 exec_lo, exec_lo, s16
	s_cbranch_execnz .LBB61_51
; %bb.52:                               ;   in Loop: Header=BB61_45 Depth=2
	s_or_b32 exec_lo, exec_lo, s16
	ds_load_b64 v[12:13], v16 offset:8
	s_mov_b32 s16, 0
.LBB61_53:                              ;   Parent Loop BB61_43 Depth=1
                                        ;     Parent Loop BB61_45 Depth=2
                                        ; =>    This Inner Loop Header: Depth=3
	s_waitcnt lgkmcnt(0)
	v_add_f64 v[17:18], v[12:13], v[10:11]
	ds_cmpstore_rtn_b64 v[17:18], v16, v[17:18], v[12:13] offset:8
	s_waitcnt lgkmcnt(0)
	v_cmp_eq_u64_e32 vcc_lo, v[17:18], v[12:13]
	v_dual_mov_b32 v12, v17 :: v_dual_mov_b32 v13, v18
	s_or_b32 s16, vcc_lo, s16
	s_delay_alu instid0(SALU_CYCLE_1)
	s_and_not1_b32 exec_lo, exec_lo, s16
	s_cbranch_execnz .LBB61_53
; %bb.54:                               ;   in Loop: Header=BB61_45 Depth=2
	s_or_b32 exec_lo, exec_lo, s16
	s_delay_alu instid0(SALU_CYCLE_1)
	s_xor_b32 s16, exec_lo, -1
.LBB61_55:                              ;   in Loop: Header=BB61_45 Depth=2
	s_or_b32 exec_lo, exec_lo, s15
	s_delay_alu instid0(SALU_CYCLE_1) | instskip(SKIP_1) | instid1(SALU_CYCLE_1)
	s_and_not1_b32 s5, s5, exec_lo
	s_and_b32 s15, s16, exec_lo
	s_or_b32 s5, s5, s15
.LBB61_56:                              ;   in Loop: Header=BB61_45 Depth=2
	s_or_b32 exec_lo, exec_lo, s14
	s_delay_alu instid0(SALU_CYCLE_1)
	s_and_b32 s5, s5, exec_lo
.LBB61_57:                              ;   in Loop: Header=BB61_45 Depth=2
	s_and_not1_saveexec_b32 s4, s4
	s_cbranch_execz .LBB61_44
; %bb.58:                               ;   in Loop: Header=BB61_45 Depth=2
	v_lshl_add_u32 v16, v15, 4, v27
	s_mov_b32 s14, 0
	ds_load_b64 v[12:13], v16
.LBB61_59:                              ;   Parent Loop BB61_43 Depth=1
                                        ;     Parent Loop BB61_45 Depth=2
                                        ; =>    This Inner Loop Header: Depth=3
	s_waitcnt lgkmcnt(0)
	v_add_f64 v[17:18], v[12:13], v[8:9]
	ds_cmpstore_rtn_b64 v[17:18], v16, v[17:18], v[12:13]
	s_waitcnt lgkmcnt(0)
	v_cmp_eq_u64_e32 vcc_lo, v[17:18], v[12:13]
	v_dual_mov_b32 v12, v17 :: v_dual_mov_b32 v13, v18
	s_or_b32 s14, vcc_lo, s14
	s_delay_alu instid0(SALU_CYCLE_1)
	s_and_not1_b32 exec_lo, exec_lo, s14
	s_cbranch_execnz .LBB61_59
; %bb.60:                               ;   in Loop: Header=BB61_45 Depth=2
	s_or_b32 exec_lo, exec_lo, s14
	ds_load_b64 v[12:13], v16 offset:8
	s_mov_b32 s14, 0
.LBB61_61:                              ;   Parent Loop BB61_43 Depth=1
                                        ;     Parent Loop BB61_45 Depth=2
                                        ; =>    This Inner Loop Header: Depth=3
	s_waitcnt lgkmcnt(0)
	v_add_f64 v[17:18], v[12:13], v[10:11]
	ds_cmpstore_rtn_b64 v[17:18], v16, v[17:18], v[12:13] offset:8
	s_waitcnt lgkmcnt(0)
	v_cmp_eq_u64_e32 vcc_lo, v[17:18], v[12:13]
	v_dual_mov_b32 v12, v17 :: v_dual_mov_b32 v13, v18
	s_or_b32 s14, vcc_lo, s14
	s_delay_alu instid0(SALU_CYCLE_1)
	s_and_not1_b32 exec_lo, exec_lo, s14
	s_cbranch_execnz .LBB61_61
; %bb.62:                               ;   in Loop: Header=BB61_45 Depth=2
	s_or_b32 exec_lo, exec_lo, s14
	s_delay_alu instid0(SALU_CYCLE_1)
	s_and_not1_b32 s5, s5, exec_lo
	s_branch .LBB61_44
.LBB61_63:
	s_or_b32 exec_lo, exec_lo, s0
.LBB61_64:
	s_delay_alu instid0(VALU_DEP_1) | instskip(NEXT) | instid1(VALU_DEP_2)
	v_add_co_u32 v0, vcc_lo, s10, v0
	v_add_co_ci_u32_e32 v1, vcc_lo, s11, v1, vcc_lo
	buffer_gl0_inv
	s_mov_b32 s0, 0
	global_load_b32 v0, v[0:1], off
	s_waitcnt vmcnt(0)
	v_subrev_nc_u32_e32 v0, s26, v0
	s_branch .LBB61_66
.LBB61_65:                              ;   in Loop: Header=BB61_66 Depth=1
	s_or_b32 exec_lo, exec_lo, s2
	v_add_co_u32 v23, s2, v23, 16
	s_delay_alu instid0(VALU_DEP_1) | instskip(SKIP_3) | instid1(SALU_CYCLE_1)
	s_xor_b32 s2, s2, -1
	v_add_nc_u32_e32 v25, 0x100, v25
	v_add_nc_u32_e32 v24, 64, v24
	s_and_b32 s2, exec_lo, s2
	s_or_b32 s0, s2, s0
	s_delay_alu instid0(SALU_CYCLE_1)
	s_and_not1_b32 exec_lo, exec_lo, s0
	s_cbranch_execz .LBB61_68
.LBB61_66:                              ; =>This Inner Loop Header: Depth=1
	ds_load_b32 v1, v24
	s_mov_b32 s2, exec_lo
	s_waitcnt lgkmcnt(0)
	v_cmpx_gt_i32_e64 s1, v1
	s_cbranch_execz .LBB61_65
; %bb.67:                               ;   in Loop: Header=BB61_66 Depth=1
	ds_load_b128 v[2:5], v26
	ds_load_b128 v[6:9], v26 offset:16
	ds_load_b128 v[10:13], v26 offset:32
	;; [unrolled: 1-line block ×7, first 2 shown]
	s_waitcnt lgkmcnt(7)
	v_cmp_gt_i32_e32 vcc_lo, v1, v2
	v_cndmask_b32_e64 v2, 0, 1, vcc_lo
	v_cmp_gt_i32_e32 vcc_lo, v1, v4
	v_cndmask_b32_e64 v4, 0, 1, vcc_lo
	v_cmp_gt_i32_e32 vcc_lo, v1, v3
	s_delay_alu instid0(VALU_DEP_4)
	v_add_co_ci_u32_e32 v2, vcc_lo, v0, v2, vcc_lo
	s_waitcnt lgkmcnt(6)
	v_cmp_gt_i32_e32 vcc_lo, v1, v6
	v_cndmask_b32_e64 v3, 0, 1, vcc_lo
	v_cmp_gt_i32_e32 vcc_lo, v1, v5
	v_add_co_ci_u32_e32 v2, vcc_lo, v2, v4, vcc_lo
	v_cmp_gt_i32_e32 vcc_lo, v1, v8
	v_cndmask_b32_e64 v4, 0, 1, vcc_lo
	v_cmp_gt_i32_e32 vcc_lo, v1, v7
	s_delay_alu instid0(VALU_DEP_4)
	v_add_co_ci_u32_e32 v2, vcc_lo, v2, v3, vcc_lo
	s_waitcnt lgkmcnt(5)
	v_cmp_gt_i32_e32 vcc_lo, v1, v10
	v_cndmask_b32_e64 v3, 0, 1, vcc_lo
	v_cmp_gt_i32_e32 vcc_lo, v1, v9
	v_add_co_ci_u32_e32 v2, vcc_lo, v2, v4, vcc_lo
	;; [unrolled: 10-line block ×7, first 2 shown]
	v_cmp_gt_i32_e32 vcc_lo, v1, v37
	v_cndmask_b32_e64 v4, 0, 1, vcc_lo
	v_cmp_gt_i32_e32 vcc_lo, v1, v36
	s_delay_alu instid0(VALU_DEP_4) | instskip(SKIP_1) | instid1(VALU_DEP_2)
	v_add_co_ci_u32_e32 v2, vcc_lo, v2, v3, vcc_lo
	v_cmp_gt_i32_e32 vcc_lo, v1, v38
	v_add_co_ci_u32_e32 v5, vcc_lo, v2, v4, vcc_lo
	ds_load_2addr_b64 v[1:4], v25 offset1:1
	v_ashrrev_i32_e32 v6, 31, v5
	s_delay_alu instid0(VALU_DEP_1) | instskip(NEXT) | instid1(VALU_DEP_1)
	v_lshlrev_b64 v[5:6], 4, v[5:6]
	v_add_co_u32 v5, vcc_lo, s12, v5
	s_delay_alu instid0(VALU_DEP_2)
	v_add_co_ci_u32_e32 v6, vcc_lo, s13, v6, vcc_lo
	s_waitcnt lgkmcnt(0)
	global_store_b128 v[5:6], v[1:4], off
	s_branch .LBB61_65
.LBB61_68:
	s_nop 0
	s_sendmsg sendmsg(MSG_DEALLOC_VGPRS)
	s_endpgm
	.section	.rodata,"a",@progbits
	.p2align	6, 0x0
	.amdhsa_kernel _ZN9rocsparseL38csrgemm_numeric_fill_wf_per_row_kernelILj256ELj16ELj32ELj137Eii21rocsparse_complex_numIdEEEvT4_S3_PKS3_S5_NS_24const_host_device_scalarIT5_EEPKT3_S5_PKS7_SB_S5_SD_S8_SB_S5_SD_SB_S5_PS7_21rocsparse_index_base_SF_SF_SF_bbb
		.amdhsa_group_segment_fixed_size 14336
		.amdhsa_private_segment_fixed_size 0
		.amdhsa_kernarg_size 172
		.amdhsa_user_sgpr_count 15
		.amdhsa_user_sgpr_dispatch_ptr 1
		.amdhsa_user_sgpr_queue_ptr 0
		.amdhsa_user_sgpr_kernarg_segment_ptr 1
		.amdhsa_user_sgpr_dispatch_id 0
		.amdhsa_user_sgpr_private_segment_size 0
		.amdhsa_wavefront_size32 1
		.amdhsa_uses_dynamic_stack 0
		.amdhsa_enable_private_segment 0
		.amdhsa_system_sgpr_workgroup_id_x 1
		.amdhsa_system_sgpr_workgroup_id_y 0
		.amdhsa_system_sgpr_workgroup_id_z 0
		.amdhsa_system_sgpr_workgroup_info 0
		.amdhsa_system_vgpr_workitem_id 2
		.amdhsa_next_free_vgpr 39
		.amdhsa_next_free_sgpr 44
		.amdhsa_reserve_vcc 1
		.amdhsa_float_round_mode_32 0
		.amdhsa_float_round_mode_16_64 0
		.amdhsa_float_denorm_mode_32 3
		.amdhsa_float_denorm_mode_16_64 3
		.amdhsa_dx10_clamp 1
		.amdhsa_ieee_mode 1
		.amdhsa_fp16_overflow 0
		.amdhsa_workgroup_processor_mode 1
		.amdhsa_memory_ordered 1
		.amdhsa_forward_progress 0
		.amdhsa_shared_vgpr_count 0
		.amdhsa_exception_fp_ieee_invalid_op 0
		.amdhsa_exception_fp_denorm_src 0
		.amdhsa_exception_fp_ieee_div_zero 0
		.amdhsa_exception_fp_ieee_overflow 0
		.amdhsa_exception_fp_ieee_underflow 0
		.amdhsa_exception_fp_ieee_inexact 0
		.amdhsa_exception_int_div_zero 0
	.end_amdhsa_kernel
	.section	.text._ZN9rocsparseL38csrgemm_numeric_fill_wf_per_row_kernelILj256ELj16ELj32ELj137Eii21rocsparse_complex_numIdEEEvT4_S3_PKS3_S5_NS_24const_host_device_scalarIT5_EEPKT3_S5_PKS7_SB_S5_SD_S8_SB_S5_SD_SB_S5_PS7_21rocsparse_index_base_SF_SF_SF_bbb,"axG",@progbits,_ZN9rocsparseL38csrgemm_numeric_fill_wf_per_row_kernelILj256ELj16ELj32ELj137Eii21rocsparse_complex_numIdEEEvT4_S3_PKS3_S5_NS_24const_host_device_scalarIT5_EEPKT3_S5_PKS7_SB_S5_SD_S8_SB_S5_SD_SB_S5_PS7_21rocsparse_index_base_SF_SF_SF_bbb,comdat
.Lfunc_end61:
	.size	_ZN9rocsparseL38csrgemm_numeric_fill_wf_per_row_kernelILj256ELj16ELj32ELj137Eii21rocsparse_complex_numIdEEEvT4_S3_PKS3_S5_NS_24const_host_device_scalarIT5_EEPKT3_S5_PKS7_SB_S5_SD_S8_SB_S5_SD_SB_S5_PS7_21rocsparse_index_base_SF_SF_SF_bbb, .Lfunc_end61-_ZN9rocsparseL38csrgemm_numeric_fill_wf_per_row_kernelILj256ELj16ELj32ELj137Eii21rocsparse_complex_numIdEEEvT4_S3_PKS3_S5_NS_24const_host_device_scalarIT5_EEPKT3_S5_PKS7_SB_S5_SD_S8_SB_S5_SD_SB_S5_PS7_21rocsparse_index_base_SF_SF_SF_bbb
                                        ; -- End function
	.section	.AMDGPU.csdata,"",@progbits
; Kernel info:
; codeLenInByte = 3132
; NumSgprs: 46
; NumVgprs: 39
; ScratchSize: 0
; MemoryBound: 0
; FloatMode: 240
; IeeeMode: 1
; LDSByteSize: 14336 bytes/workgroup (compile time only)
; SGPRBlocks: 5
; VGPRBlocks: 4
; NumSGPRsForWavesPerEU: 46
; NumVGPRsForWavesPerEU: 39
; Occupancy: 16
; WaveLimiterHint : 1
; COMPUTE_PGM_RSRC2:SCRATCH_EN: 0
; COMPUTE_PGM_RSRC2:USER_SGPR: 15
; COMPUTE_PGM_RSRC2:TRAP_HANDLER: 0
; COMPUTE_PGM_RSRC2:TGID_X_EN: 1
; COMPUTE_PGM_RSRC2:TGID_Y_EN: 0
; COMPUTE_PGM_RSRC2:TGID_Z_EN: 0
; COMPUTE_PGM_RSRC2:TIDIG_COMP_CNT: 2
	.section	.text._ZN9rocsparseL41csrgemm_numeric_fill_block_per_row_kernelILj128ELj16ELj256ELj137ELj32Eii21rocsparse_complex_numIdEEEvT5_PKS3_S5_NS_24const_host_device_scalarIT6_EEPKT4_S5_PKS7_SB_S5_SD_S8_SB_S5_SD_SB_S5_PS7_21rocsparse_index_base_SF_SF_SF_bbb,"axG",@progbits,_ZN9rocsparseL41csrgemm_numeric_fill_block_per_row_kernelILj128ELj16ELj256ELj137ELj32Eii21rocsparse_complex_numIdEEEvT5_PKS3_S5_NS_24const_host_device_scalarIT6_EEPKT4_S5_PKS7_SB_S5_SD_S8_SB_S5_SD_SB_S5_PS7_21rocsparse_index_base_SF_SF_SF_bbb,comdat
	.globl	_ZN9rocsparseL41csrgemm_numeric_fill_block_per_row_kernelILj128ELj16ELj256ELj137ELj32Eii21rocsparse_complex_numIdEEEvT5_PKS3_S5_NS_24const_host_device_scalarIT6_EEPKT4_S5_PKS7_SB_S5_SD_S8_SB_S5_SD_SB_S5_PS7_21rocsparse_index_base_SF_SF_SF_bbb ; -- Begin function _ZN9rocsparseL41csrgemm_numeric_fill_block_per_row_kernelILj128ELj16ELj256ELj137ELj32Eii21rocsparse_complex_numIdEEEvT5_PKS3_S5_NS_24const_host_device_scalarIT6_EEPKT4_S5_PKS7_SB_S5_SD_S8_SB_S5_SD_SB_S5_PS7_21rocsparse_index_base_SF_SF_SF_bbb
	.p2align	8
	.type	_ZN9rocsparseL41csrgemm_numeric_fill_block_per_row_kernelILj128ELj16ELj256ELj137ELj32Eii21rocsparse_complex_numIdEEEvT5_PKS3_S5_NS_24const_host_device_scalarIT6_EEPKT4_S5_PKS7_SB_S5_SD_S8_SB_S5_SD_SB_S5_PS7_21rocsparse_index_base_SF_SF_SF_bbb,@function
_ZN9rocsparseL41csrgemm_numeric_fill_block_per_row_kernelILj128ELj16ELj256ELj137ELj32Eii21rocsparse_complex_numIdEEEvT5_PKS3_S5_NS_24const_host_device_scalarIT6_EEPKT4_S5_PKS7_SB_S5_SD_S8_SB_S5_SD_SB_S5_PS7_21rocsparse_index_base_SF_SF_SF_bbb: ; @_ZN9rocsparseL41csrgemm_numeric_fill_block_per_row_kernelILj128ELj16ELj256ELj137ELj32Eii21rocsparse_complex_numIdEEEvT5_PKS3_S5_NS_24const_host_device_scalarIT6_EEPKT4_S5_PKS7_SB_S5_SD_S8_SB_S5_SD_SB_S5_PS7_21rocsparse_index_base_SF_SF_SF_bbb
; %bb.0:
	s_clause 0x2
	s_load_b32 s12, s[0:1], 0xa8
	s_load_b128 s[8:11], s[0:1], 0x18
	s_load_b128 s[4:7], s[0:1], 0x58
	v_mov_b32_e32 v1, 0
	v_mov_b32_e32 v2, 0
	s_waitcnt lgkmcnt(0)
	s_bitcmp1_b32 s12, 0
	v_mov_b32_e32 v3, s8
	s_cselect_b32 s35, -1, 0
	s_bitcmp1_b32 s12, 16
	v_dual_mov_b32 v6, v2 :: v_dual_mov_b32 v5, v1
	s_cselect_b32 s2, -1, 0
	v_mov_b32_e32 v4, s9
	s_xor_b32 s3, s2, -1
	v_dual_mov_b32 v10, s5 :: v_dual_mov_b32 v9, s4
	v_cndmask_b32_e64 v7, 0, 1, s3
	s_bitcmp0_b32 s12, 0
	s_clause 0x1
	scratch_store_b64 off, v[3:4], off offset:16
	scratch_store_b64 off, v[9:10], off offset:24
	v_cmp_ne_u32_e32 vcc_lo, 1, v7
	v_dual_mov_b32 v8, v2 :: v_dual_mov_b32 v7, v1
	s_cbranch_scc1 .LBB62_3
; %bb.1:
	s_mov_b64 s[16:17], src_private_base
	s_and_b32 s13, s2, exec_lo
	s_cselect_b32 s13, s17, s9
	s_delay_alu instid0(SALU_CYCLE_1) | instskip(SKIP_2) | instid1(VALU_DEP_2)
	v_dual_mov_b32 v3, 16 :: v_dual_mov_b32 v4, s13
	v_dual_mov_b32 v7, s10 :: v_dual_mov_b32 v8, s11
	s_and_b32 vcc_lo, exec_lo, vcc_lo
	v_cndmask_b32_e64 v3, s8, v3, s2
	flat_load_b64 v[5:6], v[3:4]
	s_cbranch_vccnz .LBB62_3
; %bb.2:
	v_dual_mov_b32 v3, s8 :: v_dual_mov_b32 v4, s9
	flat_load_b64 v[7:8], v[3:4] offset:8
.LBB62_3:
	s_load_b128 s[24:27], s[0:1], 0x98
	s_bitcmp1_b32 s12, 8
	v_dual_mov_b32 v4, v2 :: v_dual_mov_b32 v3, v1
	s_cselect_b32 s34, -1, 0
	s_bfe_u32 s8, s12, 0x10008
	s_delay_alu instid0(SALU_CYCLE_1)
	s_cmp_eq_u32 s8, 0
	s_cbranch_scc1 .LBB62_6
; %bb.4:
	s_mov_b64 s[8:9], src_private_base
	s_and_b32 s8, s2, exec_lo
	s_cselect_b32 s8, s9, s5
	s_delay_alu instid0(SALU_CYCLE_1) | instskip(SKIP_1) | instid1(VALU_DEP_1)
	v_dual_mov_b32 v1, 24 :: v_dual_mov_b32 v2, s8
	s_and_not1_b32 vcc_lo, exec_lo, s3
	v_cndmask_b32_e64 v1, s4, v1, s2
	flat_load_b64 v[3:4], v[1:2]
	v_dual_mov_b32 v1, s6 :: v_dual_mov_b32 v2, s7
	s_cbranch_vccnz .LBB62_6
; %bb.5:
	v_dual_mov_b32 v1, s4 :: v_dual_mov_b32 v2, s5
	flat_load_b64 v[1:2], v[1:2] offset:8
.LBB62_6:
	s_clause 0x5
	s_load_b64 s[12:13], s[0:1], 0x90
	s_load_b256 s[4:11], s[0:1], 0x68
	s_load_b128 s[28:31], s[0:1], 0x48
	s_load_b256 s[16:23], s[0:1], 0x28
	s_load_b128 s[36:39], s[0:1], 0x8
	s_load_b32 s33, s[0:1], 0x0
	v_cmp_gt_u32_e64 s0, 0x100, v0
	v_lshlrev_b32_e32 v25, 4, v0
	v_or_b32_e32 v23, 0xffffff80, v0
	v_lshl_add_u32 v24, v0, 2, 0
	s_delay_alu instid0(VALU_DEP_4)
	s_and_saveexec_b32 s1, s0
	s_cbranch_execz .LBB62_9
; %bb.7:
	s_mov_b32 s2, 0
	v_add3_u32 v13, v25, 0, 0x400
	s_mov_b32 s3, s2
	s_mov_b32 s40, s2
	;; [unrolled: 1-line block ×3, first 2 shown]
	v_dual_mov_b32 v10, s3 :: v_dual_mov_b32 v11, s40
	v_or_b32_e32 v14, 0xffffff80, v0
	v_lshl_add_u32 v15, v0, 2, 0
	s_waitcnt lgkmcnt(0)
	v_dual_mov_b32 v16, s33 :: v_dual_mov_b32 v9, s2
	v_mov_b32_e32 v12, s41
.LBB62_8:                               ; =>This Inner Loop Header: Depth=1
	v_add_co_u32 v14, s3, 0x80, v14
	s_delay_alu instid0(VALU_DEP_1)
	s_xor_b32 s3, s3, -1
	ds_store_b32 v15, v16
	ds_store_2addr_b64 v13, v[9:10], v[11:12] offset1:1
	v_add_nc_u32_e32 v13, 0x800, v13
	v_add_nc_u32_e32 v15, 0x200, v15
	s_and_b32 s3, exec_lo, s3
	s_delay_alu instid0(SALU_CYCLE_1) | instskip(NEXT) | instid1(SALU_CYCLE_1)
	s_or_b32 s2, s3, s2
	s_and_not1_b32 exec_lo, exec_lo, s2
	s_cbranch_execnz .LBB62_8
.LBB62_9:
	s_or_b32 exec_lo, exec_lo, s1
	s_waitcnt vmcnt(0) lgkmcnt(0)
	s_waitcnt_vscnt null, 0x0
	s_barrier
	buffer_gl0_inv
	s_load_b32 s1, s[36:37], 0x0
	s_mov_b32 s3, 0
	s_waitcnt lgkmcnt(0)
	s_add_i32 s2, s1, s15
	s_delay_alu instid0(SALU_CYCLE_1) | instskip(NEXT) | instid1(SALU_CYCLE_1)
	s_lshl_b64 s[2:3], s[2:3], 2
	s_add_u32 s2, s38, s2
	s_addc_u32 s3, s39, s3
	s_and_b32 vcc_lo, exec_lo, s35
	s_load_b32 s14, s[2:3], 0x0
	s_cbranch_vccz .LBB62_37
; %bb.10:
	s_waitcnt lgkmcnt(0)
	s_ashr_i32 s15, s14, 31
	v_lshrrev_b32_e32 v9, 4, v0
	s_lshl_b64 s[2:3], s[14:15], 2
	s_delay_alu instid0(SALU_CYCLE_1) | instskip(SKIP_1) | instid1(VALU_DEP_1)
	s_add_u32 s2, s16, s2
	s_addc_u32 s3, s17, s3
	v_subrev_nc_u32_e32 v9, s24, v9
	s_load_b64 s[2:3], s[2:3], 0x0
	s_waitcnt lgkmcnt(0)
	s_delay_alu instid0(VALU_DEP_1) | instskip(SKIP_2) | instid1(VALU_DEP_1)
	v_add_nc_u32_e32 v9, s2, v9
	s_sub_i32 s1, s3, s24
	s_mov_b32 s2, exec_lo
	v_cmpx_gt_i32_e64 s1, v9
	s_cbranch_execz .LBB62_36
; %bb.11:
	v_and_b32_e32 v10, 15, v0
	s_mov_b32 s3, 0
	s_delay_alu instid0(VALU_DEP_1)
	v_subrev_nc_u32_e32 v26, s25, v10
	s_branch .LBB62_13
.LBB62_12:                              ;   in Loop: Header=BB62_13 Depth=1
	s_or_b32 exec_lo, exec_lo, s15
	v_add_nc_u32_e32 v9, 8, v9
	s_delay_alu instid0(VALU_DEP_1) | instskip(SKIP_1) | instid1(SALU_CYCLE_1)
	v_cmp_le_i32_e32 vcc_lo, s1, v9
	s_or_b32 s3, vcc_lo, s3
	s_and_not1_b32 exec_lo, exec_lo, s3
	s_cbranch_execz .LBB62_36
.LBB62_13:                              ; =>This Loop Header: Depth=1
                                        ;     Child Loop BB62_16 Depth 2
                                        ;       Child Loop BB62_18 Depth 3
                                        ;         Child Loop BB62_24 Depth 4
                                        ;         Child Loop BB62_26 Depth 4
	;; [unrolled: 1-line block ×4, first 2 shown]
	v_ashrrev_i32_e32 v10, 31, v9
	s_mov_b32 s15, exec_lo
	s_delay_alu instid0(VALU_DEP_1) | instskip(NEXT) | instid1(VALU_DEP_1)
	v_lshlrev_b64 v[11:12], 2, v[9:10]
	v_add_co_u32 v11, vcc_lo, s18, v11
	s_delay_alu instid0(VALU_DEP_2) | instskip(SKIP_3) | instid1(VALU_DEP_1)
	v_add_co_ci_u32_e32 v12, vcc_lo, s19, v12, vcc_lo
	global_load_b32 v11, v[11:12], off
	s_waitcnt vmcnt(0)
	v_subrev_nc_u32_e32 v11, s24, v11
	v_ashrrev_i32_e32 v12, 31, v11
	s_delay_alu instid0(VALU_DEP_1) | instskip(NEXT) | instid1(VALU_DEP_1)
	v_lshlrev_b64 v[11:12], 2, v[11:12]
	v_add_co_u32 v11, vcc_lo, s22, v11
	s_delay_alu instid0(VALU_DEP_2) | instskip(SKIP_4) | instid1(VALU_DEP_1)
	v_add_co_ci_u32_e32 v12, vcc_lo, s23, v12, vcc_lo
	global_load_b64 v[11:12], v[11:12], off
	s_waitcnt vmcnt(0)
	v_subrev_nc_u32_e32 v27, s25, v12
	v_add_nc_u32_e32 v11, v11, v26
	v_cmpx_lt_i32_e64 v11, v27
	s_cbranch_execz .LBB62_12
; %bb.14:                               ;   in Loop: Header=BB62_13 Depth=1
	v_lshlrev_b64 v[12:13], 4, v[9:10]
	s_mov_b32 s16, 0
	s_delay_alu instid0(VALU_DEP_1) | instskip(NEXT) | instid1(VALU_DEP_2)
	v_add_co_u32 v12, vcc_lo, s20, v12
	v_add_co_ci_u32_e32 v13, vcc_lo, s21, v13, vcc_lo
	global_load_b128 v[15:18], v[12:13], off
	s_waitcnt vmcnt(0)
	v_mul_f64 v[12:13], v[17:18], -v[7:8]
	v_mul_f64 v[17:18], v[5:6], v[17:18]
	s_delay_alu instid0(VALU_DEP_2) | instskip(NEXT) | instid1(VALU_DEP_2)
	v_fma_f64 v[13:14], v[5:6], v[15:16], v[12:13]
	v_fma_f64 v[15:16], v[7:8], v[15:16], v[17:18]
	s_branch .LBB62_16
.LBB62_15:                              ;   in Loop: Header=BB62_16 Depth=2
	s_or_b32 exec_lo, exec_lo, s17
	v_add_nc_u32_e32 v11, 16, v11
	s_delay_alu instid0(VALU_DEP_1) | instskip(SKIP_1) | instid1(SALU_CYCLE_1)
	v_cmp_ge_i32_e32 vcc_lo, v11, v27
	s_or_b32 s16, vcc_lo, s16
	s_and_not1_b32 exec_lo, exec_lo, s16
	s_cbranch_execz .LBB62_12
.LBB62_16:                              ;   Parent Loop BB62_13 Depth=1
                                        ; =>  This Loop Header: Depth=2
                                        ;       Child Loop BB62_18 Depth 3
                                        ;         Child Loop BB62_24 Depth 4
                                        ;         Child Loop BB62_26 Depth 4
	;; [unrolled: 1-line block ×4, first 2 shown]
	v_ashrrev_i32_e32 v12, 31, v11
	s_mov_b32 s17, 0
	s_delay_alu instid0(VALU_DEP_1) | instskip(NEXT) | instid1(VALU_DEP_1)
	v_lshlrev_b64 v[17:18], 4, v[11:12]
	v_add_co_u32 v17, vcc_lo, s30, v17
	s_delay_alu instid0(VALU_DEP_2) | instskip(SKIP_2) | instid1(VALU_DEP_1)
	v_add_co_ci_u32_e32 v18, vcc_lo, s31, v18, vcc_lo
	global_load_b128 v[19:22], v[17:18], off
	v_lshlrev_b64 v[17:18], 2, v[11:12]
	v_add_co_u32 v17, vcc_lo, s28, v17
	s_delay_alu instid0(VALU_DEP_2)
	v_add_co_ci_u32_e32 v18, vcc_lo, s29, v18, vcc_lo
	global_load_b32 v10, v[17:18], off
	s_waitcnt vmcnt(1)
	v_mul_f64 v[17:18], v[21:22], -v[15:16]
	v_mul_f64 v[21:22], v[13:14], v[21:22]
	s_waitcnt vmcnt(0)
	v_subrev_nc_u32_e32 v10, s25, v10
	s_delay_alu instid0(VALU_DEP_1) | instskip(NEXT) | instid1(VALU_DEP_1)
	v_mul_lo_u32 v12, 0x89, v10
	v_and_b32_e32 v12, 0xff, v12
	v_fma_f64 v[17:18], v[13:14], v[19:20], v[17:18]
	v_fma_f64 v[19:20], v[15:16], v[19:20], v[21:22]
	s_branch .LBB62_18
.LBB62_17:                              ;   in Loop: Header=BB62_18 Depth=3
	s_or_b32 exec_lo, exec_lo, s35
	s_xor_b32 s35, s36, -1
	s_delay_alu instid0(SALU_CYCLE_1) | instskip(NEXT) | instid1(SALU_CYCLE_1)
	s_and_b32 s35, exec_lo, s35
	s_or_b32 s17, s35, s17
	s_delay_alu instid0(SALU_CYCLE_1)
	s_and_not1_b32 exec_lo, exec_lo, s17
	s_cbranch_execz .LBB62_15
.LBB62_18:                              ;   Parent Loop BB62_13 Depth=1
                                        ;     Parent Loop BB62_16 Depth=2
                                        ; =>    This Loop Header: Depth=3
                                        ;         Child Loop BB62_24 Depth 4
                                        ;         Child Loop BB62_26 Depth 4
	;; [unrolled: 1-line block ×4, first 2 shown]
	s_delay_alu instid0(VALU_DEP_3)
	v_lshl_add_u32 v21, v12, 2, 0
	s_mov_b32 s35, exec_lo
                                        ; implicit-def: $sgpr36
	ds_load_b32 v22, v21
	s_waitcnt lgkmcnt(0)
	v_cmpx_ne_u32_e64 v22, v10
	s_xor_b32 s35, exec_lo, s35
	s_cbranch_execz .LBB62_30
; %bb.19:                               ;   in Loop: Header=BB62_18 Depth=3
	s_mov_b32 s37, exec_lo
                                        ; implicit-def: $sgpr36
	v_cmpx_ne_u32_e64 s33, v22
	s_xor_b32 s37, exec_lo, s37
; %bb.20:                               ;   in Loop: Header=BB62_18 Depth=3
	v_add_nc_u32_e32 v12, 1, v12
	s_mov_b32 s36, -1
                                        ; implicit-def: $vgpr21
	s_delay_alu instid0(VALU_DEP_1)
	v_and_b32_e32 v12, 0xff, v12
; %bb.21:                               ;   in Loop: Header=BB62_18 Depth=3
	s_and_not1_saveexec_b32 s37, s37
	s_cbranch_execz .LBB62_29
; %bb.22:                               ;   in Loop: Header=BB62_18 Depth=3
	v_mov_b32_e32 v22, s33
	s_mov_b32 s39, -1
	s_mov_b32 s38, exec_lo
	ds_cmpstore_rtn_b32 v22, v21, v10, v22
	s_waitcnt lgkmcnt(0)
	v_cmpx_eq_u32_e64 s33, v22
	s_cbranch_execz .LBB62_28
; %bb.23:                               ;   in Loop: Header=BB62_18 Depth=3
	v_mul_lo_u32 v22, v12, 12
	s_mov_b32 s39, 0
	s_delay_alu instid0(VALU_DEP_1)
	v_add_nc_u32_e32 v28, v21, v22
	ds_load_b64 v[21:22], v28 offset:1024
.LBB62_24:                              ;   Parent Loop BB62_13 Depth=1
                                        ;     Parent Loop BB62_16 Depth=2
                                        ;       Parent Loop BB62_18 Depth=3
                                        ; =>      This Inner Loop Header: Depth=4
	s_waitcnt lgkmcnt(0)
	v_add_f64 v[29:30], v[21:22], v[17:18]
	ds_cmpstore_rtn_b64 v[29:30], v28, v[29:30], v[21:22] offset:1024
	s_waitcnt lgkmcnt(0)
	v_cmp_eq_u64_e32 vcc_lo, v[29:30], v[21:22]
	v_dual_mov_b32 v21, v29 :: v_dual_mov_b32 v22, v30
	s_or_b32 s39, vcc_lo, s39
	s_delay_alu instid0(SALU_CYCLE_1)
	s_and_not1_b32 exec_lo, exec_lo, s39
	s_cbranch_execnz .LBB62_24
; %bb.25:                               ;   in Loop: Header=BB62_18 Depth=3
	s_or_b32 exec_lo, exec_lo, s39
	ds_load_b64 v[21:22], v28 offset:1032
	s_mov_b32 s39, 0
.LBB62_26:                              ;   Parent Loop BB62_13 Depth=1
                                        ;     Parent Loop BB62_16 Depth=2
                                        ;       Parent Loop BB62_18 Depth=3
                                        ; =>      This Inner Loop Header: Depth=4
	s_waitcnt lgkmcnt(0)
	v_add_f64 v[29:30], v[21:22], v[19:20]
	ds_cmpstore_rtn_b64 v[29:30], v28, v[29:30], v[21:22] offset:1032
	s_waitcnt lgkmcnt(0)
	v_cmp_eq_u64_e32 vcc_lo, v[29:30], v[21:22]
	v_dual_mov_b32 v21, v29 :: v_dual_mov_b32 v22, v30
	s_or_b32 s39, vcc_lo, s39
	s_delay_alu instid0(SALU_CYCLE_1)
	s_and_not1_b32 exec_lo, exec_lo, s39
	s_cbranch_execnz .LBB62_26
; %bb.27:                               ;   in Loop: Header=BB62_18 Depth=3
	s_or_b32 exec_lo, exec_lo, s39
	s_delay_alu instid0(SALU_CYCLE_1)
	s_xor_b32 s39, exec_lo, -1
.LBB62_28:                              ;   in Loop: Header=BB62_18 Depth=3
	s_or_b32 exec_lo, exec_lo, s38
	s_delay_alu instid0(SALU_CYCLE_1) | instskip(SKIP_1) | instid1(SALU_CYCLE_1)
	s_and_not1_b32 s36, s36, exec_lo
	s_and_b32 s38, s39, exec_lo
	s_or_b32 s36, s36, s38
.LBB62_29:                              ;   in Loop: Header=BB62_18 Depth=3
	s_or_b32 exec_lo, exec_lo, s37
	s_delay_alu instid0(SALU_CYCLE_1)
	s_and_b32 s36, s36, exec_lo
                                        ; implicit-def: $vgpr21
.LBB62_30:                              ;   in Loop: Header=BB62_18 Depth=3
	s_and_not1_saveexec_b32 s35, s35
	s_cbranch_execz .LBB62_17
; %bb.31:                               ;   in Loop: Header=BB62_18 Depth=3
	v_mul_lo_u32 v22, v12, 12
	s_mov_b32 s37, 0
	s_delay_alu instid0(VALU_DEP_1)
	v_add_nc_u32_e32 v28, v21, v22
	ds_load_b64 v[21:22], v28 offset:1024
.LBB62_32:                              ;   Parent Loop BB62_13 Depth=1
                                        ;     Parent Loop BB62_16 Depth=2
                                        ;       Parent Loop BB62_18 Depth=3
                                        ; =>      This Inner Loop Header: Depth=4
	s_waitcnt lgkmcnt(0)
	v_add_f64 v[29:30], v[21:22], v[17:18]
	ds_cmpstore_rtn_b64 v[29:30], v28, v[29:30], v[21:22] offset:1024
	s_waitcnt lgkmcnt(0)
	v_cmp_eq_u64_e32 vcc_lo, v[29:30], v[21:22]
	v_dual_mov_b32 v21, v29 :: v_dual_mov_b32 v22, v30
	s_or_b32 s37, vcc_lo, s37
	s_delay_alu instid0(SALU_CYCLE_1)
	s_and_not1_b32 exec_lo, exec_lo, s37
	s_cbranch_execnz .LBB62_32
; %bb.33:                               ;   in Loop: Header=BB62_18 Depth=3
	s_or_b32 exec_lo, exec_lo, s37
	ds_load_b64 v[21:22], v28 offset:1032
	s_mov_b32 s37, 0
.LBB62_34:                              ;   Parent Loop BB62_13 Depth=1
                                        ;     Parent Loop BB62_16 Depth=2
                                        ;       Parent Loop BB62_18 Depth=3
                                        ; =>      This Inner Loop Header: Depth=4
	s_waitcnt lgkmcnt(0)
	v_add_f64 v[29:30], v[21:22], v[19:20]
	ds_cmpstore_rtn_b64 v[29:30], v28, v[29:30], v[21:22] offset:1032
	s_waitcnt lgkmcnt(0)
	v_cmp_eq_u64_e32 vcc_lo, v[29:30], v[21:22]
	v_dual_mov_b32 v21, v29 :: v_dual_mov_b32 v22, v30
	s_or_b32 s37, vcc_lo, s37
	s_delay_alu instid0(SALU_CYCLE_1)
	s_and_not1_b32 exec_lo, exec_lo, s37
	s_cbranch_execnz .LBB62_34
; %bb.35:                               ;   in Loop: Header=BB62_18 Depth=3
	s_or_b32 exec_lo, exec_lo, s37
	s_delay_alu instid0(SALU_CYCLE_1)
	s_and_not1_b32 s36, s36, exec_lo
	s_branch .LBB62_17
.LBB62_36:
	s_or_b32 exec_lo, exec_lo, s2
.LBB62_37:
	s_delay_alu instid0(SALU_CYCLE_1)
	s_and_not1_b32 vcc_lo, exec_lo, s34
	s_cbranch_vccnz .LBB62_62
; %bb.38:
	s_waitcnt lgkmcnt(0)
	s_ashr_i32 s15, s14, 31
	v_subrev_nc_u32_e32 v5, s27, v0
	s_lshl_b64 s[2:3], s[14:15], 2
	s_delay_alu instid0(SALU_CYCLE_1)
	s_add_u32 s2, s4, s2
	s_addc_u32 s3, s5, s3
	s_load_b64 s[2:3], s[2:3], 0x0
	s_waitcnt lgkmcnt(0)
	v_add_nc_u32_e32 v5, s2, v5
	s_sub_i32 s1, s3, s27
	s_mov_b32 s2, exec_lo
	s_delay_alu instid0(VALU_DEP_1)
	v_cmpx_gt_i32_e64 s1, v5
	s_cbranch_execz .LBB62_61
; %bb.39:
	s_mov_b32 s3, 0
	s_branch .LBB62_41
.LBB62_40:                              ;   in Loop: Header=BB62_41 Depth=1
	s_or_b32 exec_lo, exec_lo, s4
	v_add_nc_u32_e32 v5, 0x80, v5
	s_delay_alu instid0(VALU_DEP_1) | instskip(SKIP_1) | instid1(SALU_CYCLE_1)
	v_cmp_le_i32_e32 vcc_lo, s1, v5
	s_or_b32 s3, vcc_lo, s3
	s_and_not1_b32 exec_lo, exec_lo, s3
	s_cbranch_execz .LBB62_61
.LBB62_41:                              ; =>This Loop Header: Depth=1
                                        ;     Child Loop BB62_43 Depth 2
                                        ;       Child Loop BB62_49 Depth 3
                                        ;       Child Loop BB62_51 Depth 3
	;; [unrolled: 1-line block ×4, first 2 shown]
	v_ashrrev_i32_e32 v6, 31, v5
	s_mov_b32 s4, 0
	s_delay_alu instid0(VALU_DEP_1) | instskip(NEXT) | instid1(VALU_DEP_1)
	v_lshlrev_b64 v[7:8], 4, v[5:6]
	v_add_co_u32 v7, vcc_lo, s8, v7
	s_delay_alu instid0(VALU_DEP_2) | instskip(SKIP_2) | instid1(VALU_DEP_1)
	v_add_co_ci_u32_e32 v8, vcc_lo, s9, v8, vcc_lo
	global_load_b128 v[8:11], v[7:8], off
	v_lshlrev_b64 v[6:7], 2, v[5:6]
	v_add_co_u32 v6, vcc_lo, s6, v6
	s_delay_alu instid0(VALU_DEP_2)
	v_add_co_ci_u32_e32 v7, vcc_lo, s7, v7, vcc_lo
	global_load_b32 v12, v[6:7], off
	s_waitcnt vmcnt(1)
	v_mul_f64 v[6:7], v[10:11], -v[1:2]
	v_mul_f64 v[10:11], v[3:4], v[10:11]
	s_waitcnt vmcnt(0)
	v_subrev_nc_u32_e32 v12, s27, v12
	s_delay_alu instid0(VALU_DEP_3) | instskip(NEXT) | instid1(VALU_DEP_3)
	v_fma_f64 v[6:7], v[3:4], v[8:9], v[6:7]
	v_fma_f64 v[8:9], v[1:2], v[8:9], v[10:11]
	s_delay_alu instid0(VALU_DEP_3) | instskip(NEXT) | instid1(VALU_DEP_1)
	v_mul_lo_u32 v10, 0x89, v12
	v_and_b32_e32 v13, 0xff, v10
	s_branch .LBB62_43
.LBB62_42:                              ;   in Loop: Header=BB62_43 Depth=2
	s_or_b32 exec_lo, exec_lo, s5
	s_xor_b32 s5, s15, -1
	s_delay_alu instid0(SALU_CYCLE_1) | instskip(NEXT) | instid1(SALU_CYCLE_1)
	s_and_b32 s5, exec_lo, s5
	s_or_b32 s4, s5, s4
	s_delay_alu instid0(SALU_CYCLE_1)
	s_and_not1_b32 exec_lo, exec_lo, s4
	s_cbranch_execz .LBB62_40
.LBB62_43:                              ;   Parent Loop BB62_41 Depth=1
                                        ; =>  This Loop Header: Depth=2
                                        ;       Child Loop BB62_49 Depth 3
                                        ;       Child Loop BB62_51 Depth 3
	;; [unrolled: 1-line block ×4, first 2 shown]
	s_delay_alu instid0(VALU_DEP_1)
	v_lshl_add_u32 v10, v13, 2, 0
	s_mov_b32 s5, exec_lo
                                        ; implicit-def: $sgpr15
	ds_load_b32 v11, v10
	s_waitcnt lgkmcnt(0)
	v_cmpx_ne_u32_e64 v11, v12
	s_xor_b32 s5, exec_lo, s5
	s_cbranch_execz .LBB62_55
; %bb.44:                               ;   in Loop: Header=BB62_43 Depth=2
	s_mov_b32 s16, exec_lo
                                        ; implicit-def: $sgpr15
	v_cmpx_ne_u32_e64 s33, v11
	s_xor_b32 s16, exec_lo, s16
; %bb.45:                               ;   in Loop: Header=BB62_43 Depth=2
	v_add_nc_u32_e32 v10, 1, v13
	s_mov_b32 s15, -1
	s_delay_alu instid0(VALU_DEP_1)
	v_and_b32_e32 v13, 0xff, v10
                                        ; implicit-def: $vgpr10
; %bb.46:                               ;   in Loop: Header=BB62_43 Depth=2
	s_and_not1_saveexec_b32 s16, s16
	s_cbranch_execz .LBB62_54
; %bb.47:                               ;   in Loop: Header=BB62_43 Depth=2
	v_mov_b32_e32 v11, s33
	s_mov_b32 s18, -1
	s_mov_b32 s17, exec_lo
	ds_cmpstore_rtn_b32 v11, v10, v12, v11
	s_waitcnt lgkmcnt(0)
	v_cmpx_eq_u32_e64 s33, v11
	s_cbranch_execz .LBB62_53
; %bb.48:                               ;   in Loop: Header=BB62_43 Depth=2
	v_mul_lo_u32 v11, v13, 12
	s_mov_b32 s18, 0
	s_delay_alu instid0(VALU_DEP_1)
	v_add_nc_u32_e32 v14, v10, v11
	ds_load_b64 v[10:11], v14 offset:1024
.LBB62_49:                              ;   Parent Loop BB62_41 Depth=1
                                        ;     Parent Loop BB62_43 Depth=2
                                        ; =>    This Inner Loop Header: Depth=3
	s_waitcnt lgkmcnt(0)
	v_add_f64 v[15:16], v[10:11], v[6:7]
	ds_cmpstore_rtn_b64 v[15:16], v14, v[15:16], v[10:11] offset:1024
	s_waitcnt lgkmcnt(0)
	v_cmp_eq_u64_e32 vcc_lo, v[15:16], v[10:11]
	v_dual_mov_b32 v10, v15 :: v_dual_mov_b32 v11, v16
	s_or_b32 s18, vcc_lo, s18
	s_delay_alu instid0(SALU_CYCLE_1)
	s_and_not1_b32 exec_lo, exec_lo, s18
	s_cbranch_execnz .LBB62_49
; %bb.50:                               ;   in Loop: Header=BB62_43 Depth=2
	s_or_b32 exec_lo, exec_lo, s18
	ds_load_b64 v[10:11], v14 offset:1032
	s_mov_b32 s18, 0
.LBB62_51:                              ;   Parent Loop BB62_41 Depth=1
                                        ;     Parent Loop BB62_43 Depth=2
                                        ; =>    This Inner Loop Header: Depth=3
	s_waitcnt lgkmcnt(0)
	v_add_f64 v[15:16], v[10:11], v[8:9]
	ds_cmpstore_rtn_b64 v[15:16], v14, v[15:16], v[10:11] offset:1032
	s_waitcnt lgkmcnt(0)
	v_cmp_eq_u64_e32 vcc_lo, v[15:16], v[10:11]
	v_dual_mov_b32 v10, v15 :: v_dual_mov_b32 v11, v16
	s_or_b32 s18, vcc_lo, s18
	s_delay_alu instid0(SALU_CYCLE_1)
	s_and_not1_b32 exec_lo, exec_lo, s18
	s_cbranch_execnz .LBB62_51
; %bb.52:                               ;   in Loop: Header=BB62_43 Depth=2
	s_or_b32 exec_lo, exec_lo, s18
	s_delay_alu instid0(SALU_CYCLE_1)
	s_xor_b32 s18, exec_lo, -1
.LBB62_53:                              ;   in Loop: Header=BB62_43 Depth=2
	s_or_b32 exec_lo, exec_lo, s17
	s_delay_alu instid0(SALU_CYCLE_1) | instskip(SKIP_1) | instid1(SALU_CYCLE_1)
	s_and_not1_b32 s15, s15, exec_lo
	s_and_b32 s17, s18, exec_lo
	s_or_b32 s15, s15, s17
.LBB62_54:                              ;   in Loop: Header=BB62_43 Depth=2
	s_or_b32 exec_lo, exec_lo, s16
	s_delay_alu instid0(SALU_CYCLE_1)
	s_and_b32 s15, s15, exec_lo
                                        ; implicit-def: $vgpr10
.LBB62_55:                              ;   in Loop: Header=BB62_43 Depth=2
	s_and_not1_saveexec_b32 s5, s5
	s_cbranch_execz .LBB62_42
; %bb.56:                               ;   in Loop: Header=BB62_43 Depth=2
	v_mul_lo_u32 v11, v13, 12
	s_mov_b32 s16, 0
	s_delay_alu instid0(VALU_DEP_1)
	v_add_nc_u32_e32 v14, v10, v11
	ds_load_b64 v[10:11], v14 offset:1024
.LBB62_57:                              ;   Parent Loop BB62_41 Depth=1
                                        ;     Parent Loop BB62_43 Depth=2
                                        ; =>    This Inner Loop Header: Depth=3
	s_waitcnt lgkmcnt(0)
	v_add_f64 v[15:16], v[10:11], v[6:7]
	ds_cmpstore_rtn_b64 v[15:16], v14, v[15:16], v[10:11] offset:1024
	s_waitcnt lgkmcnt(0)
	v_cmp_eq_u64_e32 vcc_lo, v[15:16], v[10:11]
	v_dual_mov_b32 v10, v15 :: v_dual_mov_b32 v11, v16
	s_or_b32 s16, vcc_lo, s16
	s_delay_alu instid0(SALU_CYCLE_1)
	s_and_not1_b32 exec_lo, exec_lo, s16
	s_cbranch_execnz .LBB62_57
; %bb.58:                               ;   in Loop: Header=BB62_43 Depth=2
	s_or_b32 exec_lo, exec_lo, s16
	ds_load_b64 v[10:11], v14 offset:1032
	s_mov_b32 s16, 0
.LBB62_59:                              ;   Parent Loop BB62_41 Depth=1
                                        ;     Parent Loop BB62_43 Depth=2
                                        ; =>    This Inner Loop Header: Depth=3
	s_waitcnt lgkmcnt(0)
	v_add_f64 v[15:16], v[10:11], v[8:9]
	ds_cmpstore_rtn_b64 v[15:16], v14, v[15:16], v[10:11] offset:1032
	s_waitcnt lgkmcnt(0)
	v_cmp_eq_u64_e32 vcc_lo, v[15:16], v[10:11]
	v_dual_mov_b32 v10, v15 :: v_dual_mov_b32 v11, v16
	s_or_b32 s16, vcc_lo, s16
	s_delay_alu instid0(SALU_CYCLE_1)
	s_and_not1_b32 exec_lo, exec_lo, s16
	s_cbranch_execnz .LBB62_59
; %bb.60:                               ;   in Loop: Header=BB62_43 Depth=2
	s_or_b32 exec_lo, exec_lo, s16
	s_delay_alu instid0(SALU_CYCLE_1)
	s_and_not1_b32 s15, s15, exec_lo
	s_branch .LBB62_42
.LBB62_61:
	s_or_b32 exec_lo, exec_lo, s2
.LBB62_62:
	s_waitcnt lgkmcnt(0)
	s_barrier
	buffer_gl0_inv
	s_and_saveexec_b32 s4, s0
	s_cbranch_execz .LBB62_75
; %bb.63:
	v_mbcnt_lo_u32_b32 v1, -1, 0
	v_lshrrev_b32_e32 v2, 3, v0
	v_cmp_eq_u32_e32 vcc_lo, 0x7f, v0
	v_cmp_lt_u32_e64 s0, 31, v0
	v_cmp_lt_u32_e64 s1, 63, v0
	v_xor_b32_e32 v1, 63, v1
	v_dual_mov_b32 v5, 0 :: v_dual_and_b32 v4, 12, v2
	v_cmp_lt_u32_e64 s2, 0x5f, v0
	v_add3_u32 v3, v25, 0, 0x400
	s_delay_alu instid0(VALU_DEP_4) | instskip(NEXT) | instid1(VALU_DEP_4)
	v_lshrrev_b64 v[1:2], v1, -1
	v_add_nc_u32_e32 v2, 0, v4
	v_mov_b32_e32 v4, 0
	s_mov_b32 s5, 0
	s_branch .LBB62_65
.LBB62_64:                              ;   in Loop: Header=BB62_65 Depth=1
	s_or_b32 exec_lo, exec_lo, s3
	s_waitcnt lgkmcnt(0)
	s_barrier
	buffer_gl0_inv
	ds_load_b32 v6, v4 offset:5132
	v_add_co_u32 v23, s3, 0x80, v23
	s_delay_alu instid0(VALU_DEP_1) | instskip(SKIP_3) | instid1(SALU_CYCLE_1)
	s_xor_b32 s3, s3, -1
	v_add_nc_u32_e32 v3, 0x800, v3
	v_add_nc_u32_e32 v24, 0x200, v24
	s_and_b32 s3, exec_lo, s3
	s_or_b32 s5, s3, s5
	s_waitcnt lgkmcnt(0)
	v_add_nc_u32_e32 v5, v6, v5
	s_and_not1_b32 exec_lo, exec_lo, s5
	s_cbranch_execz .LBB62_75
.LBB62_65:                              ; =>This Inner Loop Header: Depth=1
	ds_load_b32 v6, v24
	ds_load_2addr_b64 v[7:10], v3 offset1:1
	s_waitcnt lgkmcnt(1)
	v_cmp_gt_i32_e64 s3, s33, v6
	s_waitcnt lgkmcnt(0)
	scratch_store_b128 off, v[7:10], off
	s_waitcnt_vscnt null, 0x0
	s_barrier
	buffer_gl0_inv
	s_bcnt1_i32_b32 s6, s3
	s_delay_alu instid0(SALU_CYCLE_1) | instskip(NEXT) | instid1(VALU_DEP_1)
	v_dual_mov_b32 v8, s6 :: v_dual_and_b32 v7, s3, v1
	v_bcnt_u32_b32 v7, v7, 0
	ds_store_b32 v2, v8 offset:5120
	s_waitcnt lgkmcnt(0)
	s_barrier
	buffer_gl0_inv
	s_and_saveexec_b32 s6, s0
	s_cbranch_execnz .LBB62_70
; %bb.66:                               ;   in Loop: Header=BB62_65 Depth=1
	s_or_b32 exec_lo, exec_lo, s6
	s_and_saveexec_b32 s6, s1
	s_cbranch_execnz .LBB62_71
.LBB62_67:                              ;   in Loop: Header=BB62_65 Depth=1
	s_or_b32 exec_lo, exec_lo, s6
	s_and_saveexec_b32 s6, s2
	s_cbranch_execnz .LBB62_72
.LBB62_68:                              ;   in Loop: Header=BB62_65 Depth=1
	s_or_b32 exec_lo, exec_lo, s6
	s_and_saveexec_b32 s6, s3
	s_cbranch_execnz .LBB62_73
.LBB62_69:                              ;   in Loop: Header=BB62_65 Depth=1
	s_or_b32 exec_lo, exec_lo, s6
	s_and_saveexec_b32 s3, vcc_lo
	s_cbranch_execz .LBB62_64
	s_branch .LBB62_74
.LBB62_70:                              ;   in Loop: Header=BB62_65 Depth=1
	ds_load_b32 v8, v4 offset:5120
	s_waitcnt lgkmcnt(0)
	v_add_nc_u32_e32 v7, v8, v7
	s_or_b32 exec_lo, exec_lo, s6
	s_and_saveexec_b32 s6, s1
	s_cbranch_execz .LBB62_67
.LBB62_71:                              ;   in Loop: Header=BB62_65 Depth=1
	ds_load_b32 v8, v4 offset:5124
	s_waitcnt lgkmcnt(0)
	v_add_nc_u32_e32 v7, v8, v7
	s_or_b32 exec_lo, exec_lo, s6
	s_and_saveexec_b32 s6, s2
	s_cbranch_execz .LBB62_68
.LBB62_72:                              ;   in Loop: Header=BB62_65 Depth=1
	ds_load_b32 v8, v4 offset:5128
	s_waitcnt lgkmcnt(0)
	v_add_nc_u32_e32 v7, v8, v7
	s_or_b32 exec_lo, exec_lo, s6
	s_and_saveexec_b32 s6, s3
	s_cbranch_execz .LBB62_69
.LBB62_73:                              ;   in Loop: Header=BB62_65 Depth=1
	scratch_load_b128 v[8:11], off, off
	v_add3_u32 v12, v5, -1, v7
	s_delay_alu instid0(VALU_DEP_1)
	v_lshl_add_u32 v13, v12, 2, 0
	v_lshl_add_u32 v12, v12, 4, 0
	ds_store_b32 v13, v6
	s_waitcnt vmcnt(0)
	ds_store_2addr_b64 v12, v[8:9], v[10:11] offset0:128 offset1:129
	s_or_b32 exec_lo, exec_lo, s6
	s_and_saveexec_b32 s3, vcc_lo
	s_cbranch_execz .LBB62_64
.LBB62_74:                              ;   in Loop: Header=BB62_65 Depth=1
	ds_store_b32 v4, v7 offset:5132
	s_branch .LBB62_64
.LBB62_75:
	s_or_b32 exec_lo, exec_lo, s4
	s_ashr_i32 s15, s14, 31
	s_mov_b32 s3, exec_lo
	s_lshl_b64 s[0:1], s[14:15], 2
	s_delay_alu instid0(SALU_CYCLE_1) | instskip(SKIP_4) | instid1(SALU_CYCLE_1)
	s_add_u32 s0, s10, s0
	s_addc_u32 s1, s11, s1
	s_load_b64 s[0:1], s[0:1], 0x0
	s_waitcnt lgkmcnt(0)
	s_sub_i32 s2, s1, s0
	v_cmpx_gt_i32_e64 s2, v0
	s_cbranch_execz .LBB62_85
; %bb.76:
	s_sub_i32 s3, s0, s26
	s_sub_i32 s0, s0, s1
	s_and_b32 s1, s2, 7
	s_cmp_lt_u32 s0, -7
	s_mov_b32 s7, 0
	s_cselect_b32 s4, -1, 0
	s_and_b32 s5, s2, -8
	s_cmp_lg_u32 s1, 0
	s_cselect_b32 s6, -1, 0
	s_branch .LBB62_78
.LBB62_77:                              ;   in Loop: Header=BB62_78 Depth=1
	s_waitcnt lgkmcnt(0)
	s_delay_alu instid0(VALU_DEP_1) | instskip(SKIP_1) | instid1(VALU_DEP_1)
	v_mad_u64_u32 v[3:4], null, v0, 12, v[1:2]
	v_add_nc_u32_e32 v0, 0x80, v0
	v_cmp_le_i32_e32 vcc_lo, s2, v0
	ds_load_2addr_b64 v[4:7], v3 offset0:128 offset1:129
	v_ashrrev_i32_e32 v3, 31, v2
	s_or_b32 s7, vcc_lo, s7
	s_delay_alu instid0(VALU_DEP_1) | instskip(NEXT) | instid1(VALU_DEP_1)
	v_lshlrev_b64 v[1:2], 4, v[2:3]
	v_add_co_u32 v1, s0, s12, v1
	s_delay_alu instid0(VALU_DEP_1)
	v_add_co_ci_u32_e64 v2, s0, s13, v2, s0
	s_waitcnt lgkmcnt(0)
	global_store_b128 v[1:2], v[4:7], off
	s_and_not1_b32 exec_lo, exec_lo, s7
	s_cbranch_execz .LBB62_85
.LBB62_78:                              ; =>This Loop Header: Depth=1
                                        ;     Child Loop BB62_80 Depth 2
                                        ;     Child Loop BB62_84 Depth 2
	v_lshl_add_u32 v1, v0, 2, 0
	v_mov_b32_e32 v2, s3
	s_and_not1_b32 vcc_lo, exec_lo, s4
	s_mov_b32 s0, 0
	ds_load_b32 v3, v1
	s_cbranch_vccnz .LBB62_82
; %bb.79:                               ;   in Loop: Header=BB62_78 Depth=1
	v_mov_b32_e32 v2, s3
	s_mov_b32 s8, 0
	s_set_inst_prefetch_distance 0x1
	.p2align	6
.LBB62_80:                              ;   Parent Loop BB62_78 Depth=1
                                        ; =>  This Inner Loop Header: Depth=2
	v_mov_b32_e32 v10, s8
	s_add_i32 s0, s0, 8
	s_add_i32 s8, s8, 32
	s_cmp_eq_u32 s5, s0
	ds_load_2addr_b32 v[4:5], v10 offset1:1
	ds_load_2addr_b32 v[6:7], v10 offset0:2 offset1:3
	ds_load_2addr_b32 v[8:9], v10 offset0:4 offset1:5
	ds_load_2addr_b32 v[10:11], v10 offset0:6 offset1:7
	s_waitcnt lgkmcnt(3)
	v_cmp_gt_i32_e32 vcc_lo, v3, v4
	v_cndmask_b32_e64 v4, 0, 1, vcc_lo
	s_waitcnt lgkmcnt(2)
	v_cmp_gt_i32_e32 vcc_lo, v3, v6
	v_cndmask_b32_e64 v6, 0, 1, vcc_lo
	v_cmp_gt_i32_e32 vcc_lo, v3, v5
	v_add_co_ci_u32_e32 v2, vcc_lo, v2, v4, vcc_lo
	s_waitcnt lgkmcnt(1)
	v_cmp_gt_i32_e32 vcc_lo, v3, v8
	v_cndmask_b32_e64 v4, 0, 1, vcc_lo
	v_cmp_gt_i32_e32 vcc_lo, v3, v7
	v_add_co_ci_u32_e32 v2, vcc_lo, v2, v6, vcc_lo
	;; [unrolled: 5-line block ×3, first 2 shown]
	v_cmp_gt_i32_e32 vcc_lo, v3, v11
	s_delay_alu instid0(VALU_DEP_2)
	v_add_co_ci_u32_e32 v2, vcc_lo, v2, v5, vcc_lo
	s_cbranch_scc0 .LBB62_80
; %bb.81:                               ;   in Loop: Header=BB62_78 Depth=1
	s_set_inst_prefetch_distance 0x2
	s_mov_b32 s0, s5
.LBB62_82:                              ;   in Loop: Header=BB62_78 Depth=1
	s_and_not1_b32 vcc_lo, exec_lo, s6
	s_cbranch_vccnz .LBB62_77
; %bb.83:                               ;   in Loop: Header=BB62_78 Depth=1
	s_lshl_b32 s0, s0, 2
	s_mov_b32 s8, s1
	s_add_i32 s0, s0, 0
.LBB62_84:                              ;   Parent Loop BB62_78 Depth=1
                                        ; =>  This Inner Loop Header: Depth=2
	s_delay_alu instid0(SALU_CYCLE_1)
	v_mov_b32_e32 v4, s0
	s_add_i32 s8, s8, -1
	s_add_i32 s0, s0, 4
	s_cmp_lg_u32 s8, 0
	ds_load_b32 v4, v4
	s_waitcnt lgkmcnt(0)
	v_cmp_gt_i32_e32 vcc_lo, v3, v4
	v_add_co_ci_u32_e32 v2, vcc_lo, 0, v2, vcc_lo
	s_cbranch_scc1 .LBB62_84
	s_branch .LBB62_77
.LBB62_85:
	s_nop 0
	s_sendmsg sendmsg(MSG_DEALLOC_VGPRS)
	s_endpgm
	.section	.rodata,"a",@progbits
	.p2align	6, 0x0
	.amdhsa_kernel _ZN9rocsparseL41csrgemm_numeric_fill_block_per_row_kernelILj128ELj16ELj256ELj137ELj32Eii21rocsparse_complex_numIdEEEvT5_PKS3_S5_NS_24const_host_device_scalarIT6_EEPKT4_S5_PKS7_SB_S5_SD_S8_SB_S5_SD_SB_S5_PS7_21rocsparse_index_base_SF_SF_SF_bbb
		.amdhsa_group_segment_fixed_size 0
		.amdhsa_private_segment_fixed_size 40
		.amdhsa_kernarg_size 172
		.amdhsa_user_sgpr_count 15
		.amdhsa_user_sgpr_dispatch_ptr 0
		.amdhsa_user_sgpr_queue_ptr 0
		.amdhsa_user_sgpr_kernarg_segment_ptr 1
		.amdhsa_user_sgpr_dispatch_id 0
		.amdhsa_user_sgpr_private_segment_size 0
		.amdhsa_wavefront_size32 1
		.amdhsa_uses_dynamic_stack 0
		.amdhsa_enable_private_segment 1
		.amdhsa_system_sgpr_workgroup_id_x 1
		.amdhsa_system_sgpr_workgroup_id_y 0
		.amdhsa_system_sgpr_workgroup_id_z 0
		.amdhsa_system_sgpr_workgroup_info 0
		.amdhsa_system_vgpr_workitem_id 0
		.amdhsa_next_free_vgpr 31
		.amdhsa_next_free_sgpr 42
		.amdhsa_reserve_vcc 1
		.amdhsa_float_round_mode_32 0
		.amdhsa_float_round_mode_16_64 0
		.amdhsa_float_denorm_mode_32 3
		.amdhsa_float_denorm_mode_16_64 3
		.amdhsa_dx10_clamp 1
		.amdhsa_ieee_mode 1
		.amdhsa_fp16_overflow 0
		.amdhsa_workgroup_processor_mode 1
		.amdhsa_memory_ordered 1
		.amdhsa_forward_progress 0
		.amdhsa_shared_vgpr_count 0
		.amdhsa_exception_fp_ieee_invalid_op 0
		.amdhsa_exception_fp_denorm_src 0
		.amdhsa_exception_fp_ieee_div_zero 0
		.amdhsa_exception_fp_ieee_overflow 0
		.amdhsa_exception_fp_ieee_underflow 0
		.amdhsa_exception_fp_ieee_inexact 0
		.amdhsa_exception_int_div_zero 0
	.end_amdhsa_kernel
	.section	.text._ZN9rocsparseL41csrgemm_numeric_fill_block_per_row_kernelILj128ELj16ELj256ELj137ELj32Eii21rocsparse_complex_numIdEEEvT5_PKS3_S5_NS_24const_host_device_scalarIT6_EEPKT4_S5_PKS7_SB_S5_SD_S8_SB_S5_SD_SB_S5_PS7_21rocsparse_index_base_SF_SF_SF_bbb,"axG",@progbits,_ZN9rocsparseL41csrgemm_numeric_fill_block_per_row_kernelILj128ELj16ELj256ELj137ELj32Eii21rocsparse_complex_numIdEEEvT5_PKS3_S5_NS_24const_host_device_scalarIT6_EEPKT4_S5_PKS7_SB_S5_SD_S8_SB_S5_SD_SB_S5_PS7_21rocsparse_index_base_SF_SF_SF_bbb,comdat
.Lfunc_end62:
	.size	_ZN9rocsparseL41csrgemm_numeric_fill_block_per_row_kernelILj128ELj16ELj256ELj137ELj32Eii21rocsparse_complex_numIdEEEvT5_PKS3_S5_NS_24const_host_device_scalarIT6_EEPKT4_S5_PKS7_SB_S5_SD_S8_SB_S5_SD_SB_S5_PS7_21rocsparse_index_base_SF_SF_SF_bbb, .Lfunc_end62-_ZN9rocsparseL41csrgemm_numeric_fill_block_per_row_kernelILj128ELj16ELj256ELj137ELj32Eii21rocsparse_complex_numIdEEEvT5_PKS3_S5_NS_24const_host_device_scalarIT6_EEPKT4_S5_PKS7_SB_S5_SD_S8_SB_S5_SD_SB_S5_PS7_21rocsparse_index_base_SF_SF_SF_bbb
                                        ; -- End function
	.section	.AMDGPU.csdata,"",@progbits
; Kernel info:
; codeLenInByte = 3460
; NumSgprs: 44
; NumVgprs: 31
; ScratchSize: 40
; MemoryBound: 0
; FloatMode: 240
; IeeeMode: 1
; LDSByteSize: 0 bytes/workgroup (compile time only)
; SGPRBlocks: 5
; VGPRBlocks: 3
; NumSGPRsForWavesPerEU: 44
; NumVGPRsForWavesPerEU: 31
; Occupancy: 16
; WaveLimiterHint : 1
; COMPUTE_PGM_RSRC2:SCRATCH_EN: 1
; COMPUTE_PGM_RSRC2:USER_SGPR: 15
; COMPUTE_PGM_RSRC2:TRAP_HANDLER: 0
; COMPUTE_PGM_RSRC2:TGID_X_EN: 1
; COMPUTE_PGM_RSRC2:TGID_Y_EN: 0
; COMPUTE_PGM_RSRC2:TGID_Z_EN: 0
; COMPUTE_PGM_RSRC2:TIDIG_COMP_CNT: 0
	.section	.text._ZN9rocsparseL41csrgemm_numeric_fill_block_per_row_kernelILj128ELj16ELj256ELj137ELj64Eii21rocsparse_complex_numIdEEEvT5_PKS3_S5_NS_24const_host_device_scalarIT6_EEPKT4_S5_PKS7_SB_S5_SD_S8_SB_S5_SD_SB_S5_PS7_21rocsparse_index_base_SF_SF_SF_bbb,"axG",@progbits,_ZN9rocsparseL41csrgemm_numeric_fill_block_per_row_kernelILj128ELj16ELj256ELj137ELj64Eii21rocsparse_complex_numIdEEEvT5_PKS3_S5_NS_24const_host_device_scalarIT6_EEPKT4_S5_PKS7_SB_S5_SD_S8_SB_S5_SD_SB_S5_PS7_21rocsparse_index_base_SF_SF_SF_bbb,comdat
	.globl	_ZN9rocsparseL41csrgemm_numeric_fill_block_per_row_kernelILj128ELj16ELj256ELj137ELj64Eii21rocsparse_complex_numIdEEEvT5_PKS3_S5_NS_24const_host_device_scalarIT6_EEPKT4_S5_PKS7_SB_S5_SD_S8_SB_S5_SD_SB_S5_PS7_21rocsparse_index_base_SF_SF_SF_bbb ; -- Begin function _ZN9rocsparseL41csrgemm_numeric_fill_block_per_row_kernelILj128ELj16ELj256ELj137ELj64Eii21rocsparse_complex_numIdEEEvT5_PKS3_S5_NS_24const_host_device_scalarIT6_EEPKT4_S5_PKS7_SB_S5_SD_S8_SB_S5_SD_SB_S5_PS7_21rocsparse_index_base_SF_SF_SF_bbb
	.p2align	8
	.type	_ZN9rocsparseL41csrgemm_numeric_fill_block_per_row_kernelILj128ELj16ELj256ELj137ELj64Eii21rocsparse_complex_numIdEEEvT5_PKS3_S5_NS_24const_host_device_scalarIT6_EEPKT4_S5_PKS7_SB_S5_SD_S8_SB_S5_SD_SB_S5_PS7_21rocsparse_index_base_SF_SF_SF_bbb,@function
_ZN9rocsparseL41csrgemm_numeric_fill_block_per_row_kernelILj128ELj16ELj256ELj137ELj64Eii21rocsparse_complex_numIdEEEvT5_PKS3_S5_NS_24const_host_device_scalarIT6_EEPKT4_S5_PKS7_SB_S5_SD_S8_SB_S5_SD_SB_S5_PS7_21rocsparse_index_base_SF_SF_SF_bbb: ; @_ZN9rocsparseL41csrgemm_numeric_fill_block_per_row_kernelILj128ELj16ELj256ELj137ELj64Eii21rocsparse_complex_numIdEEEvT5_PKS3_S5_NS_24const_host_device_scalarIT6_EEPKT4_S5_PKS7_SB_S5_SD_S8_SB_S5_SD_SB_S5_PS7_21rocsparse_index_base_SF_SF_SF_bbb
; %bb.0:
	s_clause 0x2
	s_load_b32 s12, s[0:1], 0xa8
	s_load_b128 s[8:11], s[0:1], 0x18
	s_load_b128 s[4:7], s[0:1], 0x58
	v_mov_b32_e32 v1, 0
	v_mov_b32_e32 v2, 0
	s_waitcnt lgkmcnt(0)
	s_bitcmp1_b32 s12, 0
	v_mov_b32_e32 v3, s8
	s_cselect_b32 s34, -1, 0
	s_bitcmp1_b32 s12, 16
	v_dual_mov_b32 v6, v2 :: v_dual_mov_b32 v5, v1
	s_cselect_b32 s2, -1, 0
	v_mov_b32_e32 v4, s9
	s_xor_b32 s3, s2, -1
	v_dual_mov_b32 v10, s5 :: v_dual_mov_b32 v9, s4
	v_cndmask_b32_e64 v7, 0, 1, s3
	s_bitcmp0_b32 s12, 0
	s_clause 0x1
	scratch_store_b64 off, v[3:4], off offset:16
	scratch_store_b64 off, v[9:10], off offset:24
	v_cmp_ne_u32_e32 vcc_lo, 1, v7
	v_dual_mov_b32 v8, v2 :: v_dual_mov_b32 v7, v1
	s_cbranch_scc1 .LBB63_3
; %bb.1:
	s_mov_b64 s[16:17], src_private_base
	s_and_b32 s13, s2, exec_lo
	s_cselect_b32 s13, s17, s9
	s_delay_alu instid0(SALU_CYCLE_1) | instskip(SKIP_2) | instid1(VALU_DEP_2)
	v_dual_mov_b32 v3, 16 :: v_dual_mov_b32 v4, s13
	v_dual_mov_b32 v7, s10 :: v_dual_mov_b32 v8, s11
	s_and_b32 vcc_lo, exec_lo, vcc_lo
	v_cndmask_b32_e64 v3, s8, v3, s2
	flat_load_b64 v[5:6], v[3:4]
	s_cbranch_vccnz .LBB63_3
; %bb.2:
	v_dual_mov_b32 v3, s8 :: v_dual_mov_b32 v4, s9
	flat_load_b64 v[7:8], v[3:4] offset:8
.LBB63_3:
	s_load_b128 s[24:27], s[0:1], 0x98
	s_bitcmp1_b32 s12, 8
	v_dual_mov_b32 v4, v2 :: v_dual_mov_b32 v3, v1
	s_cselect_b32 s33, -1, 0
	s_bfe_u32 s8, s12, 0x10008
	s_delay_alu instid0(SALU_CYCLE_1)
	s_cmp_eq_u32 s8, 0
	s_cbranch_scc1 .LBB63_6
; %bb.4:
	s_mov_b64 s[8:9], src_private_base
	s_and_b32 s8, s2, exec_lo
	s_cselect_b32 s8, s9, s5
	s_delay_alu instid0(SALU_CYCLE_1) | instskip(SKIP_1) | instid1(VALU_DEP_1)
	v_dual_mov_b32 v1, 24 :: v_dual_mov_b32 v2, s8
	s_and_not1_b32 vcc_lo, exec_lo, s3
	v_cndmask_b32_e64 v1, s4, v1, s2
	flat_load_b64 v[3:4], v[1:2]
	v_dual_mov_b32 v1, s6 :: v_dual_mov_b32 v2, s7
	s_cbranch_vccnz .LBB63_6
; %bb.5:
	v_dual_mov_b32 v1, s4 :: v_dual_mov_b32 v2, s5
	flat_load_b64 v[1:2], v[1:2] offset:8
.LBB63_6:
	s_clause 0x5
	s_load_b64 s[2:3], s[0:1], 0x90
	s_load_b256 s[4:11], s[0:1], 0x68
	s_load_b128 s[28:31], s[0:1], 0x48
	s_load_b256 s[16:23], s[0:1], 0x28
	s_load_b128 s[36:39], s[0:1], 0x8
	s_load_b32 s14, s[0:1], 0x0
	v_cmp_gt_u32_e64 s0, 0x100, v0
	v_lshlrev_b32_e32 v25, 4, v0
	v_or_b32_e32 v23, 0xffffff80, v0
	v_lshl_add_u32 v24, v0, 2, 0
	s_delay_alu instid0(VALU_DEP_4)
	s_and_saveexec_b32 s1, s0
	s_cbranch_execz .LBB63_9
; %bb.7:
	s_mov_b32 s12, 0
	v_add3_u32 v13, v25, 0, 0x400
	s_mov_b32 s13, s12
	s_mov_b32 s40, s12
	s_waitcnt lgkmcnt(0)
	v_dual_mov_b32 v16, s14 :: v_dual_mov_b32 v9, s12
	s_mov_b32 s41, s12
	v_dual_mov_b32 v10, s13 :: v_dual_mov_b32 v11, s40
	v_or_b32_e32 v14, 0xffffff80, v0
	v_lshl_add_u32 v15, v0, 2, 0
	v_mov_b32_e32 v12, s41
.LBB63_8:                               ; =>This Inner Loop Header: Depth=1
	s_delay_alu instid0(VALU_DEP_3) | instskip(NEXT) | instid1(VALU_DEP_1)
	v_add_co_u32 v14, s13, 0x80, v14
	s_xor_b32 s13, s13, -1
	ds_store_b32 v15, v16
	ds_store_2addr_b64 v13, v[9:10], v[11:12] offset1:1
	v_add_nc_u32_e32 v13, 0x800, v13
	v_add_nc_u32_e32 v15, 0x200, v15
	s_and_b32 s13, exec_lo, s13
	s_delay_alu instid0(SALU_CYCLE_1) | instskip(NEXT) | instid1(SALU_CYCLE_1)
	s_or_b32 s12, s13, s12
	s_and_not1_b32 exec_lo, exec_lo, s12
	s_cbranch_execnz .LBB63_8
.LBB63_9:
	s_or_b32 exec_lo, exec_lo, s1
	s_waitcnt vmcnt(0) lgkmcnt(0)
	s_waitcnt_vscnt null, 0x0
	s_barrier
	buffer_gl0_inv
	s_load_b32 s1, s[36:37], 0x0
	s_mov_b32 s13, 0
	v_lshrrev_b32_e32 v26, 4, v0
	s_waitcnt lgkmcnt(0)
	s_add_i32 s12, s1, s15
	s_delay_alu instid0(SALU_CYCLE_1) | instskip(NEXT) | instid1(SALU_CYCLE_1)
	s_lshl_b64 s[12:13], s[12:13], 2
	s_add_u32 s12, s38, s12
	s_addc_u32 s13, s39, s13
	s_and_b32 vcc_lo, exec_lo, s34
	s_load_b32 s12, s[12:13], 0x0
	s_cbranch_vccz .LBB63_37
; %bb.10:
	s_waitcnt lgkmcnt(0)
	s_ashr_i32 s13, s12, 31
	v_subrev_nc_u32_e32 v9, s24, v26
	s_lshl_b64 s[34:35], s[12:13], 2
	s_mov_b32 s13, exec_lo
	s_add_u32 s16, s16, s34
	s_addc_u32 s17, s17, s35
	s_load_b64 s[16:17], s[16:17], 0x0
	s_waitcnt lgkmcnt(0)
	v_add_nc_u32_e32 v9, s16, v9
	s_sub_i32 s1, s17, s24
	s_delay_alu instid0(VALU_DEP_1) | instid1(SALU_CYCLE_1)
	v_cmpx_gt_i32_e64 s1, v9
	s_cbranch_execz .LBB63_36
; %bb.11:
	v_and_b32_e32 v10, 15, v0
	s_mov_b32 s15, 0
	s_delay_alu instid0(VALU_DEP_1)
	v_subrev_nc_u32_e32 v27, s25, v10
	s_branch .LBB63_13
.LBB63_12:                              ;   in Loop: Header=BB63_13 Depth=1
	s_or_b32 exec_lo, exec_lo, s16
	v_add_nc_u32_e32 v9, 8, v9
	s_delay_alu instid0(VALU_DEP_1) | instskip(SKIP_1) | instid1(SALU_CYCLE_1)
	v_cmp_le_i32_e32 vcc_lo, s1, v9
	s_or_b32 s15, vcc_lo, s15
	s_and_not1_b32 exec_lo, exec_lo, s15
	s_cbranch_execz .LBB63_36
.LBB63_13:                              ; =>This Loop Header: Depth=1
                                        ;     Child Loop BB63_16 Depth 2
                                        ;       Child Loop BB63_18 Depth 3
                                        ;         Child Loop BB63_24 Depth 4
                                        ;         Child Loop BB63_26 Depth 4
	;; [unrolled: 1-line block ×4, first 2 shown]
	v_ashrrev_i32_e32 v10, 31, v9
	s_mov_b32 s16, exec_lo
	s_delay_alu instid0(VALU_DEP_1) | instskip(NEXT) | instid1(VALU_DEP_1)
	v_lshlrev_b64 v[11:12], 2, v[9:10]
	v_add_co_u32 v11, vcc_lo, s18, v11
	s_delay_alu instid0(VALU_DEP_2) | instskip(SKIP_3) | instid1(VALU_DEP_1)
	v_add_co_ci_u32_e32 v12, vcc_lo, s19, v12, vcc_lo
	global_load_b32 v11, v[11:12], off
	s_waitcnt vmcnt(0)
	v_subrev_nc_u32_e32 v11, s24, v11
	v_ashrrev_i32_e32 v12, 31, v11
	s_delay_alu instid0(VALU_DEP_1) | instskip(NEXT) | instid1(VALU_DEP_1)
	v_lshlrev_b64 v[11:12], 2, v[11:12]
	v_add_co_u32 v11, vcc_lo, s22, v11
	s_delay_alu instid0(VALU_DEP_2) | instskip(SKIP_4) | instid1(VALU_DEP_1)
	v_add_co_ci_u32_e32 v12, vcc_lo, s23, v12, vcc_lo
	global_load_b64 v[11:12], v[11:12], off
	s_waitcnt vmcnt(0)
	v_subrev_nc_u32_e32 v28, s25, v12
	v_add_nc_u32_e32 v11, v11, v27
	v_cmpx_lt_i32_e64 v11, v28
	s_cbranch_execz .LBB63_12
; %bb.14:                               ;   in Loop: Header=BB63_13 Depth=1
	v_lshlrev_b64 v[12:13], 4, v[9:10]
	s_mov_b32 s17, 0
	s_delay_alu instid0(VALU_DEP_1) | instskip(NEXT) | instid1(VALU_DEP_2)
	v_add_co_u32 v12, vcc_lo, s20, v12
	v_add_co_ci_u32_e32 v13, vcc_lo, s21, v13, vcc_lo
	global_load_b128 v[15:18], v[12:13], off
	s_waitcnt vmcnt(0)
	v_mul_f64 v[12:13], v[17:18], -v[7:8]
	v_mul_f64 v[17:18], v[5:6], v[17:18]
	s_delay_alu instid0(VALU_DEP_2) | instskip(NEXT) | instid1(VALU_DEP_2)
	v_fma_f64 v[13:14], v[5:6], v[15:16], v[12:13]
	v_fma_f64 v[15:16], v[7:8], v[15:16], v[17:18]
	s_branch .LBB63_16
.LBB63_15:                              ;   in Loop: Header=BB63_16 Depth=2
	s_or_b32 exec_lo, exec_lo, s34
	v_add_nc_u32_e32 v11, 16, v11
	s_delay_alu instid0(VALU_DEP_1) | instskip(SKIP_1) | instid1(SALU_CYCLE_1)
	v_cmp_ge_i32_e32 vcc_lo, v11, v28
	s_or_b32 s17, vcc_lo, s17
	s_and_not1_b32 exec_lo, exec_lo, s17
	s_cbranch_execz .LBB63_12
.LBB63_16:                              ;   Parent Loop BB63_13 Depth=1
                                        ; =>  This Loop Header: Depth=2
                                        ;       Child Loop BB63_18 Depth 3
                                        ;         Child Loop BB63_24 Depth 4
                                        ;         Child Loop BB63_26 Depth 4
	;; [unrolled: 1-line block ×4, first 2 shown]
	v_ashrrev_i32_e32 v12, 31, v11
	s_mov_b32 s34, 0
	s_delay_alu instid0(VALU_DEP_1) | instskip(NEXT) | instid1(VALU_DEP_1)
	v_lshlrev_b64 v[17:18], 4, v[11:12]
	v_add_co_u32 v17, vcc_lo, s30, v17
	s_delay_alu instid0(VALU_DEP_2) | instskip(SKIP_2) | instid1(VALU_DEP_1)
	v_add_co_ci_u32_e32 v18, vcc_lo, s31, v18, vcc_lo
	global_load_b128 v[19:22], v[17:18], off
	v_lshlrev_b64 v[17:18], 2, v[11:12]
	v_add_co_u32 v17, vcc_lo, s28, v17
	s_delay_alu instid0(VALU_DEP_2)
	v_add_co_ci_u32_e32 v18, vcc_lo, s29, v18, vcc_lo
	global_load_b32 v10, v[17:18], off
	s_waitcnt vmcnt(1)
	v_mul_f64 v[17:18], v[21:22], -v[15:16]
	v_mul_f64 v[21:22], v[13:14], v[21:22]
	s_waitcnt vmcnt(0)
	v_subrev_nc_u32_e32 v10, s25, v10
	s_delay_alu instid0(VALU_DEP_1) | instskip(NEXT) | instid1(VALU_DEP_1)
	v_mul_lo_u32 v12, 0x89, v10
	v_and_b32_e32 v12, 0xff, v12
	v_fma_f64 v[17:18], v[13:14], v[19:20], v[17:18]
	v_fma_f64 v[19:20], v[15:16], v[19:20], v[21:22]
	s_branch .LBB63_18
.LBB63_17:                              ;   in Loop: Header=BB63_18 Depth=3
	s_or_b32 exec_lo, exec_lo, s35
	s_xor_b32 s35, s36, -1
	s_delay_alu instid0(SALU_CYCLE_1) | instskip(NEXT) | instid1(SALU_CYCLE_1)
	s_and_b32 s35, exec_lo, s35
	s_or_b32 s34, s35, s34
	s_delay_alu instid0(SALU_CYCLE_1)
	s_and_not1_b32 exec_lo, exec_lo, s34
	s_cbranch_execz .LBB63_15
.LBB63_18:                              ;   Parent Loop BB63_13 Depth=1
                                        ;     Parent Loop BB63_16 Depth=2
                                        ; =>    This Loop Header: Depth=3
                                        ;         Child Loop BB63_24 Depth 4
                                        ;         Child Loop BB63_26 Depth 4
	;; [unrolled: 1-line block ×4, first 2 shown]
	s_delay_alu instid0(VALU_DEP_3)
	v_lshl_add_u32 v21, v12, 2, 0
	s_mov_b32 s35, exec_lo
                                        ; implicit-def: $sgpr36
	ds_load_b32 v22, v21
	s_waitcnt lgkmcnt(0)
	v_cmpx_ne_u32_e64 v22, v10
	s_xor_b32 s35, exec_lo, s35
	s_cbranch_execz .LBB63_30
; %bb.19:                               ;   in Loop: Header=BB63_18 Depth=3
	s_mov_b32 s37, exec_lo
                                        ; implicit-def: $sgpr36
	v_cmpx_ne_u32_e64 s14, v22
	s_xor_b32 s37, exec_lo, s37
; %bb.20:                               ;   in Loop: Header=BB63_18 Depth=3
	v_add_nc_u32_e32 v12, 1, v12
	s_mov_b32 s36, -1
                                        ; implicit-def: $vgpr21
	s_delay_alu instid0(VALU_DEP_1)
	v_and_b32_e32 v12, 0xff, v12
; %bb.21:                               ;   in Loop: Header=BB63_18 Depth=3
	s_and_not1_saveexec_b32 s37, s37
	s_cbranch_execz .LBB63_29
; %bb.22:                               ;   in Loop: Header=BB63_18 Depth=3
	v_mov_b32_e32 v22, s14
	s_mov_b32 s39, -1
	s_mov_b32 s38, exec_lo
	ds_cmpstore_rtn_b32 v22, v21, v10, v22
	s_waitcnt lgkmcnt(0)
	v_cmpx_eq_u32_e64 s14, v22
	s_cbranch_execz .LBB63_28
; %bb.23:                               ;   in Loop: Header=BB63_18 Depth=3
	v_mul_lo_u32 v22, v12, 12
	s_mov_b32 s39, 0
	s_delay_alu instid0(VALU_DEP_1)
	v_add_nc_u32_e32 v29, v21, v22
	ds_load_b64 v[21:22], v29 offset:1024
.LBB63_24:                              ;   Parent Loop BB63_13 Depth=1
                                        ;     Parent Loop BB63_16 Depth=2
                                        ;       Parent Loop BB63_18 Depth=3
                                        ; =>      This Inner Loop Header: Depth=4
	s_waitcnt lgkmcnt(0)
	v_add_f64 v[30:31], v[21:22], v[17:18]
	ds_cmpstore_rtn_b64 v[30:31], v29, v[30:31], v[21:22] offset:1024
	s_waitcnt lgkmcnt(0)
	v_cmp_eq_u64_e32 vcc_lo, v[30:31], v[21:22]
	v_dual_mov_b32 v21, v30 :: v_dual_mov_b32 v22, v31
	s_or_b32 s39, vcc_lo, s39
	s_delay_alu instid0(SALU_CYCLE_1)
	s_and_not1_b32 exec_lo, exec_lo, s39
	s_cbranch_execnz .LBB63_24
; %bb.25:                               ;   in Loop: Header=BB63_18 Depth=3
	s_or_b32 exec_lo, exec_lo, s39
	ds_load_b64 v[21:22], v29 offset:1032
	s_mov_b32 s39, 0
.LBB63_26:                              ;   Parent Loop BB63_13 Depth=1
                                        ;     Parent Loop BB63_16 Depth=2
                                        ;       Parent Loop BB63_18 Depth=3
                                        ; =>      This Inner Loop Header: Depth=4
	s_waitcnt lgkmcnt(0)
	v_add_f64 v[30:31], v[21:22], v[19:20]
	ds_cmpstore_rtn_b64 v[30:31], v29, v[30:31], v[21:22] offset:1032
	s_waitcnt lgkmcnt(0)
	v_cmp_eq_u64_e32 vcc_lo, v[30:31], v[21:22]
	v_dual_mov_b32 v21, v30 :: v_dual_mov_b32 v22, v31
	s_or_b32 s39, vcc_lo, s39
	s_delay_alu instid0(SALU_CYCLE_1)
	s_and_not1_b32 exec_lo, exec_lo, s39
	s_cbranch_execnz .LBB63_26
; %bb.27:                               ;   in Loop: Header=BB63_18 Depth=3
	s_or_b32 exec_lo, exec_lo, s39
	s_delay_alu instid0(SALU_CYCLE_1)
	s_xor_b32 s39, exec_lo, -1
.LBB63_28:                              ;   in Loop: Header=BB63_18 Depth=3
	s_or_b32 exec_lo, exec_lo, s38
	s_delay_alu instid0(SALU_CYCLE_1) | instskip(SKIP_1) | instid1(SALU_CYCLE_1)
	s_and_not1_b32 s36, s36, exec_lo
	s_and_b32 s38, s39, exec_lo
	s_or_b32 s36, s36, s38
.LBB63_29:                              ;   in Loop: Header=BB63_18 Depth=3
	s_or_b32 exec_lo, exec_lo, s37
	s_delay_alu instid0(SALU_CYCLE_1)
	s_and_b32 s36, s36, exec_lo
                                        ; implicit-def: $vgpr21
.LBB63_30:                              ;   in Loop: Header=BB63_18 Depth=3
	s_and_not1_saveexec_b32 s35, s35
	s_cbranch_execz .LBB63_17
; %bb.31:                               ;   in Loop: Header=BB63_18 Depth=3
	v_mul_lo_u32 v22, v12, 12
	s_mov_b32 s37, 0
	s_delay_alu instid0(VALU_DEP_1)
	v_add_nc_u32_e32 v29, v21, v22
	ds_load_b64 v[21:22], v29 offset:1024
.LBB63_32:                              ;   Parent Loop BB63_13 Depth=1
                                        ;     Parent Loop BB63_16 Depth=2
                                        ;       Parent Loop BB63_18 Depth=3
                                        ; =>      This Inner Loop Header: Depth=4
	s_waitcnt lgkmcnt(0)
	v_add_f64 v[30:31], v[21:22], v[17:18]
	ds_cmpstore_rtn_b64 v[30:31], v29, v[30:31], v[21:22] offset:1024
	s_waitcnt lgkmcnt(0)
	v_cmp_eq_u64_e32 vcc_lo, v[30:31], v[21:22]
	v_dual_mov_b32 v21, v30 :: v_dual_mov_b32 v22, v31
	s_or_b32 s37, vcc_lo, s37
	s_delay_alu instid0(SALU_CYCLE_1)
	s_and_not1_b32 exec_lo, exec_lo, s37
	s_cbranch_execnz .LBB63_32
; %bb.33:                               ;   in Loop: Header=BB63_18 Depth=3
	s_or_b32 exec_lo, exec_lo, s37
	ds_load_b64 v[21:22], v29 offset:1032
	s_mov_b32 s37, 0
.LBB63_34:                              ;   Parent Loop BB63_13 Depth=1
                                        ;     Parent Loop BB63_16 Depth=2
                                        ;       Parent Loop BB63_18 Depth=3
                                        ; =>      This Inner Loop Header: Depth=4
	s_waitcnt lgkmcnt(0)
	v_add_f64 v[30:31], v[21:22], v[19:20]
	ds_cmpstore_rtn_b64 v[30:31], v29, v[30:31], v[21:22] offset:1032
	s_waitcnt lgkmcnt(0)
	v_cmp_eq_u64_e32 vcc_lo, v[30:31], v[21:22]
	v_dual_mov_b32 v21, v30 :: v_dual_mov_b32 v22, v31
	s_or_b32 s37, vcc_lo, s37
	s_delay_alu instid0(SALU_CYCLE_1)
	s_and_not1_b32 exec_lo, exec_lo, s37
	s_cbranch_execnz .LBB63_34
; %bb.35:                               ;   in Loop: Header=BB63_18 Depth=3
	s_or_b32 exec_lo, exec_lo, s37
	s_delay_alu instid0(SALU_CYCLE_1)
	s_and_not1_b32 s36, s36, exec_lo
	s_branch .LBB63_17
.LBB63_36:
	s_or_b32 exec_lo, exec_lo, s13
.LBB63_37:
	s_delay_alu instid0(SALU_CYCLE_1)
	s_and_not1_b32 vcc_lo, exec_lo, s33
	s_cbranch_vccnz .LBB63_62
; %bb.38:
	s_waitcnt lgkmcnt(0)
	s_ashr_i32 s13, s12, 31
	v_subrev_nc_u32_e32 v5, s27, v0
	s_lshl_b64 s[16:17], s[12:13], 2
	s_delay_alu instid0(SALU_CYCLE_1)
	s_add_u32 s4, s4, s16
	s_addc_u32 s5, s5, s17
	s_load_b64 s[4:5], s[4:5], 0x0
	s_waitcnt lgkmcnt(0)
	v_add_nc_u32_e32 v5, s4, v5
	s_sub_i32 s1, s5, s27
	s_mov_b32 s4, exec_lo
	s_delay_alu instid0(VALU_DEP_1)
	v_cmpx_gt_i32_e64 s1, v5
	s_cbranch_execz .LBB63_61
; %bb.39:
	s_mov_b32 s5, 0
	s_branch .LBB63_41
.LBB63_40:                              ;   in Loop: Header=BB63_41 Depth=1
	s_or_b32 exec_lo, exec_lo, s13
	v_add_nc_u32_e32 v5, 0x80, v5
	s_delay_alu instid0(VALU_DEP_1) | instskip(SKIP_1) | instid1(SALU_CYCLE_1)
	v_cmp_le_i32_e32 vcc_lo, s1, v5
	s_or_b32 s5, vcc_lo, s5
	s_and_not1_b32 exec_lo, exec_lo, s5
	s_cbranch_execz .LBB63_61
.LBB63_41:                              ; =>This Loop Header: Depth=1
                                        ;     Child Loop BB63_43 Depth 2
                                        ;       Child Loop BB63_49 Depth 3
                                        ;       Child Loop BB63_51 Depth 3
                                        ;       Child Loop BB63_57 Depth 3
                                        ;       Child Loop BB63_59 Depth 3
	v_ashrrev_i32_e32 v6, 31, v5
	s_mov_b32 s13, 0
	s_delay_alu instid0(VALU_DEP_1) | instskip(NEXT) | instid1(VALU_DEP_1)
	v_lshlrev_b64 v[7:8], 4, v[5:6]
	v_add_co_u32 v7, vcc_lo, s8, v7
	s_delay_alu instid0(VALU_DEP_2) | instskip(SKIP_2) | instid1(VALU_DEP_1)
	v_add_co_ci_u32_e32 v8, vcc_lo, s9, v8, vcc_lo
	global_load_b128 v[8:11], v[7:8], off
	v_lshlrev_b64 v[6:7], 2, v[5:6]
	v_add_co_u32 v6, vcc_lo, s6, v6
	s_delay_alu instid0(VALU_DEP_2)
	v_add_co_ci_u32_e32 v7, vcc_lo, s7, v7, vcc_lo
	global_load_b32 v12, v[6:7], off
	s_waitcnt vmcnt(1)
	v_mul_f64 v[6:7], v[10:11], -v[1:2]
	v_mul_f64 v[10:11], v[3:4], v[10:11]
	s_waitcnt vmcnt(0)
	v_subrev_nc_u32_e32 v12, s27, v12
	s_delay_alu instid0(VALU_DEP_3) | instskip(NEXT) | instid1(VALU_DEP_3)
	v_fma_f64 v[6:7], v[3:4], v[8:9], v[6:7]
	v_fma_f64 v[8:9], v[1:2], v[8:9], v[10:11]
	s_delay_alu instid0(VALU_DEP_3) | instskip(NEXT) | instid1(VALU_DEP_1)
	v_mul_lo_u32 v10, 0x89, v12
	v_and_b32_e32 v13, 0xff, v10
	s_branch .LBB63_43
.LBB63_42:                              ;   in Loop: Header=BB63_43 Depth=2
	s_or_b32 exec_lo, exec_lo, s15
	s_xor_b32 s15, s16, -1
	s_delay_alu instid0(SALU_CYCLE_1) | instskip(NEXT) | instid1(SALU_CYCLE_1)
	s_and_b32 s15, exec_lo, s15
	s_or_b32 s13, s15, s13
	s_delay_alu instid0(SALU_CYCLE_1)
	s_and_not1_b32 exec_lo, exec_lo, s13
	s_cbranch_execz .LBB63_40
.LBB63_43:                              ;   Parent Loop BB63_41 Depth=1
                                        ; =>  This Loop Header: Depth=2
                                        ;       Child Loop BB63_49 Depth 3
                                        ;       Child Loop BB63_51 Depth 3
	;; [unrolled: 1-line block ×4, first 2 shown]
	s_delay_alu instid0(VALU_DEP_1)
	v_lshl_add_u32 v10, v13, 2, 0
	s_mov_b32 s15, exec_lo
                                        ; implicit-def: $sgpr16
	ds_load_b32 v11, v10
	s_waitcnt lgkmcnt(0)
	v_cmpx_ne_u32_e64 v11, v12
	s_xor_b32 s15, exec_lo, s15
	s_cbranch_execz .LBB63_55
; %bb.44:                               ;   in Loop: Header=BB63_43 Depth=2
	s_mov_b32 s17, exec_lo
                                        ; implicit-def: $sgpr16
	v_cmpx_ne_u32_e64 s14, v11
	s_xor_b32 s17, exec_lo, s17
; %bb.45:                               ;   in Loop: Header=BB63_43 Depth=2
	v_add_nc_u32_e32 v10, 1, v13
	s_mov_b32 s16, -1
	s_delay_alu instid0(VALU_DEP_1)
	v_and_b32_e32 v13, 0xff, v10
                                        ; implicit-def: $vgpr10
; %bb.46:                               ;   in Loop: Header=BB63_43 Depth=2
	s_and_not1_saveexec_b32 s17, s17
	s_cbranch_execz .LBB63_54
; %bb.47:                               ;   in Loop: Header=BB63_43 Depth=2
	v_mov_b32_e32 v11, s14
	s_mov_b32 s19, -1
	s_mov_b32 s18, exec_lo
	ds_cmpstore_rtn_b32 v11, v10, v12, v11
	s_waitcnt lgkmcnt(0)
	v_cmpx_eq_u32_e64 s14, v11
	s_cbranch_execz .LBB63_53
; %bb.48:                               ;   in Loop: Header=BB63_43 Depth=2
	v_mul_lo_u32 v11, v13, 12
	s_mov_b32 s19, 0
	s_delay_alu instid0(VALU_DEP_1)
	v_add_nc_u32_e32 v14, v10, v11
	ds_load_b64 v[10:11], v14 offset:1024
.LBB63_49:                              ;   Parent Loop BB63_41 Depth=1
                                        ;     Parent Loop BB63_43 Depth=2
                                        ; =>    This Inner Loop Header: Depth=3
	s_waitcnt lgkmcnt(0)
	v_add_f64 v[15:16], v[10:11], v[6:7]
	ds_cmpstore_rtn_b64 v[15:16], v14, v[15:16], v[10:11] offset:1024
	s_waitcnt lgkmcnt(0)
	v_cmp_eq_u64_e32 vcc_lo, v[15:16], v[10:11]
	v_dual_mov_b32 v10, v15 :: v_dual_mov_b32 v11, v16
	s_or_b32 s19, vcc_lo, s19
	s_delay_alu instid0(SALU_CYCLE_1)
	s_and_not1_b32 exec_lo, exec_lo, s19
	s_cbranch_execnz .LBB63_49
; %bb.50:                               ;   in Loop: Header=BB63_43 Depth=2
	s_or_b32 exec_lo, exec_lo, s19
	ds_load_b64 v[10:11], v14 offset:1032
	s_mov_b32 s19, 0
.LBB63_51:                              ;   Parent Loop BB63_41 Depth=1
                                        ;     Parent Loop BB63_43 Depth=2
                                        ; =>    This Inner Loop Header: Depth=3
	s_waitcnt lgkmcnt(0)
	v_add_f64 v[15:16], v[10:11], v[8:9]
	ds_cmpstore_rtn_b64 v[15:16], v14, v[15:16], v[10:11] offset:1032
	s_waitcnt lgkmcnt(0)
	v_cmp_eq_u64_e32 vcc_lo, v[15:16], v[10:11]
	v_dual_mov_b32 v10, v15 :: v_dual_mov_b32 v11, v16
	s_or_b32 s19, vcc_lo, s19
	s_delay_alu instid0(SALU_CYCLE_1)
	s_and_not1_b32 exec_lo, exec_lo, s19
	s_cbranch_execnz .LBB63_51
; %bb.52:                               ;   in Loop: Header=BB63_43 Depth=2
	s_or_b32 exec_lo, exec_lo, s19
	s_delay_alu instid0(SALU_CYCLE_1)
	s_xor_b32 s19, exec_lo, -1
.LBB63_53:                              ;   in Loop: Header=BB63_43 Depth=2
	s_or_b32 exec_lo, exec_lo, s18
	s_delay_alu instid0(SALU_CYCLE_1) | instskip(SKIP_1) | instid1(SALU_CYCLE_1)
	s_and_not1_b32 s16, s16, exec_lo
	s_and_b32 s18, s19, exec_lo
	s_or_b32 s16, s16, s18
.LBB63_54:                              ;   in Loop: Header=BB63_43 Depth=2
	s_or_b32 exec_lo, exec_lo, s17
	s_delay_alu instid0(SALU_CYCLE_1)
	s_and_b32 s16, s16, exec_lo
                                        ; implicit-def: $vgpr10
.LBB63_55:                              ;   in Loop: Header=BB63_43 Depth=2
	s_and_not1_saveexec_b32 s15, s15
	s_cbranch_execz .LBB63_42
; %bb.56:                               ;   in Loop: Header=BB63_43 Depth=2
	v_mul_lo_u32 v11, v13, 12
	s_mov_b32 s17, 0
	s_delay_alu instid0(VALU_DEP_1)
	v_add_nc_u32_e32 v14, v10, v11
	ds_load_b64 v[10:11], v14 offset:1024
.LBB63_57:                              ;   Parent Loop BB63_41 Depth=1
                                        ;     Parent Loop BB63_43 Depth=2
                                        ; =>    This Inner Loop Header: Depth=3
	s_waitcnt lgkmcnt(0)
	v_add_f64 v[15:16], v[10:11], v[6:7]
	ds_cmpstore_rtn_b64 v[15:16], v14, v[15:16], v[10:11] offset:1024
	s_waitcnt lgkmcnt(0)
	v_cmp_eq_u64_e32 vcc_lo, v[15:16], v[10:11]
	v_dual_mov_b32 v10, v15 :: v_dual_mov_b32 v11, v16
	s_or_b32 s17, vcc_lo, s17
	s_delay_alu instid0(SALU_CYCLE_1)
	s_and_not1_b32 exec_lo, exec_lo, s17
	s_cbranch_execnz .LBB63_57
; %bb.58:                               ;   in Loop: Header=BB63_43 Depth=2
	s_or_b32 exec_lo, exec_lo, s17
	ds_load_b64 v[10:11], v14 offset:1032
	s_mov_b32 s17, 0
.LBB63_59:                              ;   Parent Loop BB63_41 Depth=1
                                        ;     Parent Loop BB63_43 Depth=2
                                        ; =>    This Inner Loop Header: Depth=3
	s_waitcnt lgkmcnt(0)
	v_add_f64 v[15:16], v[10:11], v[8:9]
	ds_cmpstore_rtn_b64 v[15:16], v14, v[15:16], v[10:11] offset:1032
	s_waitcnt lgkmcnt(0)
	v_cmp_eq_u64_e32 vcc_lo, v[15:16], v[10:11]
	v_dual_mov_b32 v10, v15 :: v_dual_mov_b32 v11, v16
	s_or_b32 s17, vcc_lo, s17
	s_delay_alu instid0(SALU_CYCLE_1)
	s_and_not1_b32 exec_lo, exec_lo, s17
	s_cbranch_execnz .LBB63_59
; %bb.60:                               ;   in Loop: Header=BB63_43 Depth=2
	s_or_b32 exec_lo, exec_lo, s17
	s_delay_alu instid0(SALU_CYCLE_1)
	s_and_not1_b32 s16, s16, exec_lo
	s_branch .LBB63_42
.LBB63_61:
	s_or_b32 exec_lo, exec_lo, s4
.LBB63_62:
	s_waitcnt lgkmcnt(0)
	s_barrier
	buffer_gl0_inv
	s_and_saveexec_b32 s4, s0
	s_cbranch_execz .LBB63_71
; %bb.63:
	v_mbcnt_lo_u32_b32 v1, -1, 0
	v_dual_mov_b32 v5, 0 :: v_dual_and_b32 v2, 4, v26
	v_cmp_lt_u32_e32 vcc_lo, 63, v0
	v_cmp_eq_u32_e64 s0, 0x7f, v0
	s_delay_alu instid0(VALU_DEP_4) | instskip(NEXT) | instid1(VALU_DEP_4)
	v_xor_b32_e32 v1, 63, v1
	v_add_nc_u32_e32 v4, 0, v2
	v_add3_u32 v3, v25, 0, 0x400
	s_mov_b32 s5, 0
	s_delay_alu instid0(VALU_DEP_3)
	v_lshrrev_b64 v[1:2], v1, -1
	v_mov_b32_e32 v2, 0
	s_branch .LBB63_65
.LBB63_64:                              ;   in Loop: Header=BB63_65 Depth=1
	s_or_b32 exec_lo, exec_lo, s1
	s_waitcnt lgkmcnt(0)
	s_barrier
	buffer_gl0_inv
	ds_load_b32 v6, v2 offset:5124
	v_add_co_u32 v23, s1, 0x80, v23
	s_delay_alu instid0(VALU_DEP_1) | instskip(SKIP_3) | instid1(SALU_CYCLE_1)
	s_xor_b32 s1, s1, -1
	v_add_nc_u32_e32 v3, 0x800, v3
	v_add_nc_u32_e32 v24, 0x200, v24
	s_and_b32 s1, exec_lo, s1
	s_or_b32 s5, s1, s5
	s_waitcnt lgkmcnt(0)
	v_add_nc_u32_e32 v5, v6, v5
	s_and_not1_b32 exec_lo, exec_lo, s5
	s_cbranch_execz .LBB63_71
.LBB63_65:                              ; =>This Inner Loop Header: Depth=1
	ds_load_b32 v6, v24
	ds_load_2addr_b64 v[7:10], v3 offset1:1
	s_waitcnt lgkmcnt(1)
	v_cmp_gt_i32_e64 s1, s14, v6
	s_waitcnt lgkmcnt(0)
	scratch_store_b128 off, v[7:10], off
	s_waitcnt_vscnt null, 0x0
	s_barrier
	buffer_gl0_inv
	s_bcnt1_i32_b32 s6, s1
	s_delay_alu instid0(SALU_CYCLE_1) | instskip(NEXT) | instid1(VALU_DEP_1)
	v_dual_mov_b32 v8, s6 :: v_dual_and_b32 v7, s1, v1
	v_bcnt_u32_b32 v7, v7, 0
	ds_store_b32 v4, v8 offset:5120
	s_waitcnt lgkmcnt(0)
	s_barrier
	buffer_gl0_inv
	s_and_saveexec_b32 s6, vcc_lo
	s_cbranch_execnz .LBB63_68
; %bb.66:                               ;   in Loop: Header=BB63_65 Depth=1
	s_or_b32 exec_lo, exec_lo, s6
	s_and_saveexec_b32 s6, s1
	s_cbranch_execnz .LBB63_69
.LBB63_67:                              ;   in Loop: Header=BB63_65 Depth=1
	s_or_b32 exec_lo, exec_lo, s6
	s_and_saveexec_b32 s1, s0
	s_cbranch_execz .LBB63_64
	s_branch .LBB63_70
.LBB63_68:                              ;   in Loop: Header=BB63_65 Depth=1
	ds_load_b32 v8, v2 offset:5120
	s_waitcnt lgkmcnt(0)
	v_add_nc_u32_e32 v7, v8, v7
	s_or_b32 exec_lo, exec_lo, s6
	s_and_saveexec_b32 s6, s1
	s_cbranch_execz .LBB63_67
.LBB63_69:                              ;   in Loop: Header=BB63_65 Depth=1
	scratch_load_b128 v[8:11], off, off
	v_add3_u32 v12, v5, -1, v7
	s_delay_alu instid0(VALU_DEP_1)
	v_lshl_add_u32 v13, v12, 2, 0
	v_lshl_add_u32 v12, v12, 4, 0
	ds_store_b32 v13, v6
	s_waitcnt vmcnt(0)
	ds_store_2addr_b64 v12, v[8:9], v[10:11] offset0:128 offset1:129
	s_or_b32 exec_lo, exec_lo, s6
	s_and_saveexec_b32 s1, s0
	s_cbranch_execz .LBB63_64
.LBB63_70:                              ;   in Loop: Header=BB63_65 Depth=1
	ds_store_b32 v2, v7 offset:5124
	s_branch .LBB63_64
.LBB63_71:
	s_or_b32 exec_lo, exec_lo, s4
	s_ashr_i32 s13, s12, 31
	s_mov_b32 s5, exec_lo
	s_lshl_b64 s[0:1], s[12:13], 2
	s_delay_alu instid0(SALU_CYCLE_1) | instskip(SKIP_4) | instid1(SALU_CYCLE_1)
	s_add_u32 s0, s10, s0
	s_addc_u32 s1, s11, s1
	s_load_b64 s[0:1], s[0:1], 0x0
	s_waitcnt lgkmcnt(0)
	s_sub_i32 s4, s1, s0
	v_cmpx_gt_i32_e64 s4, v0
	s_cbranch_execz .LBB63_81
; %bb.72:
	s_sub_i32 s5, s0, s26
	s_sub_i32 s0, s0, s1
	s_and_b32 s1, s4, 7
	s_cmp_lt_u32 s0, -7
	s_mov_b32 s9, 0
	s_cselect_b32 s6, -1, 0
	s_and_b32 s7, s4, -8
	s_cmp_lg_u32 s1, 0
	s_cselect_b32 s8, -1, 0
	s_branch .LBB63_74
.LBB63_73:                              ;   in Loop: Header=BB63_74 Depth=1
	s_waitcnt lgkmcnt(0)
	s_delay_alu instid0(VALU_DEP_1) | instskip(SKIP_1) | instid1(VALU_DEP_1)
	v_mad_u64_u32 v[3:4], null, v0, 12, v[1:2]
	v_add_nc_u32_e32 v0, 0x80, v0
	v_cmp_le_i32_e32 vcc_lo, s4, v0
	ds_load_2addr_b64 v[4:7], v3 offset0:128 offset1:129
	v_ashrrev_i32_e32 v3, 31, v2
	s_or_b32 s9, vcc_lo, s9
	s_delay_alu instid0(VALU_DEP_1) | instskip(NEXT) | instid1(VALU_DEP_1)
	v_lshlrev_b64 v[1:2], 4, v[2:3]
	v_add_co_u32 v1, s0, s2, v1
	s_delay_alu instid0(VALU_DEP_1)
	v_add_co_ci_u32_e64 v2, s0, s3, v2, s0
	s_waitcnt lgkmcnt(0)
	global_store_b128 v[1:2], v[4:7], off
	s_and_not1_b32 exec_lo, exec_lo, s9
	s_cbranch_execz .LBB63_81
.LBB63_74:                              ; =>This Loop Header: Depth=1
                                        ;     Child Loop BB63_76 Depth 2
                                        ;     Child Loop BB63_80 Depth 2
	v_lshl_add_u32 v1, v0, 2, 0
	v_mov_b32_e32 v2, s5
	s_and_not1_b32 vcc_lo, exec_lo, s6
	s_mov_b32 s0, 0
	ds_load_b32 v3, v1
	s_cbranch_vccnz .LBB63_78
; %bb.75:                               ;   in Loop: Header=BB63_74 Depth=1
	v_mov_b32_e32 v2, s5
	s_mov_b32 s10, 0
	s_set_inst_prefetch_distance 0x1
	.p2align	6
.LBB63_76:                              ;   Parent Loop BB63_74 Depth=1
                                        ; =>  This Inner Loop Header: Depth=2
	v_mov_b32_e32 v10, s10
	s_add_i32 s0, s0, 8
	s_add_i32 s10, s10, 32
	s_cmp_eq_u32 s7, s0
	ds_load_2addr_b32 v[4:5], v10 offset1:1
	ds_load_2addr_b32 v[6:7], v10 offset0:2 offset1:3
	ds_load_2addr_b32 v[8:9], v10 offset0:4 offset1:5
	;; [unrolled: 1-line block ×3, first 2 shown]
	s_waitcnt lgkmcnt(3)
	v_cmp_gt_i32_e32 vcc_lo, v3, v4
	v_cndmask_b32_e64 v4, 0, 1, vcc_lo
	s_waitcnt lgkmcnt(2)
	v_cmp_gt_i32_e32 vcc_lo, v3, v6
	v_cndmask_b32_e64 v6, 0, 1, vcc_lo
	v_cmp_gt_i32_e32 vcc_lo, v3, v5
	v_add_co_ci_u32_e32 v2, vcc_lo, v2, v4, vcc_lo
	s_waitcnt lgkmcnt(1)
	v_cmp_gt_i32_e32 vcc_lo, v3, v8
	v_cndmask_b32_e64 v4, 0, 1, vcc_lo
	v_cmp_gt_i32_e32 vcc_lo, v3, v7
	v_add_co_ci_u32_e32 v2, vcc_lo, v2, v6, vcc_lo
	;; [unrolled: 5-line block ×3, first 2 shown]
	v_cmp_gt_i32_e32 vcc_lo, v3, v11
	s_delay_alu instid0(VALU_DEP_2)
	v_add_co_ci_u32_e32 v2, vcc_lo, v2, v5, vcc_lo
	s_cbranch_scc0 .LBB63_76
; %bb.77:                               ;   in Loop: Header=BB63_74 Depth=1
	s_set_inst_prefetch_distance 0x2
	s_mov_b32 s0, s7
.LBB63_78:                              ;   in Loop: Header=BB63_74 Depth=1
	s_and_not1_b32 vcc_lo, exec_lo, s8
	s_cbranch_vccnz .LBB63_73
; %bb.79:                               ;   in Loop: Header=BB63_74 Depth=1
	s_lshl_b32 s0, s0, 2
	s_mov_b32 s10, s1
	s_add_i32 s0, s0, 0
.LBB63_80:                              ;   Parent Loop BB63_74 Depth=1
                                        ; =>  This Inner Loop Header: Depth=2
	s_delay_alu instid0(SALU_CYCLE_1)
	v_mov_b32_e32 v4, s0
	s_add_i32 s10, s10, -1
	s_add_i32 s0, s0, 4
	s_cmp_lg_u32 s10, 0
	ds_load_b32 v4, v4
	s_waitcnt lgkmcnt(0)
	v_cmp_gt_i32_e32 vcc_lo, v3, v4
	v_add_co_ci_u32_e32 v2, vcc_lo, 0, v2, vcc_lo
	s_cbranch_scc1 .LBB63_80
	s_branch .LBB63_73
.LBB63_81:
	s_nop 0
	s_sendmsg sendmsg(MSG_DEALLOC_VGPRS)
	s_endpgm
	.section	.rodata,"a",@progbits
	.p2align	6, 0x0
	.amdhsa_kernel _ZN9rocsparseL41csrgemm_numeric_fill_block_per_row_kernelILj128ELj16ELj256ELj137ELj64Eii21rocsparse_complex_numIdEEEvT5_PKS3_S5_NS_24const_host_device_scalarIT6_EEPKT4_S5_PKS7_SB_S5_SD_S8_SB_S5_SD_SB_S5_PS7_21rocsparse_index_base_SF_SF_SF_bbb
		.amdhsa_group_segment_fixed_size 0
		.amdhsa_private_segment_fixed_size 40
		.amdhsa_kernarg_size 172
		.amdhsa_user_sgpr_count 15
		.amdhsa_user_sgpr_dispatch_ptr 0
		.amdhsa_user_sgpr_queue_ptr 0
		.amdhsa_user_sgpr_kernarg_segment_ptr 1
		.amdhsa_user_sgpr_dispatch_id 0
		.amdhsa_user_sgpr_private_segment_size 0
		.amdhsa_wavefront_size32 1
		.amdhsa_uses_dynamic_stack 0
		.amdhsa_enable_private_segment 1
		.amdhsa_system_sgpr_workgroup_id_x 1
		.amdhsa_system_sgpr_workgroup_id_y 0
		.amdhsa_system_sgpr_workgroup_id_z 0
		.amdhsa_system_sgpr_workgroup_info 0
		.amdhsa_system_vgpr_workitem_id 0
		.amdhsa_next_free_vgpr 32
		.amdhsa_next_free_sgpr 42
		.amdhsa_reserve_vcc 1
		.amdhsa_float_round_mode_32 0
		.amdhsa_float_round_mode_16_64 0
		.amdhsa_float_denorm_mode_32 3
		.amdhsa_float_denorm_mode_16_64 3
		.amdhsa_dx10_clamp 1
		.amdhsa_ieee_mode 1
		.amdhsa_fp16_overflow 0
		.amdhsa_workgroup_processor_mode 1
		.amdhsa_memory_ordered 1
		.amdhsa_forward_progress 0
		.amdhsa_shared_vgpr_count 0
		.amdhsa_exception_fp_ieee_invalid_op 0
		.amdhsa_exception_fp_denorm_src 0
		.amdhsa_exception_fp_ieee_div_zero 0
		.amdhsa_exception_fp_ieee_overflow 0
		.amdhsa_exception_fp_ieee_underflow 0
		.amdhsa_exception_fp_ieee_inexact 0
		.amdhsa_exception_int_div_zero 0
	.end_amdhsa_kernel
	.section	.text._ZN9rocsparseL41csrgemm_numeric_fill_block_per_row_kernelILj128ELj16ELj256ELj137ELj64Eii21rocsparse_complex_numIdEEEvT5_PKS3_S5_NS_24const_host_device_scalarIT6_EEPKT4_S5_PKS7_SB_S5_SD_S8_SB_S5_SD_SB_S5_PS7_21rocsparse_index_base_SF_SF_SF_bbb,"axG",@progbits,_ZN9rocsparseL41csrgemm_numeric_fill_block_per_row_kernelILj128ELj16ELj256ELj137ELj64Eii21rocsparse_complex_numIdEEEvT5_PKS3_S5_NS_24const_host_device_scalarIT6_EEPKT4_S5_PKS7_SB_S5_SD_S8_SB_S5_SD_SB_S5_PS7_21rocsparse_index_base_SF_SF_SF_bbb,comdat
.Lfunc_end63:
	.size	_ZN9rocsparseL41csrgemm_numeric_fill_block_per_row_kernelILj128ELj16ELj256ELj137ELj64Eii21rocsparse_complex_numIdEEEvT5_PKS3_S5_NS_24const_host_device_scalarIT6_EEPKT4_S5_PKS7_SB_S5_SD_S8_SB_S5_SD_SB_S5_PS7_21rocsparse_index_base_SF_SF_SF_bbb, .Lfunc_end63-_ZN9rocsparseL41csrgemm_numeric_fill_block_per_row_kernelILj128ELj16ELj256ELj137ELj64Eii21rocsparse_complex_numIdEEEvT5_PKS3_S5_NS_24const_host_device_scalarIT6_EEPKT4_S5_PKS7_SB_S5_SD_S8_SB_S5_SD_SB_S5_PS7_21rocsparse_index_base_SF_SF_SF_bbb
                                        ; -- End function
	.section	.AMDGPU.csdata,"",@progbits
; Kernel info:
; codeLenInByte = 3356
; NumSgprs: 44
; NumVgprs: 32
; ScratchSize: 40
; MemoryBound: 0
; FloatMode: 240
; IeeeMode: 1
; LDSByteSize: 0 bytes/workgroup (compile time only)
; SGPRBlocks: 5
; VGPRBlocks: 3
; NumSGPRsForWavesPerEU: 44
; NumVGPRsForWavesPerEU: 32
; Occupancy: 16
; WaveLimiterHint : 1
; COMPUTE_PGM_RSRC2:SCRATCH_EN: 1
; COMPUTE_PGM_RSRC2:USER_SGPR: 15
; COMPUTE_PGM_RSRC2:TRAP_HANDLER: 0
; COMPUTE_PGM_RSRC2:TGID_X_EN: 1
; COMPUTE_PGM_RSRC2:TGID_Y_EN: 0
; COMPUTE_PGM_RSRC2:TGID_Z_EN: 0
; COMPUTE_PGM_RSRC2:TIDIG_COMP_CNT: 0
	.section	.text._ZN9rocsparseL41csrgemm_numeric_fill_block_per_row_kernelILj256ELj32ELj512ELj137ELj32Eii21rocsparse_complex_numIdEEEvT5_PKS3_S5_NS_24const_host_device_scalarIT6_EEPKT4_S5_PKS7_SB_S5_SD_S8_SB_S5_SD_SB_S5_PS7_21rocsparse_index_base_SF_SF_SF_bbb,"axG",@progbits,_ZN9rocsparseL41csrgemm_numeric_fill_block_per_row_kernelILj256ELj32ELj512ELj137ELj32Eii21rocsparse_complex_numIdEEEvT5_PKS3_S5_NS_24const_host_device_scalarIT6_EEPKT4_S5_PKS7_SB_S5_SD_S8_SB_S5_SD_SB_S5_PS7_21rocsparse_index_base_SF_SF_SF_bbb,comdat
	.globl	_ZN9rocsparseL41csrgemm_numeric_fill_block_per_row_kernelILj256ELj32ELj512ELj137ELj32Eii21rocsparse_complex_numIdEEEvT5_PKS3_S5_NS_24const_host_device_scalarIT6_EEPKT4_S5_PKS7_SB_S5_SD_S8_SB_S5_SD_SB_S5_PS7_21rocsparse_index_base_SF_SF_SF_bbb ; -- Begin function _ZN9rocsparseL41csrgemm_numeric_fill_block_per_row_kernelILj256ELj32ELj512ELj137ELj32Eii21rocsparse_complex_numIdEEEvT5_PKS3_S5_NS_24const_host_device_scalarIT6_EEPKT4_S5_PKS7_SB_S5_SD_S8_SB_S5_SD_SB_S5_PS7_21rocsparse_index_base_SF_SF_SF_bbb
	.p2align	8
	.type	_ZN9rocsparseL41csrgemm_numeric_fill_block_per_row_kernelILj256ELj32ELj512ELj137ELj32Eii21rocsparse_complex_numIdEEEvT5_PKS3_S5_NS_24const_host_device_scalarIT6_EEPKT4_S5_PKS7_SB_S5_SD_S8_SB_S5_SD_SB_S5_PS7_21rocsparse_index_base_SF_SF_SF_bbb,@function
_ZN9rocsparseL41csrgemm_numeric_fill_block_per_row_kernelILj256ELj32ELj512ELj137ELj32Eii21rocsparse_complex_numIdEEEvT5_PKS3_S5_NS_24const_host_device_scalarIT6_EEPKT4_S5_PKS7_SB_S5_SD_S8_SB_S5_SD_SB_S5_PS7_21rocsparse_index_base_SF_SF_SF_bbb: ; @_ZN9rocsparseL41csrgemm_numeric_fill_block_per_row_kernelILj256ELj32ELj512ELj137ELj32Eii21rocsparse_complex_numIdEEEvT5_PKS3_S5_NS_24const_host_device_scalarIT6_EEPKT4_S5_PKS7_SB_S5_SD_S8_SB_S5_SD_SB_S5_PS7_21rocsparse_index_base_SF_SF_SF_bbb
; %bb.0:
	s_clause 0x2
	s_load_b32 s12, s[0:1], 0xa8
	s_load_b128 s[8:11], s[0:1], 0x18
	s_load_b128 s[4:7], s[0:1], 0x58
	v_mov_b32_e32 v1, 0
	v_mov_b32_e32 v2, 0
	s_waitcnt lgkmcnt(0)
	s_bitcmp1_b32 s12, 0
	v_mov_b32_e32 v3, s8
	s_cselect_b32 s35, -1, 0
	s_bitcmp1_b32 s12, 16
	v_dual_mov_b32 v6, v2 :: v_dual_mov_b32 v5, v1
	s_cselect_b32 s2, -1, 0
	v_mov_b32_e32 v4, s9
	s_xor_b32 s3, s2, -1
	v_dual_mov_b32 v10, s5 :: v_dual_mov_b32 v9, s4
	v_cndmask_b32_e64 v7, 0, 1, s3
	s_bitcmp0_b32 s12, 0
	s_clause 0x1
	scratch_store_b64 off, v[3:4], off offset:16
	scratch_store_b64 off, v[9:10], off offset:24
	v_cmp_ne_u32_e32 vcc_lo, 1, v7
	v_dual_mov_b32 v8, v2 :: v_dual_mov_b32 v7, v1
	s_cbranch_scc1 .LBB64_3
; %bb.1:
	s_mov_b64 s[16:17], src_private_base
	s_and_b32 s13, s2, exec_lo
	s_cselect_b32 s13, s17, s9
	s_delay_alu instid0(SALU_CYCLE_1) | instskip(SKIP_2) | instid1(VALU_DEP_2)
	v_dual_mov_b32 v3, 16 :: v_dual_mov_b32 v4, s13
	v_dual_mov_b32 v7, s10 :: v_dual_mov_b32 v8, s11
	s_and_b32 vcc_lo, exec_lo, vcc_lo
	v_cndmask_b32_e64 v3, s8, v3, s2
	flat_load_b64 v[5:6], v[3:4]
	s_cbranch_vccnz .LBB64_3
; %bb.2:
	v_dual_mov_b32 v3, s8 :: v_dual_mov_b32 v4, s9
	flat_load_b64 v[7:8], v[3:4] offset:8
.LBB64_3:
	s_load_b128 s[24:27], s[0:1], 0x98
	s_bitcmp1_b32 s12, 8
	v_dual_mov_b32 v4, v2 :: v_dual_mov_b32 v3, v1
	s_cselect_b32 s34, -1, 0
	s_bfe_u32 s8, s12, 0x10008
	s_delay_alu instid0(SALU_CYCLE_1)
	s_cmp_eq_u32 s8, 0
	s_cbranch_scc1 .LBB64_6
; %bb.4:
	s_mov_b64 s[8:9], src_private_base
	s_and_b32 s8, s2, exec_lo
	s_cselect_b32 s8, s9, s5
	s_delay_alu instid0(SALU_CYCLE_1) | instskip(SKIP_1) | instid1(VALU_DEP_1)
	v_dual_mov_b32 v1, 24 :: v_dual_mov_b32 v2, s8
	s_and_not1_b32 vcc_lo, exec_lo, s3
	v_cndmask_b32_e64 v1, s4, v1, s2
	flat_load_b64 v[3:4], v[1:2]
	v_dual_mov_b32 v1, s6 :: v_dual_mov_b32 v2, s7
	s_cbranch_vccnz .LBB64_6
; %bb.5:
	v_dual_mov_b32 v1, s4 :: v_dual_mov_b32 v2, s5
	flat_load_b64 v[1:2], v[1:2] offset:8
.LBB64_6:
	s_clause 0x5
	s_load_b64 s[12:13], s[0:1], 0x90
	s_load_b256 s[4:11], s[0:1], 0x68
	s_load_b128 s[28:31], s[0:1], 0x48
	s_load_b256 s[16:23], s[0:1], 0x28
	s_load_b128 s[36:39], s[0:1], 0x8
	s_load_b32 s33, s[0:1], 0x0
	v_cmp_gt_u32_e64 s0, 0x200, v0
	v_lshlrev_b32_e32 v25, 4, v0
	v_or_b32_e32 v23, 0xffffff00, v0
	v_lshl_add_u32 v24, v0, 2, 0
	s_delay_alu instid0(VALU_DEP_4)
	s_and_saveexec_b32 s1, s0
	s_cbranch_execz .LBB64_9
; %bb.7:
	s_mov_b32 s2, 0
	v_add3_u32 v13, v25, 0, 0x800
	s_mov_b32 s3, s2
	s_mov_b32 s40, s2
	;; [unrolled: 1-line block ×3, first 2 shown]
	v_dual_mov_b32 v10, s3 :: v_dual_mov_b32 v11, s40
	v_or_b32_e32 v14, 0xffffff00, v0
	v_lshl_add_u32 v15, v0, 2, 0
	s_waitcnt lgkmcnt(0)
	v_dual_mov_b32 v16, s33 :: v_dual_mov_b32 v9, s2
	v_mov_b32_e32 v12, s41
.LBB64_8:                               ; =>This Inner Loop Header: Depth=1
	v_add_co_u32 v14, s3, 0x100, v14
	s_delay_alu instid0(VALU_DEP_1)
	s_xor_b32 s3, s3, -1
	ds_store_b32 v15, v16
	ds_store_2addr_b64 v13, v[9:10], v[11:12] offset1:1
	v_add_nc_u32_e32 v13, 0x1000, v13
	v_add_nc_u32_e32 v15, 0x400, v15
	s_and_b32 s3, exec_lo, s3
	s_delay_alu instid0(SALU_CYCLE_1) | instskip(NEXT) | instid1(SALU_CYCLE_1)
	s_or_b32 s2, s3, s2
	s_and_not1_b32 exec_lo, exec_lo, s2
	s_cbranch_execnz .LBB64_8
.LBB64_9:
	s_or_b32 exec_lo, exec_lo, s1
	s_waitcnt vmcnt(0) lgkmcnt(0)
	s_waitcnt_vscnt null, 0x0
	s_barrier
	buffer_gl0_inv
	s_load_b32 s1, s[36:37], 0x0
	s_mov_b32 s3, 0
	v_lshrrev_b32_e32 v26, 5, v0
	s_waitcnt lgkmcnt(0)
	s_add_i32 s2, s1, s15
	s_delay_alu instid0(SALU_CYCLE_1) | instskip(NEXT) | instid1(SALU_CYCLE_1)
	s_lshl_b64 s[2:3], s[2:3], 2
	s_add_u32 s2, s38, s2
	s_addc_u32 s3, s39, s3
	s_and_b32 vcc_lo, exec_lo, s35
	s_load_b32 s14, s[2:3], 0x0
	s_cbranch_vccz .LBB64_37
; %bb.10:
	s_waitcnt lgkmcnt(0)
	s_ashr_i32 s15, s14, 31
	v_subrev_nc_u32_e32 v9, s24, v26
	s_lshl_b64 s[2:3], s[14:15], 2
	s_delay_alu instid0(SALU_CYCLE_1)
	s_add_u32 s2, s16, s2
	s_addc_u32 s3, s17, s3
	s_load_b64 s[2:3], s[2:3], 0x0
	s_waitcnt lgkmcnt(0)
	v_add_nc_u32_e32 v9, s2, v9
	s_sub_i32 s1, s3, s24
	s_mov_b32 s2, exec_lo
	s_delay_alu instid0(VALU_DEP_1)
	v_cmpx_gt_i32_e64 s1, v9
	s_cbranch_execz .LBB64_36
; %bb.11:
	v_and_b32_e32 v10, 31, v0
	s_mov_b32 s3, 0
	s_delay_alu instid0(VALU_DEP_1)
	v_subrev_nc_u32_e32 v27, s25, v10
	s_branch .LBB64_13
.LBB64_12:                              ;   in Loop: Header=BB64_13 Depth=1
	s_or_b32 exec_lo, exec_lo, s15
	v_add_nc_u32_e32 v9, 8, v9
	s_delay_alu instid0(VALU_DEP_1) | instskip(SKIP_1) | instid1(SALU_CYCLE_1)
	v_cmp_le_i32_e32 vcc_lo, s1, v9
	s_or_b32 s3, vcc_lo, s3
	s_and_not1_b32 exec_lo, exec_lo, s3
	s_cbranch_execz .LBB64_36
.LBB64_13:                              ; =>This Loop Header: Depth=1
                                        ;     Child Loop BB64_16 Depth 2
                                        ;       Child Loop BB64_18 Depth 3
                                        ;         Child Loop BB64_24 Depth 4
                                        ;         Child Loop BB64_26 Depth 4
	;; [unrolled: 1-line block ×4, first 2 shown]
	v_ashrrev_i32_e32 v10, 31, v9
	s_mov_b32 s15, exec_lo
	s_delay_alu instid0(VALU_DEP_1) | instskip(NEXT) | instid1(VALU_DEP_1)
	v_lshlrev_b64 v[11:12], 2, v[9:10]
	v_add_co_u32 v11, vcc_lo, s18, v11
	s_delay_alu instid0(VALU_DEP_2) | instskip(SKIP_3) | instid1(VALU_DEP_1)
	v_add_co_ci_u32_e32 v12, vcc_lo, s19, v12, vcc_lo
	global_load_b32 v11, v[11:12], off
	s_waitcnt vmcnt(0)
	v_subrev_nc_u32_e32 v11, s24, v11
	v_ashrrev_i32_e32 v12, 31, v11
	s_delay_alu instid0(VALU_DEP_1) | instskip(NEXT) | instid1(VALU_DEP_1)
	v_lshlrev_b64 v[11:12], 2, v[11:12]
	v_add_co_u32 v11, vcc_lo, s22, v11
	s_delay_alu instid0(VALU_DEP_2) | instskip(SKIP_4) | instid1(VALU_DEP_1)
	v_add_co_ci_u32_e32 v12, vcc_lo, s23, v12, vcc_lo
	global_load_b64 v[11:12], v[11:12], off
	s_waitcnt vmcnt(0)
	v_subrev_nc_u32_e32 v28, s25, v12
	v_add_nc_u32_e32 v11, v11, v27
	v_cmpx_lt_i32_e64 v11, v28
	s_cbranch_execz .LBB64_12
; %bb.14:                               ;   in Loop: Header=BB64_13 Depth=1
	v_lshlrev_b64 v[12:13], 4, v[9:10]
	s_mov_b32 s16, 0
	s_delay_alu instid0(VALU_DEP_1) | instskip(NEXT) | instid1(VALU_DEP_2)
	v_add_co_u32 v12, vcc_lo, s20, v12
	v_add_co_ci_u32_e32 v13, vcc_lo, s21, v13, vcc_lo
	global_load_b128 v[15:18], v[12:13], off
	s_waitcnt vmcnt(0)
	v_mul_f64 v[12:13], v[17:18], -v[7:8]
	v_mul_f64 v[17:18], v[5:6], v[17:18]
	s_delay_alu instid0(VALU_DEP_2) | instskip(NEXT) | instid1(VALU_DEP_2)
	v_fma_f64 v[13:14], v[5:6], v[15:16], v[12:13]
	v_fma_f64 v[15:16], v[7:8], v[15:16], v[17:18]
	s_branch .LBB64_16
.LBB64_15:                              ;   in Loop: Header=BB64_16 Depth=2
	s_or_b32 exec_lo, exec_lo, s17
	v_add_nc_u32_e32 v11, 32, v11
	s_delay_alu instid0(VALU_DEP_1) | instskip(SKIP_1) | instid1(SALU_CYCLE_1)
	v_cmp_ge_i32_e32 vcc_lo, v11, v28
	s_or_b32 s16, vcc_lo, s16
	s_and_not1_b32 exec_lo, exec_lo, s16
	s_cbranch_execz .LBB64_12
.LBB64_16:                              ;   Parent Loop BB64_13 Depth=1
                                        ; =>  This Loop Header: Depth=2
                                        ;       Child Loop BB64_18 Depth 3
                                        ;         Child Loop BB64_24 Depth 4
                                        ;         Child Loop BB64_26 Depth 4
	;; [unrolled: 1-line block ×4, first 2 shown]
	v_ashrrev_i32_e32 v12, 31, v11
	s_mov_b32 s17, 0
	s_delay_alu instid0(VALU_DEP_1) | instskip(NEXT) | instid1(VALU_DEP_1)
	v_lshlrev_b64 v[17:18], 4, v[11:12]
	v_add_co_u32 v17, vcc_lo, s30, v17
	s_delay_alu instid0(VALU_DEP_2) | instskip(SKIP_2) | instid1(VALU_DEP_1)
	v_add_co_ci_u32_e32 v18, vcc_lo, s31, v18, vcc_lo
	global_load_b128 v[19:22], v[17:18], off
	v_lshlrev_b64 v[17:18], 2, v[11:12]
	v_add_co_u32 v17, vcc_lo, s28, v17
	s_delay_alu instid0(VALU_DEP_2)
	v_add_co_ci_u32_e32 v18, vcc_lo, s29, v18, vcc_lo
	global_load_b32 v10, v[17:18], off
	s_waitcnt vmcnt(1)
	v_mul_f64 v[17:18], v[21:22], -v[15:16]
	v_mul_f64 v[21:22], v[13:14], v[21:22]
	s_waitcnt vmcnt(0)
	v_subrev_nc_u32_e32 v10, s25, v10
	s_delay_alu instid0(VALU_DEP_1) | instskip(NEXT) | instid1(VALU_DEP_1)
	v_mul_lo_u32 v12, 0x89, v10
	v_and_b32_e32 v12, 0x1ff, v12
	v_fma_f64 v[17:18], v[13:14], v[19:20], v[17:18]
	v_fma_f64 v[19:20], v[15:16], v[19:20], v[21:22]
	s_branch .LBB64_18
.LBB64_17:                              ;   in Loop: Header=BB64_18 Depth=3
	s_or_b32 exec_lo, exec_lo, s35
	s_xor_b32 s35, s36, -1
	s_delay_alu instid0(SALU_CYCLE_1) | instskip(NEXT) | instid1(SALU_CYCLE_1)
	s_and_b32 s35, exec_lo, s35
	s_or_b32 s17, s35, s17
	s_delay_alu instid0(SALU_CYCLE_1)
	s_and_not1_b32 exec_lo, exec_lo, s17
	s_cbranch_execz .LBB64_15
.LBB64_18:                              ;   Parent Loop BB64_13 Depth=1
                                        ;     Parent Loop BB64_16 Depth=2
                                        ; =>    This Loop Header: Depth=3
                                        ;         Child Loop BB64_24 Depth 4
                                        ;         Child Loop BB64_26 Depth 4
	;; [unrolled: 1-line block ×4, first 2 shown]
	s_delay_alu instid0(VALU_DEP_3)
	v_lshl_add_u32 v21, v12, 2, 0
	s_mov_b32 s35, exec_lo
                                        ; implicit-def: $sgpr36
	ds_load_b32 v22, v21
	s_waitcnt lgkmcnt(0)
	v_cmpx_ne_u32_e64 v22, v10
	s_xor_b32 s35, exec_lo, s35
	s_cbranch_execz .LBB64_30
; %bb.19:                               ;   in Loop: Header=BB64_18 Depth=3
	s_mov_b32 s37, exec_lo
                                        ; implicit-def: $sgpr36
	v_cmpx_ne_u32_e64 s33, v22
	s_xor_b32 s37, exec_lo, s37
; %bb.20:                               ;   in Loop: Header=BB64_18 Depth=3
	v_add_nc_u32_e32 v12, 1, v12
	s_mov_b32 s36, -1
                                        ; implicit-def: $vgpr21
	s_delay_alu instid0(VALU_DEP_1)
	v_and_b32_e32 v12, 0x1ff, v12
; %bb.21:                               ;   in Loop: Header=BB64_18 Depth=3
	s_and_not1_saveexec_b32 s37, s37
	s_cbranch_execz .LBB64_29
; %bb.22:                               ;   in Loop: Header=BB64_18 Depth=3
	v_mov_b32_e32 v22, s33
	s_mov_b32 s39, -1
	s_mov_b32 s38, exec_lo
	ds_cmpstore_rtn_b32 v22, v21, v10, v22
	s_waitcnt lgkmcnt(0)
	v_cmpx_eq_u32_e64 s33, v22
	s_cbranch_execz .LBB64_28
; %bb.23:                               ;   in Loop: Header=BB64_18 Depth=3
	v_mul_lo_u32 v22, v12, 12
	s_mov_b32 s39, 0
	s_delay_alu instid0(VALU_DEP_1)
	v_add_nc_u32_e32 v29, v21, v22
	ds_load_b64 v[21:22], v29 offset:2048
.LBB64_24:                              ;   Parent Loop BB64_13 Depth=1
                                        ;     Parent Loop BB64_16 Depth=2
                                        ;       Parent Loop BB64_18 Depth=3
                                        ; =>      This Inner Loop Header: Depth=4
	s_waitcnt lgkmcnt(0)
	v_add_f64 v[30:31], v[21:22], v[17:18]
	ds_cmpstore_rtn_b64 v[30:31], v29, v[30:31], v[21:22] offset:2048
	s_waitcnt lgkmcnt(0)
	v_cmp_eq_u64_e32 vcc_lo, v[30:31], v[21:22]
	v_dual_mov_b32 v21, v30 :: v_dual_mov_b32 v22, v31
	s_or_b32 s39, vcc_lo, s39
	s_delay_alu instid0(SALU_CYCLE_1)
	s_and_not1_b32 exec_lo, exec_lo, s39
	s_cbranch_execnz .LBB64_24
; %bb.25:                               ;   in Loop: Header=BB64_18 Depth=3
	s_or_b32 exec_lo, exec_lo, s39
	ds_load_b64 v[21:22], v29 offset:2056
	s_mov_b32 s39, 0
.LBB64_26:                              ;   Parent Loop BB64_13 Depth=1
                                        ;     Parent Loop BB64_16 Depth=2
                                        ;       Parent Loop BB64_18 Depth=3
                                        ; =>      This Inner Loop Header: Depth=4
	s_waitcnt lgkmcnt(0)
	v_add_f64 v[30:31], v[21:22], v[19:20]
	ds_cmpstore_rtn_b64 v[30:31], v29, v[30:31], v[21:22] offset:2056
	s_waitcnt lgkmcnt(0)
	v_cmp_eq_u64_e32 vcc_lo, v[30:31], v[21:22]
	v_dual_mov_b32 v21, v30 :: v_dual_mov_b32 v22, v31
	s_or_b32 s39, vcc_lo, s39
	s_delay_alu instid0(SALU_CYCLE_1)
	s_and_not1_b32 exec_lo, exec_lo, s39
	s_cbranch_execnz .LBB64_26
; %bb.27:                               ;   in Loop: Header=BB64_18 Depth=3
	s_or_b32 exec_lo, exec_lo, s39
	s_delay_alu instid0(SALU_CYCLE_1)
	s_xor_b32 s39, exec_lo, -1
.LBB64_28:                              ;   in Loop: Header=BB64_18 Depth=3
	s_or_b32 exec_lo, exec_lo, s38
	s_delay_alu instid0(SALU_CYCLE_1) | instskip(SKIP_1) | instid1(SALU_CYCLE_1)
	s_and_not1_b32 s36, s36, exec_lo
	s_and_b32 s38, s39, exec_lo
	s_or_b32 s36, s36, s38
.LBB64_29:                              ;   in Loop: Header=BB64_18 Depth=3
	s_or_b32 exec_lo, exec_lo, s37
	s_delay_alu instid0(SALU_CYCLE_1)
	s_and_b32 s36, s36, exec_lo
                                        ; implicit-def: $vgpr21
.LBB64_30:                              ;   in Loop: Header=BB64_18 Depth=3
	s_and_not1_saveexec_b32 s35, s35
	s_cbranch_execz .LBB64_17
; %bb.31:                               ;   in Loop: Header=BB64_18 Depth=3
	v_mul_lo_u32 v22, v12, 12
	s_mov_b32 s37, 0
	s_delay_alu instid0(VALU_DEP_1)
	v_add_nc_u32_e32 v29, v21, v22
	ds_load_b64 v[21:22], v29 offset:2048
.LBB64_32:                              ;   Parent Loop BB64_13 Depth=1
                                        ;     Parent Loop BB64_16 Depth=2
                                        ;       Parent Loop BB64_18 Depth=3
                                        ; =>      This Inner Loop Header: Depth=4
	s_waitcnt lgkmcnt(0)
	v_add_f64 v[30:31], v[21:22], v[17:18]
	ds_cmpstore_rtn_b64 v[30:31], v29, v[30:31], v[21:22] offset:2048
	s_waitcnt lgkmcnt(0)
	v_cmp_eq_u64_e32 vcc_lo, v[30:31], v[21:22]
	v_dual_mov_b32 v21, v30 :: v_dual_mov_b32 v22, v31
	s_or_b32 s37, vcc_lo, s37
	s_delay_alu instid0(SALU_CYCLE_1)
	s_and_not1_b32 exec_lo, exec_lo, s37
	s_cbranch_execnz .LBB64_32
; %bb.33:                               ;   in Loop: Header=BB64_18 Depth=3
	s_or_b32 exec_lo, exec_lo, s37
	ds_load_b64 v[21:22], v29 offset:2056
	s_mov_b32 s37, 0
.LBB64_34:                              ;   Parent Loop BB64_13 Depth=1
                                        ;     Parent Loop BB64_16 Depth=2
                                        ;       Parent Loop BB64_18 Depth=3
                                        ; =>      This Inner Loop Header: Depth=4
	s_waitcnt lgkmcnt(0)
	v_add_f64 v[30:31], v[21:22], v[19:20]
	ds_cmpstore_rtn_b64 v[30:31], v29, v[30:31], v[21:22] offset:2056
	s_waitcnt lgkmcnt(0)
	v_cmp_eq_u64_e32 vcc_lo, v[30:31], v[21:22]
	v_dual_mov_b32 v21, v30 :: v_dual_mov_b32 v22, v31
	s_or_b32 s37, vcc_lo, s37
	s_delay_alu instid0(SALU_CYCLE_1)
	s_and_not1_b32 exec_lo, exec_lo, s37
	s_cbranch_execnz .LBB64_34
; %bb.35:                               ;   in Loop: Header=BB64_18 Depth=3
	s_or_b32 exec_lo, exec_lo, s37
	s_delay_alu instid0(SALU_CYCLE_1)
	s_and_not1_b32 s36, s36, exec_lo
	s_branch .LBB64_17
.LBB64_36:
	s_or_b32 exec_lo, exec_lo, s2
.LBB64_37:
	s_delay_alu instid0(SALU_CYCLE_1)
	s_and_not1_b32 vcc_lo, exec_lo, s34
	s_cbranch_vccnz .LBB64_62
; %bb.38:
	s_waitcnt lgkmcnt(0)
	s_ashr_i32 s15, s14, 31
	v_subrev_nc_u32_e32 v5, s27, v0
	s_lshl_b64 s[2:3], s[14:15], 2
	s_delay_alu instid0(SALU_CYCLE_1)
	s_add_u32 s2, s4, s2
	s_addc_u32 s3, s5, s3
	s_load_b64 s[2:3], s[2:3], 0x0
	s_waitcnt lgkmcnt(0)
	v_add_nc_u32_e32 v5, s2, v5
	s_sub_i32 s1, s3, s27
	s_mov_b32 s2, exec_lo
	s_delay_alu instid0(VALU_DEP_1)
	v_cmpx_gt_i32_e64 s1, v5
	s_cbranch_execz .LBB64_61
; %bb.39:
	s_mov_b32 s3, 0
	s_branch .LBB64_41
.LBB64_40:                              ;   in Loop: Header=BB64_41 Depth=1
	s_or_b32 exec_lo, exec_lo, s4
	v_add_nc_u32_e32 v5, 0x100, v5
	s_delay_alu instid0(VALU_DEP_1) | instskip(SKIP_1) | instid1(SALU_CYCLE_1)
	v_cmp_le_i32_e32 vcc_lo, s1, v5
	s_or_b32 s3, vcc_lo, s3
	s_and_not1_b32 exec_lo, exec_lo, s3
	s_cbranch_execz .LBB64_61
.LBB64_41:                              ; =>This Loop Header: Depth=1
                                        ;     Child Loop BB64_43 Depth 2
                                        ;       Child Loop BB64_49 Depth 3
                                        ;       Child Loop BB64_51 Depth 3
	;; [unrolled: 1-line block ×4, first 2 shown]
	v_ashrrev_i32_e32 v6, 31, v5
	s_mov_b32 s4, 0
	s_delay_alu instid0(VALU_DEP_1) | instskip(NEXT) | instid1(VALU_DEP_1)
	v_lshlrev_b64 v[7:8], 4, v[5:6]
	v_add_co_u32 v7, vcc_lo, s8, v7
	s_delay_alu instid0(VALU_DEP_2) | instskip(SKIP_2) | instid1(VALU_DEP_1)
	v_add_co_ci_u32_e32 v8, vcc_lo, s9, v8, vcc_lo
	global_load_b128 v[8:11], v[7:8], off
	v_lshlrev_b64 v[6:7], 2, v[5:6]
	v_add_co_u32 v6, vcc_lo, s6, v6
	s_delay_alu instid0(VALU_DEP_2)
	v_add_co_ci_u32_e32 v7, vcc_lo, s7, v7, vcc_lo
	global_load_b32 v12, v[6:7], off
	s_waitcnt vmcnt(1)
	v_mul_f64 v[6:7], v[10:11], -v[1:2]
	v_mul_f64 v[10:11], v[3:4], v[10:11]
	s_waitcnt vmcnt(0)
	v_subrev_nc_u32_e32 v12, s27, v12
	s_delay_alu instid0(VALU_DEP_3) | instskip(NEXT) | instid1(VALU_DEP_3)
	v_fma_f64 v[6:7], v[3:4], v[8:9], v[6:7]
	v_fma_f64 v[8:9], v[1:2], v[8:9], v[10:11]
	s_delay_alu instid0(VALU_DEP_3) | instskip(NEXT) | instid1(VALU_DEP_1)
	v_mul_lo_u32 v10, 0x89, v12
	v_and_b32_e32 v13, 0x1ff, v10
	s_branch .LBB64_43
.LBB64_42:                              ;   in Loop: Header=BB64_43 Depth=2
	s_or_b32 exec_lo, exec_lo, s5
	s_xor_b32 s5, s15, -1
	s_delay_alu instid0(SALU_CYCLE_1) | instskip(NEXT) | instid1(SALU_CYCLE_1)
	s_and_b32 s5, exec_lo, s5
	s_or_b32 s4, s5, s4
	s_delay_alu instid0(SALU_CYCLE_1)
	s_and_not1_b32 exec_lo, exec_lo, s4
	s_cbranch_execz .LBB64_40
.LBB64_43:                              ;   Parent Loop BB64_41 Depth=1
                                        ; =>  This Loop Header: Depth=2
                                        ;       Child Loop BB64_49 Depth 3
                                        ;       Child Loop BB64_51 Depth 3
	;; [unrolled: 1-line block ×4, first 2 shown]
	s_delay_alu instid0(VALU_DEP_1)
	v_lshl_add_u32 v10, v13, 2, 0
	s_mov_b32 s5, exec_lo
                                        ; implicit-def: $sgpr15
	ds_load_b32 v11, v10
	s_waitcnt lgkmcnt(0)
	v_cmpx_ne_u32_e64 v11, v12
	s_xor_b32 s5, exec_lo, s5
	s_cbranch_execz .LBB64_55
; %bb.44:                               ;   in Loop: Header=BB64_43 Depth=2
	s_mov_b32 s16, exec_lo
                                        ; implicit-def: $sgpr15
	v_cmpx_ne_u32_e64 s33, v11
	s_xor_b32 s16, exec_lo, s16
; %bb.45:                               ;   in Loop: Header=BB64_43 Depth=2
	v_add_nc_u32_e32 v10, 1, v13
	s_mov_b32 s15, -1
	s_delay_alu instid0(VALU_DEP_1)
	v_and_b32_e32 v13, 0x1ff, v10
                                        ; implicit-def: $vgpr10
; %bb.46:                               ;   in Loop: Header=BB64_43 Depth=2
	s_and_not1_saveexec_b32 s16, s16
	s_cbranch_execz .LBB64_54
; %bb.47:                               ;   in Loop: Header=BB64_43 Depth=2
	v_mov_b32_e32 v11, s33
	s_mov_b32 s18, -1
	s_mov_b32 s17, exec_lo
	ds_cmpstore_rtn_b32 v11, v10, v12, v11
	s_waitcnt lgkmcnt(0)
	v_cmpx_eq_u32_e64 s33, v11
	s_cbranch_execz .LBB64_53
; %bb.48:                               ;   in Loop: Header=BB64_43 Depth=2
	v_mul_lo_u32 v11, v13, 12
	s_mov_b32 s18, 0
	s_delay_alu instid0(VALU_DEP_1)
	v_add_nc_u32_e32 v14, v10, v11
	ds_load_b64 v[10:11], v14 offset:2048
.LBB64_49:                              ;   Parent Loop BB64_41 Depth=1
                                        ;     Parent Loop BB64_43 Depth=2
                                        ; =>    This Inner Loop Header: Depth=3
	s_waitcnt lgkmcnt(0)
	v_add_f64 v[15:16], v[10:11], v[6:7]
	ds_cmpstore_rtn_b64 v[15:16], v14, v[15:16], v[10:11] offset:2048
	s_waitcnt lgkmcnt(0)
	v_cmp_eq_u64_e32 vcc_lo, v[15:16], v[10:11]
	v_dual_mov_b32 v10, v15 :: v_dual_mov_b32 v11, v16
	s_or_b32 s18, vcc_lo, s18
	s_delay_alu instid0(SALU_CYCLE_1)
	s_and_not1_b32 exec_lo, exec_lo, s18
	s_cbranch_execnz .LBB64_49
; %bb.50:                               ;   in Loop: Header=BB64_43 Depth=2
	s_or_b32 exec_lo, exec_lo, s18
	ds_load_b64 v[10:11], v14 offset:2056
	s_mov_b32 s18, 0
.LBB64_51:                              ;   Parent Loop BB64_41 Depth=1
                                        ;     Parent Loop BB64_43 Depth=2
                                        ; =>    This Inner Loop Header: Depth=3
	s_waitcnt lgkmcnt(0)
	v_add_f64 v[15:16], v[10:11], v[8:9]
	ds_cmpstore_rtn_b64 v[15:16], v14, v[15:16], v[10:11] offset:2056
	s_waitcnt lgkmcnt(0)
	v_cmp_eq_u64_e32 vcc_lo, v[15:16], v[10:11]
	v_dual_mov_b32 v10, v15 :: v_dual_mov_b32 v11, v16
	s_or_b32 s18, vcc_lo, s18
	s_delay_alu instid0(SALU_CYCLE_1)
	s_and_not1_b32 exec_lo, exec_lo, s18
	s_cbranch_execnz .LBB64_51
; %bb.52:                               ;   in Loop: Header=BB64_43 Depth=2
	s_or_b32 exec_lo, exec_lo, s18
	s_delay_alu instid0(SALU_CYCLE_1)
	s_xor_b32 s18, exec_lo, -1
.LBB64_53:                              ;   in Loop: Header=BB64_43 Depth=2
	s_or_b32 exec_lo, exec_lo, s17
	s_delay_alu instid0(SALU_CYCLE_1) | instskip(SKIP_1) | instid1(SALU_CYCLE_1)
	s_and_not1_b32 s15, s15, exec_lo
	s_and_b32 s17, s18, exec_lo
	s_or_b32 s15, s15, s17
.LBB64_54:                              ;   in Loop: Header=BB64_43 Depth=2
	s_or_b32 exec_lo, exec_lo, s16
	s_delay_alu instid0(SALU_CYCLE_1)
	s_and_b32 s15, s15, exec_lo
                                        ; implicit-def: $vgpr10
.LBB64_55:                              ;   in Loop: Header=BB64_43 Depth=2
	s_and_not1_saveexec_b32 s5, s5
	s_cbranch_execz .LBB64_42
; %bb.56:                               ;   in Loop: Header=BB64_43 Depth=2
	v_mul_lo_u32 v11, v13, 12
	s_mov_b32 s16, 0
	s_delay_alu instid0(VALU_DEP_1)
	v_add_nc_u32_e32 v14, v10, v11
	ds_load_b64 v[10:11], v14 offset:2048
.LBB64_57:                              ;   Parent Loop BB64_41 Depth=1
                                        ;     Parent Loop BB64_43 Depth=2
                                        ; =>    This Inner Loop Header: Depth=3
	s_waitcnt lgkmcnt(0)
	v_add_f64 v[15:16], v[10:11], v[6:7]
	ds_cmpstore_rtn_b64 v[15:16], v14, v[15:16], v[10:11] offset:2048
	s_waitcnt lgkmcnt(0)
	v_cmp_eq_u64_e32 vcc_lo, v[15:16], v[10:11]
	v_dual_mov_b32 v10, v15 :: v_dual_mov_b32 v11, v16
	s_or_b32 s16, vcc_lo, s16
	s_delay_alu instid0(SALU_CYCLE_1)
	s_and_not1_b32 exec_lo, exec_lo, s16
	s_cbranch_execnz .LBB64_57
; %bb.58:                               ;   in Loop: Header=BB64_43 Depth=2
	s_or_b32 exec_lo, exec_lo, s16
	ds_load_b64 v[10:11], v14 offset:2056
	s_mov_b32 s16, 0
.LBB64_59:                              ;   Parent Loop BB64_41 Depth=1
                                        ;     Parent Loop BB64_43 Depth=2
                                        ; =>    This Inner Loop Header: Depth=3
	s_waitcnt lgkmcnt(0)
	v_add_f64 v[15:16], v[10:11], v[8:9]
	ds_cmpstore_rtn_b64 v[15:16], v14, v[15:16], v[10:11] offset:2056
	s_waitcnt lgkmcnt(0)
	v_cmp_eq_u64_e32 vcc_lo, v[15:16], v[10:11]
	v_dual_mov_b32 v10, v15 :: v_dual_mov_b32 v11, v16
	s_or_b32 s16, vcc_lo, s16
	s_delay_alu instid0(SALU_CYCLE_1)
	s_and_not1_b32 exec_lo, exec_lo, s16
	s_cbranch_execnz .LBB64_59
; %bb.60:                               ;   in Loop: Header=BB64_43 Depth=2
	s_or_b32 exec_lo, exec_lo, s16
	s_delay_alu instid0(SALU_CYCLE_1)
	s_and_not1_b32 s15, s15, exec_lo
	s_branch .LBB64_42
.LBB64_61:
	s_or_b32 exec_lo, exec_lo, s2
.LBB64_62:
	s_waitcnt lgkmcnt(0)
	s_barrier
	buffer_gl0_inv
	s_and_saveexec_b32 s8, s0
	s_cbranch_execz .LBB64_83
; %bb.63:
	v_mbcnt_lo_u32_b32 v1, -1, 0
	v_lshl_add_u32 v3, v26, 2, 0
	v_cmp_eq_u32_e32 vcc_lo, 0xff, v0
	v_cmp_lt_u32_e64 s0, 31, v0
	v_cmp_lt_u32_e64 s1, 63, v0
	v_xor_b32_e32 v1, 63, v1
	v_cmp_lt_u32_e64 s2, 0x5f, v0
	v_cmp_lt_u32_e64 s3, 0x7f, v0
	;; [unrolled: 1-line block ×4, first 2 shown]
	v_lshrrev_b64 v[1:2], v1, -1
	v_cmp_lt_u32_e64 s6, 0xdf, v0
	v_add3_u32 v2, v25, 0, 0x800
	v_dual_mov_b32 v4, 0 :: v_dual_mov_b32 v5, 0
	s_mov_b32 s9, 0
	s_branch .LBB64_65
.LBB64_64:                              ;   in Loop: Header=BB64_65 Depth=1
	s_or_b32 exec_lo, exec_lo, s7
	s_waitcnt lgkmcnt(0)
	s_barrier
	buffer_gl0_inv
	ds_load_b32 v6, v4 offset:10268
	v_add_co_u32 v23, s7, 0x100, v23
	s_delay_alu instid0(VALU_DEP_1) | instskip(SKIP_3) | instid1(SALU_CYCLE_1)
	s_xor_b32 s7, s7, -1
	v_add_nc_u32_e32 v2, 0x1000, v2
	v_add_nc_u32_e32 v24, 0x400, v24
	s_and_b32 s7, exec_lo, s7
	s_or_b32 s9, s7, s9
	s_waitcnt lgkmcnt(0)
	v_add_nc_u32_e32 v5, v6, v5
	s_and_not1_b32 exec_lo, exec_lo, s9
	s_cbranch_execz .LBB64_83
.LBB64_65:                              ; =>This Inner Loop Header: Depth=1
	ds_load_b32 v6, v24
	ds_load_2addr_b64 v[7:10], v2 offset1:1
	s_waitcnt lgkmcnt(1)
	v_cmp_gt_i32_e64 s7, s33, v6
	s_waitcnt lgkmcnt(0)
	scratch_store_b128 off, v[7:10], off
	s_waitcnt_vscnt null, 0x0
	s_barrier
	buffer_gl0_inv
	s_bcnt1_i32_b32 s15, s7
	s_delay_alu instid0(SALU_CYCLE_1) | instskip(NEXT) | instid1(VALU_DEP_1)
	v_dual_mov_b32 v8, s15 :: v_dual_and_b32 v7, s7, v1
	v_bcnt_u32_b32 v7, v7, 0
	ds_store_b32 v3, v8 offset:10240
	s_waitcnt lgkmcnt(0)
	s_barrier
	buffer_gl0_inv
	s_and_saveexec_b32 s15, s0
	s_cbranch_execnz .LBB64_74
; %bb.66:                               ;   in Loop: Header=BB64_65 Depth=1
	s_or_b32 exec_lo, exec_lo, s15
	s_and_saveexec_b32 s15, s1
	s_cbranch_execnz .LBB64_75
.LBB64_67:                              ;   in Loop: Header=BB64_65 Depth=1
	s_or_b32 exec_lo, exec_lo, s15
	s_and_saveexec_b32 s15, s2
	s_cbranch_execnz .LBB64_76
.LBB64_68:                              ;   in Loop: Header=BB64_65 Depth=1
	s_or_b32 exec_lo, exec_lo, s15
	s_and_saveexec_b32 s15, s3
	s_cbranch_execnz .LBB64_77
.LBB64_69:                              ;   in Loop: Header=BB64_65 Depth=1
	s_or_b32 exec_lo, exec_lo, s15
	s_and_saveexec_b32 s15, s4
	s_cbranch_execnz .LBB64_78
.LBB64_70:                              ;   in Loop: Header=BB64_65 Depth=1
	s_or_b32 exec_lo, exec_lo, s15
	s_and_saveexec_b32 s15, s5
	s_cbranch_execnz .LBB64_79
.LBB64_71:                              ;   in Loop: Header=BB64_65 Depth=1
	s_or_b32 exec_lo, exec_lo, s15
	s_and_saveexec_b32 s15, s6
	s_cbranch_execnz .LBB64_80
.LBB64_72:                              ;   in Loop: Header=BB64_65 Depth=1
	s_or_b32 exec_lo, exec_lo, s15
	s_and_saveexec_b32 s15, s7
	s_cbranch_execnz .LBB64_81
.LBB64_73:                              ;   in Loop: Header=BB64_65 Depth=1
	s_or_b32 exec_lo, exec_lo, s15
	s_and_saveexec_b32 s7, vcc_lo
	s_cbranch_execz .LBB64_64
	s_branch .LBB64_82
.LBB64_74:                              ;   in Loop: Header=BB64_65 Depth=1
	ds_load_b32 v8, v4 offset:10240
	s_waitcnt lgkmcnt(0)
	v_add_nc_u32_e32 v7, v8, v7
	s_or_b32 exec_lo, exec_lo, s15
	s_and_saveexec_b32 s15, s1
	s_cbranch_execz .LBB64_67
.LBB64_75:                              ;   in Loop: Header=BB64_65 Depth=1
	ds_load_b32 v8, v4 offset:10244
	s_waitcnt lgkmcnt(0)
	v_add_nc_u32_e32 v7, v8, v7
	s_or_b32 exec_lo, exec_lo, s15
	s_and_saveexec_b32 s15, s2
	s_cbranch_execz .LBB64_68
.LBB64_76:                              ;   in Loop: Header=BB64_65 Depth=1
	ds_load_b32 v8, v4 offset:10248
	s_waitcnt lgkmcnt(0)
	v_add_nc_u32_e32 v7, v8, v7
	s_or_b32 exec_lo, exec_lo, s15
	s_and_saveexec_b32 s15, s3
	s_cbranch_execz .LBB64_69
.LBB64_77:                              ;   in Loop: Header=BB64_65 Depth=1
	ds_load_b32 v8, v4 offset:10252
	s_waitcnt lgkmcnt(0)
	v_add_nc_u32_e32 v7, v8, v7
	s_or_b32 exec_lo, exec_lo, s15
	s_and_saveexec_b32 s15, s4
	s_cbranch_execz .LBB64_70
.LBB64_78:                              ;   in Loop: Header=BB64_65 Depth=1
	ds_load_b32 v8, v4 offset:10256
	s_waitcnt lgkmcnt(0)
	v_add_nc_u32_e32 v7, v8, v7
	s_or_b32 exec_lo, exec_lo, s15
	s_and_saveexec_b32 s15, s5
	s_cbranch_execz .LBB64_71
.LBB64_79:                              ;   in Loop: Header=BB64_65 Depth=1
	ds_load_b32 v8, v4 offset:10260
	s_waitcnt lgkmcnt(0)
	v_add_nc_u32_e32 v7, v8, v7
	s_or_b32 exec_lo, exec_lo, s15
	s_and_saveexec_b32 s15, s6
	s_cbranch_execz .LBB64_72
.LBB64_80:                              ;   in Loop: Header=BB64_65 Depth=1
	ds_load_b32 v8, v4 offset:10264
	s_waitcnt lgkmcnt(0)
	v_add_nc_u32_e32 v7, v8, v7
	s_or_b32 exec_lo, exec_lo, s15
	s_and_saveexec_b32 s15, s7
	s_cbranch_execz .LBB64_73
.LBB64_81:                              ;   in Loop: Header=BB64_65 Depth=1
	scratch_load_b128 v[8:11], off, off
	v_add3_u32 v12, v5, -1, v7
	s_delay_alu instid0(VALU_DEP_1) | instskip(SKIP_1) | instid1(VALU_DEP_2)
	v_lshlrev_b32_e32 v13, 4, v12
	v_lshl_add_u32 v12, v12, 2, 0
	v_add3_u32 v13, 0, v13, 0x800
	ds_store_b32 v12, v6
	s_waitcnt vmcnt(0)
	ds_store_2addr_b64 v13, v[8:9], v[10:11] offset1:1
	s_or_b32 exec_lo, exec_lo, s15
	s_and_saveexec_b32 s7, vcc_lo
	s_cbranch_execz .LBB64_64
.LBB64_82:                              ;   in Loop: Header=BB64_65 Depth=1
	ds_store_b32 v4, v7 offset:10268
	s_branch .LBB64_64
.LBB64_83:
	s_or_b32 exec_lo, exec_lo, s8
	s_ashr_i32 s15, s14, 31
	s_mov_b32 s3, exec_lo
	s_lshl_b64 s[0:1], s[14:15], 2
	s_delay_alu instid0(SALU_CYCLE_1) | instskip(SKIP_4) | instid1(SALU_CYCLE_1)
	s_add_u32 s0, s10, s0
	s_addc_u32 s1, s11, s1
	s_load_b64 s[0:1], s[0:1], 0x0
	s_waitcnt lgkmcnt(0)
	s_sub_i32 s2, s1, s0
	v_cmpx_gt_i32_e64 s2, v0
	s_cbranch_execz .LBB64_93
; %bb.84:
	s_sub_i32 s3, s0, s26
	s_sub_i32 s0, s0, s1
	s_and_b32 s1, s2, 7
	s_cmp_lt_u32 s0, -7
	s_mov_b32 s7, 0
	s_cselect_b32 s4, -1, 0
	s_and_b32 s5, s2, -8
	s_cmp_lg_u32 s1, 0
	s_cselect_b32 s6, -1, 0
	s_branch .LBB64_86
.LBB64_85:                              ;   in Loop: Header=BB64_86 Depth=1
	s_waitcnt lgkmcnt(0)
	v_mul_lo_u32 v3, v0, 12
	v_add_nc_u32_e32 v0, 0x100, v0
	s_delay_alu instid0(VALU_DEP_1) | instskip(NEXT) | instid1(VALU_DEP_3)
	v_cmp_le_i32_e32 vcc_lo, s2, v0
	v_add3_u32 v2, v2, v3, 0x800
	s_or_b32 s7, vcc_lo, s7
	ds_load_2addr_b64 v[3:6], v2 offset1:1
	v_ashrrev_i32_e32 v2, 31, v1
	s_delay_alu instid0(VALU_DEP_1) | instskip(NEXT) | instid1(VALU_DEP_1)
	v_lshlrev_b64 v[1:2], 4, v[1:2]
	v_add_co_u32 v1, s0, s12, v1
	s_delay_alu instid0(VALU_DEP_1)
	v_add_co_ci_u32_e64 v2, s0, s13, v2, s0
	s_waitcnt lgkmcnt(0)
	global_store_b128 v[1:2], v[3:6], off
	s_and_not1_b32 exec_lo, exec_lo, s7
	s_cbranch_execz .LBB64_93
.LBB64_86:                              ; =>This Loop Header: Depth=1
                                        ;     Child Loop BB64_88 Depth 2
                                        ;     Child Loop BB64_92 Depth 2
	v_lshl_add_u32 v2, v0, 2, 0
	v_mov_b32_e32 v1, s3
	s_and_not1_b32 vcc_lo, exec_lo, s4
	s_mov_b32 s0, 0
	ds_load_b32 v3, v2
	s_cbranch_vccnz .LBB64_90
; %bb.87:                               ;   in Loop: Header=BB64_86 Depth=1
	v_mov_b32_e32 v1, s3
	s_mov_b32 s8, 0
	s_set_inst_prefetch_distance 0x1
	.p2align	6
.LBB64_88:                              ;   Parent Loop BB64_86 Depth=1
                                        ; =>  This Inner Loop Header: Depth=2
	v_mov_b32_e32 v10, s8
	s_add_i32 s0, s0, 8
	s_add_i32 s8, s8, 32
	s_cmp_eq_u32 s5, s0
	ds_load_2addr_b32 v[4:5], v10 offset1:1
	ds_load_2addr_b32 v[6:7], v10 offset0:2 offset1:3
	ds_load_2addr_b32 v[8:9], v10 offset0:4 offset1:5
	;; [unrolled: 1-line block ×3, first 2 shown]
	s_waitcnt lgkmcnt(3)
	v_cmp_gt_i32_e32 vcc_lo, v3, v4
	v_cndmask_b32_e64 v4, 0, 1, vcc_lo
	s_waitcnt lgkmcnt(2)
	v_cmp_gt_i32_e32 vcc_lo, v3, v6
	v_cndmask_b32_e64 v6, 0, 1, vcc_lo
	v_cmp_gt_i32_e32 vcc_lo, v3, v5
	v_add_co_ci_u32_e32 v1, vcc_lo, v1, v4, vcc_lo
	s_waitcnt lgkmcnt(1)
	v_cmp_gt_i32_e32 vcc_lo, v3, v8
	v_cndmask_b32_e64 v4, 0, 1, vcc_lo
	v_cmp_gt_i32_e32 vcc_lo, v3, v7
	v_add_co_ci_u32_e32 v1, vcc_lo, v1, v6, vcc_lo
	s_waitcnt lgkmcnt(0)
	v_cmp_gt_i32_e32 vcc_lo, v3, v10
	v_cndmask_b32_e64 v5, 0, 1, vcc_lo
	v_cmp_gt_i32_e32 vcc_lo, v3, v9
	v_add_co_ci_u32_e32 v1, vcc_lo, v1, v4, vcc_lo
	v_cmp_gt_i32_e32 vcc_lo, v3, v11
	s_delay_alu instid0(VALU_DEP_2)
	v_add_co_ci_u32_e32 v1, vcc_lo, v1, v5, vcc_lo
	s_cbranch_scc0 .LBB64_88
; %bb.89:                               ;   in Loop: Header=BB64_86 Depth=1
	s_set_inst_prefetch_distance 0x2
	s_mov_b32 s0, s5
.LBB64_90:                              ;   in Loop: Header=BB64_86 Depth=1
	s_and_not1_b32 vcc_lo, exec_lo, s6
	s_cbranch_vccnz .LBB64_85
; %bb.91:                               ;   in Loop: Header=BB64_86 Depth=1
	s_lshl_b32 s0, s0, 2
	s_mov_b32 s8, s1
	s_add_i32 s0, s0, 0
.LBB64_92:                              ;   Parent Loop BB64_86 Depth=1
                                        ; =>  This Inner Loop Header: Depth=2
	s_delay_alu instid0(SALU_CYCLE_1)
	v_mov_b32_e32 v4, s0
	s_add_i32 s8, s8, -1
	s_add_i32 s0, s0, 4
	s_cmp_lg_u32 s8, 0
	ds_load_b32 v4, v4
	s_waitcnt lgkmcnt(0)
	v_cmp_gt_i32_e32 vcc_lo, v3, v4
	v_add_co_ci_u32_e32 v1, vcc_lo, 0, v1, vcc_lo
	s_cbranch_scc1 .LBB64_92
	s_branch .LBB64_85
.LBB64_93:
	s_nop 0
	s_sendmsg sendmsg(MSG_DEALLOC_VGPRS)
	s_endpgm
	.section	.rodata,"a",@progbits
	.p2align	6, 0x0
	.amdhsa_kernel _ZN9rocsparseL41csrgemm_numeric_fill_block_per_row_kernelILj256ELj32ELj512ELj137ELj32Eii21rocsparse_complex_numIdEEEvT5_PKS3_S5_NS_24const_host_device_scalarIT6_EEPKT4_S5_PKS7_SB_S5_SD_S8_SB_S5_SD_SB_S5_PS7_21rocsparse_index_base_SF_SF_SF_bbb
		.amdhsa_group_segment_fixed_size 0
		.amdhsa_private_segment_fixed_size 40
		.amdhsa_kernarg_size 172
		.amdhsa_user_sgpr_count 15
		.amdhsa_user_sgpr_dispatch_ptr 0
		.amdhsa_user_sgpr_queue_ptr 0
		.amdhsa_user_sgpr_kernarg_segment_ptr 1
		.amdhsa_user_sgpr_dispatch_id 0
		.amdhsa_user_sgpr_private_segment_size 0
		.amdhsa_wavefront_size32 1
		.amdhsa_uses_dynamic_stack 0
		.amdhsa_enable_private_segment 1
		.amdhsa_system_sgpr_workgroup_id_x 1
		.amdhsa_system_sgpr_workgroup_id_y 0
		.amdhsa_system_sgpr_workgroup_id_z 0
		.amdhsa_system_sgpr_workgroup_info 0
		.amdhsa_system_vgpr_workitem_id 0
		.amdhsa_next_free_vgpr 32
		.amdhsa_next_free_sgpr 42
		.amdhsa_reserve_vcc 1
		.amdhsa_float_round_mode_32 0
		.amdhsa_float_round_mode_16_64 0
		.amdhsa_float_denorm_mode_32 3
		.amdhsa_float_denorm_mode_16_64 3
		.amdhsa_dx10_clamp 1
		.amdhsa_ieee_mode 1
		.amdhsa_fp16_overflow 0
		.amdhsa_workgroup_processor_mode 1
		.amdhsa_memory_ordered 1
		.amdhsa_forward_progress 0
		.amdhsa_shared_vgpr_count 0
		.amdhsa_exception_fp_ieee_invalid_op 0
		.amdhsa_exception_fp_denorm_src 0
		.amdhsa_exception_fp_ieee_div_zero 0
		.amdhsa_exception_fp_ieee_overflow 0
		.amdhsa_exception_fp_ieee_underflow 0
		.amdhsa_exception_fp_ieee_inexact 0
		.amdhsa_exception_int_div_zero 0
	.end_amdhsa_kernel
	.section	.text._ZN9rocsparseL41csrgemm_numeric_fill_block_per_row_kernelILj256ELj32ELj512ELj137ELj32Eii21rocsparse_complex_numIdEEEvT5_PKS3_S5_NS_24const_host_device_scalarIT6_EEPKT4_S5_PKS7_SB_S5_SD_S8_SB_S5_SD_SB_S5_PS7_21rocsparse_index_base_SF_SF_SF_bbb,"axG",@progbits,_ZN9rocsparseL41csrgemm_numeric_fill_block_per_row_kernelILj256ELj32ELj512ELj137ELj32Eii21rocsparse_complex_numIdEEEvT5_PKS3_S5_NS_24const_host_device_scalarIT6_EEPKT4_S5_PKS7_SB_S5_SD_S8_SB_S5_SD_SB_S5_PS7_21rocsparse_index_base_SF_SF_SF_bbb,comdat
.Lfunc_end64:
	.size	_ZN9rocsparseL41csrgemm_numeric_fill_block_per_row_kernelILj256ELj32ELj512ELj137ELj32Eii21rocsparse_complex_numIdEEEvT5_PKS3_S5_NS_24const_host_device_scalarIT6_EEPKT4_S5_PKS7_SB_S5_SD_S8_SB_S5_SD_SB_S5_PS7_21rocsparse_index_base_SF_SF_SF_bbb, .Lfunc_end64-_ZN9rocsparseL41csrgemm_numeric_fill_block_per_row_kernelILj256ELj32ELj512ELj137ELj32Eii21rocsparse_complex_numIdEEEvT5_PKS3_S5_NS_24const_host_device_scalarIT6_EEPKT4_S5_PKS7_SB_S5_SD_S8_SB_S5_SD_SB_S5_PS7_21rocsparse_index_base_SF_SF_SF_bbb
                                        ; -- End function
	.section	.AMDGPU.csdata,"",@progbits
; Kernel info:
; codeLenInByte = 3680
; NumSgprs: 44
; NumVgprs: 32
; ScratchSize: 40
; MemoryBound: 0
; FloatMode: 240
; IeeeMode: 1
; LDSByteSize: 0 bytes/workgroup (compile time only)
; SGPRBlocks: 5
; VGPRBlocks: 3
; NumSGPRsForWavesPerEU: 44
; NumVGPRsForWavesPerEU: 32
; Occupancy: 16
; WaveLimiterHint : 1
; COMPUTE_PGM_RSRC2:SCRATCH_EN: 1
; COMPUTE_PGM_RSRC2:USER_SGPR: 15
; COMPUTE_PGM_RSRC2:TRAP_HANDLER: 0
; COMPUTE_PGM_RSRC2:TGID_X_EN: 1
; COMPUTE_PGM_RSRC2:TGID_Y_EN: 0
; COMPUTE_PGM_RSRC2:TGID_Z_EN: 0
; COMPUTE_PGM_RSRC2:TIDIG_COMP_CNT: 0
	.section	.text._ZN9rocsparseL41csrgemm_numeric_fill_block_per_row_kernelILj256ELj32ELj512ELj137ELj64Eii21rocsparse_complex_numIdEEEvT5_PKS3_S5_NS_24const_host_device_scalarIT6_EEPKT4_S5_PKS7_SB_S5_SD_S8_SB_S5_SD_SB_S5_PS7_21rocsparse_index_base_SF_SF_SF_bbb,"axG",@progbits,_ZN9rocsparseL41csrgemm_numeric_fill_block_per_row_kernelILj256ELj32ELj512ELj137ELj64Eii21rocsparse_complex_numIdEEEvT5_PKS3_S5_NS_24const_host_device_scalarIT6_EEPKT4_S5_PKS7_SB_S5_SD_S8_SB_S5_SD_SB_S5_PS7_21rocsparse_index_base_SF_SF_SF_bbb,comdat
	.globl	_ZN9rocsparseL41csrgemm_numeric_fill_block_per_row_kernelILj256ELj32ELj512ELj137ELj64Eii21rocsparse_complex_numIdEEEvT5_PKS3_S5_NS_24const_host_device_scalarIT6_EEPKT4_S5_PKS7_SB_S5_SD_S8_SB_S5_SD_SB_S5_PS7_21rocsparse_index_base_SF_SF_SF_bbb ; -- Begin function _ZN9rocsparseL41csrgemm_numeric_fill_block_per_row_kernelILj256ELj32ELj512ELj137ELj64Eii21rocsparse_complex_numIdEEEvT5_PKS3_S5_NS_24const_host_device_scalarIT6_EEPKT4_S5_PKS7_SB_S5_SD_S8_SB_S5_SD_SB_S5_PS7_21rocsparse_index_base_SF_SF_SF_bbb
	.p2align	8
	.type	_ZN9rocsparseL41csrgemm_numeric_fill_block_per_row_kernelILj256ELj32ELj512ELj137ELj64Eii21rocsparse_complex_numIdEEEvT5_PKS3_S5_NS_24const_host_device_scalarIT6_EEPKT4_S5_PKS7_SB_S5_SD_S8_SB_S5_SD_SB_S5_PS7_21rocsparse_index_base_SF_SF_SF_bbb,@function
_ZN9rocsparseL41csrgemm_numeric_fill_block_per_row_kernelILj256ELj32ELj512ELj137ELj64Eii21rocsparse_complex_numIdEEEvT5_PKS3_S5_NS_24const_host_device_scalarIT6_EEPKT4_S5_PKS7_SB_S5_SD_S8_SB_S5_SD_SB_S5_PS7_21rocsparse_index_base_SF_SF_SF_bbb: ; @_ZN9rocsparseL41csrgemm_numeric_fill_block_per_row_kernelILj256ELj32ELj512ELj137ELj64Eii21rocsparse_complex_numIdEEEvT5_PKS3_S5_NS_24const_host_device_scalarIT6_EEPKT4_S5_PKS7_SB_S5_SD_S8_SB_S5_SD_SB_S5_PS7_21rocsparse_index_base_SF_SF_SF_bbb
; %bb.0:
	s_clause 0x2
	s_load_b32 s12, s[0:1], 0xa8
	s_load_b128 s[8:11], s[0:1], 0x18
	s_load_b128 s[4:7], s[0:1], 0x58
	v_mov_b32_e32 v1, 0
	v_mov_b32_e32 v2, 0
	s_waitcnt lgkmcnt(0)
	s_bitcmp1_b32 s12, 0
	v_mov_b32_e32 v3, s8
	s_cselect_b32 s35, -1, 0
	s_bitcmp1_b32 s12, 16
	v_dual_mov_b32 v6, v2 :: v_dual_mov_b32 v5, v1
	s_cselect_b32 s2, -1, 0
	v_mov_b32_e32 v4, s9
	s_xor_b32 s3, s2, -1
	v_dual_mov_b32 v10, s5 :: v_dual_mov_b32 v9, s4
	v_cndmask_b32_e64 v7, 0, 1, s3
	s_bitcmp0_b32 s12, 0
	s_clause 0x1
	scratch_store_b64 off, v[3:4], off offset:16
	scratch_store_b64 off, v[9:10], off offset:24
	v_cmp_ne_u32_e32 vcc_lo, 1, v7
	v_dual_mov_b32 v8, v2 :: v_dual_mov_b32 v7, v1
	s_cbranch_scc1 .LBB65_3
; %bb.1:
	s_mov_b64 s[16:17], src_private_base
	s_and_b32 s13, s2, exec_lo
	s_cselect_b32 s13, s17, s9
	s_delay_alu instid0(SALU_CYCLE_1) | instskip(SKIP_2) | instid1(VALU_DEP_2)
	v_dual_mov_b32 v3, 16 :: v_dual_mov_b32 v4, s13
	v_dual_mov_b32 v7, s10 :: v_dual_mov_b32 v8, s11
	s_and_b32 vcc_lo, exec_lo, vcc_lo
	v_cndmask_b32_e64 v3, s8, v3, s2
	flat_load_b64 v[5:6], v[3:4]
	s_cbranch_vccnz .LBB65_3
; %bb.2:
	v_dual_mov_b32 v3, s8 :: v_dual_mov_b32 v4, s9
	flat_load_b64 v[7:8], v[3:4] offset:8
.LBB65_3:
	s_load_b128 s[24:27], s[0:1], 0x98
	s_bitcmp1_b32 s12, 8
	v_dual_mov_b32 v4, v2 :: v_dual_mov_b32 v3, v1
	s_cselect_b32 s34, -1, 0
	s_bfe_u32 s8, s12, 0x10008
	s_delay_alu instid0(SALU_CYCLE_1)
	s_cmp_eq_u32 s8, 0
	s_cbranch_scc1 .LBB65_6
; %bb.4:
	s_mov_b64 s[8:9], src_private_base
	s_and_b32 s8, s2, exec_lo
	s_cselect_b32 s8, s9, s5
	s_delay_alu instid0(SALU_CYCLE_1) | instskip(SKIP_1) | instid1(VALU_DEP_1)
	v_dual_mov_b32 v1, 24 :: v_dual_mov_b32 v2, s8
	s_and_not1_b32 vcc_lo, exec_lo, s3
	v_cndmask_b32_e64 v1, s4, v1, s2
	flat_load_b64 v[3:4], v[1:2]
	v_dual_mov_b32 v1, s6 :: v_dual_mov_b32 v2, s7
	s_cbranch_vccnz .LBB65_6
; %bb.5:
	v_dual_mov_b32 v1, s4 :: v_dual_mov_b32 v2, s5
	flat_load_b64 v[1:2], v[1:2] offset:8
.LBB65_6:
	s_clause 0x5
	s_load_b64 s[12:13], s[0:1], 0x90
	s_load_b256 s[4:11], s[0:1], 0x68
	s_load_b128 s[28:31], s[0:1], 0x48
	s_load_b256 s[16:23], s[0:1], 0x28
	s_load_b128 s[36:39], s[0:1], 0x8
	s_load_b32 s33, s[0:1], 0x0
	v_cmp_gt_u32_e64 s0, 0x200, v0
	v_lshlrev_b32_e32 v25, 4, v0
	v_or_b32_e32 v23, 0xffffff00, v0
	v_lshl_add_u32 v24, v0, 2, 0
	s_delay_alu instid0(VALU_DEP_4)
	s_and_saveexec_b32 s1, s0
	s_cbranch_execz .LBB65_9
; %bb.7:
	s_mov_b32 s2, 0
	v_add3_u32 v13, v25, 0, 0x800
	s_mov_b32 s3, s2
	s_mov_b32 s40, s2
	;; [unrolled: 1-line block ×3, first 2 shown]
	v_dual_mov_b32 v10, s3 :: v_dual_mov_b32 v11, s40
	v_or_b32_e32 v14, 0xffffff00, v0
	v_lshl_add_u32 v15, v0, 2, 0
	s_waitcnt lgkmcnt(0)
	v_dual_mov_b32 v16, s33 :: v_dual_mov_b32 v9, s2
	v_mov_b32_e32 v12, s41
.LBB65_8:                               ; =>This Inner Loop Header: Depth=1
	v_add_co_u32 v14, s3, 0x100, v14
	s_delay_alu instid0(VALU_DEP_1)
	s_xor_b32 s3, s3, -1
	ds_store_b32 v15, v16
	ds_store_2addr_b64 v13, v[9:10], v[11:12] offset1:1
	v_add_nc_u32_e32 v13, 0x1000, v13
	v_add_nc_u32_e32 v15, 0x400, v15
	s_and_b32 s3, exec_lo, s3
	s_delay_alu instid0(SALU_CYCLE_1) | instskip(NEXT) | instid1(SALU_CYCLE_1)
	s_or_b32 s2, s3, s2
	s_and_not1_b32 exec_lo, exec_lo, s2
	s_cbranch_execnz .LBB65_8
.LBB65_9:
	s_or_b32 exec_lo, exec_lo, s1
	s_waitcnt vmcnt(0) lgkmcnt(0)
	s_waitcnt_vscnt null, 0x0
	s_barrier
	buffer_gl0_inv
	s_load_b32 s1, s[36:37], 0x0
	s_mov_b32 s3, 0
	s_waitcnt lgkmcnt(0)
	s_add_i32 s2, s1, s15
	s_delay_alu instid0(SALU_CYCLE_1) | instskip(NEXT) | instid1(SALU_CYCLE_1)
	s_lshl_b64 s[2:3], s[2:3], 2
	s_add_u32 s2, s38, s2
	s_addc_u32 s3, s39, s3
	s_and_b32 vcc_lo, exec_lo, s35
	s_load_b32 s14, s[2:3], 0x0
	s_cbranch_vccz .LBB65_37
; %bb.10:
	s_waitcnt lgkmcnt(0)
	s_ashr_i32 s15, s14, 31
	v_lshrrev_b32_e32 v9, 5, v0
	s_lshl_b64 s[2:3], s[14:15], 2
	s_delay_alu instid0(SALU_CYCLE_1) | instskip(SKIP_1) | instid1(VALU_DEP_1)
	s_add_u32 s2, s16, s2
	s_addc_u32 s3, s17, s3
	v_subrev_nc_u32_e32 v9, s24, v9
	s_load_b64 s[2:3], s[2:3], 0x0
	s_waitcnt lgkmcnt(0)
	s_delay_alu instid0(VALU_DEP_1) | instskip(SKIP_2) | instid1(VALU_DEP_1)
	v_add_nc_u32_e32 v9, s2, v9
	s_sub_i32 s1, s3, s24
	s_mov_b32 s2, exec_lo
	v_cmpx_gt_i32_e64 s1, v9
	s_cbranch_execz .LBB65_36
; %bb.11:
	v_and_b32_e32 v10, 31, v0
	s_mov_b32 s3, 0
	s_delay_alu instid0(VALU_DEP_1)
	v_subrev_nc_u32_e32 v26, s25, v10
	s_branch .LBB65_13
.LBB65_12:                              ;   in Loop: Header=BB65_13 Depth=1
	s_or_b32 exec_lo, exec_lo, s15
	v_add_nc_u32_e32 v9, 8, v9
	s_delay_alu instid0(VALU_DEP_1) | instskip(SKIP_1) | instid1(SALU_CYCLE_1)
	v_cmp_le_i32_e32 vcc_lo, s1, v9
	s_or_b32 s3, vcc_lo, s3
	s_and_not1_b32 exec_lo, exec_lo, s3
	s_cbranch_execz .LBB65_36
.LBB65_13:                              ; =>This Loop Header: Depth=1
                                        ;     Child Loop BB65_16 Depth 2
                                        ;       Child Loop BB65_18 Depth 3
                                        ;         Child Loop BB65_24 Depth 4
                                        ;         Child Loop BB65_26 Depth 4
	;; [unrolled: 1-line block ×4, first 2 shown]
	v_ashrrev_i32_e32 v10, 31, v9
	s_mov_b32 s15, exec_lo
	s_delay_alu instid0(VALU_DEP_1) | instskip(NEXT) | instid1(VALU_DEP_1)
	v_lshlrev_b64 v[11:12], 2, v[9:10]
	v_add_co_u32 v11, vcc_lo, s18, v11
	s_delay_alu instid0(VALU_DEP_2) | instskip(SKIP_3) | instid1(VALU_DEP_1)
	v_add_co_ci_u32_e32 v12, vcc_lo, s19, v12, vcc_lo
	global_load_b32 v11, v[11:12], off
	s_waitcnt vmcnt(0)
	v_subrev_nc_u32_e32 v11, s24, v11
	v_ashrrev_i32_e32 v12, 31, v11
	s_delay_alu instid0(VALU_DEP_1) | instskip(NEXT) | instid1(VALU_DEP_1)
	v_lshlrev_b64 v[11:12], 2, v[11:12]
	v_add_co_u32 v11, vcc_lo, s22, v11
	s_delay_alu instid0(VALU_DEP_2) | instskip(SKIP_4) | instid1(VALU_DEP_1)
	v_add_co_ci_u32_e32 v12, vcc_lo, s23, v12, vcc_lo
	global_load_b64 v[11:12], v[11:12], off
	s_waitcnt vmcnt(0)
	v_subrev_nc_u32_e32 v27, s25, v12
	v_add_nc_u32_e32 v11, v11, v26
	v_cmpx_lt_i32_e64 v11, v27
	s_cbranch_execz .LBB65_12
; %bb.14:                               ;   in Loop: Header=BB65_13 Depth=1
	v_lshlrev_b64 v[12:13], 4, v[9:10]
	s_mov_b32 s16, 0
	s_delay_alu instid0(VALU_DEP_1) | instskip(NEXT) | instid1(VALU_DEP_2)
	v_add_co_u32 v12, vcc_lo, s20, v12
	v_add_co_ci_u32_e32 v13, vcc_lo, s21, v13, vcc_lo
	global_load_b128 v[15:18], v[12:13], off
	s_waitcnt vmcnt(0)
	v_mul_f64 v[12:13], v[17:18], -v[7:8]
	v_mul_f64 v[17:18], v[5:6], v[17:18]
	s_delay_alu instid0(VALU_DEP_2) | instskip(NEXT) | instid1(VALU_DEP_2)
	v_fma_f64 v[13:14], v[5:6], v[15:16], v[12:13]
	v_fma_f64 v[15:16], v[7:8], v[15:16], v[17:18]
	s_branch .LBB65_16
.LBB65_15:                              ;   in Loop: Header=BB65_16 Depth=2
	s_or_b32 exec_lo, exec_lo, s17
	v_add_nc_u32_e32 v11, 32, v11
	s_delay_alu instid0(VALU_DEP_1) | instskip(SKIP_1) | instid1(SALU_CYCLE_1)
	v_cmp_ge_i32_e32 vcc_lo, v11, v27
	s_or_b32 s16, vcc_lo, s16
	s_and_not1_b32 exec_lo, exec_lo, s16
	s_cbranch_execz .LBB65_12
.LBB65_16:                              ;   Parent Loop BB65_13 Depth=1
                                        ; =>  This Loop Header: Depth=2
                                        ;       Child Loop BB65_18 Depth 3
                                        ;         Child Loop BB65_24 Depth 4
                                        ;         Child Loop BB65_26 Depth 4
	;; [unrolled: 1-line block ×4, first 2 shown]
	v_ashrrev_i32_e32 v12, 31, v11
	s_mov_b32 s17, 0
	s_delay_alu instid0(VALU_DEP_1) | instskip(NEXT) | instid1(VALU_DEP_1)
	v_lshlrev_b64 v[17:18], 4, v[11:12]
	v_add_co_u32 v17, vcc_lo, s30, v17
	s_delay_alu instid0(VALU_DEP_2) | instskip(SKIP_2) | instid1(VALU_DEP_1)
	v_add_co_ci_u32_e32 v18, vcc_lo, s31, v18, vcc_lo
	global_load_b128 v[19:22], v[17:18], off
	v_lshlrev_b64 v[17:18], 2, v[11:12]
	v_add_co_u32 v17, vcc_lo, s28, v17
	s_delay_alu instid0(VALU_DEP_2)
	v_add_co_ci_u32_e32 v18, vcc_lo, s29, v18, vcc_lo
	global_load_b32 v10, v[17:18], off
	s_waitcnt vmcnt(1)
	v_mul_f64 v[17:18], v[21:22], -v[15:16]
	v_mul_f64 v[21:22], v[13:14], v[21:22]
	s_waitcnt vmcnt(0)
	v_subrev_nc_u32_e32 v10, s25, v10
	s_delay_alu instid0(VALU_DEP_1) | instskip(NEXT) | instid1(VALU_DEP_1)
	v_mul_lo_u32 v12, 0x89, v10
	v_and_b32_e32 v12, 0x1ff, v12
	v_fma_f64 v[17:18], v[13:14], v[19:20], v[17:18]
	v_fma_f64 v[19:20], v[15:16], v[19:20], v[21:22]
	s_branch .LBB65_18
.LBB65_17:                              ;   in Loop: Header=BB65_18 Depth=3
	s_or_b32 exec_lo, exec_lo, s35
	s_xor_b32 s35, s36, -1
	s_delay_alu instid0(SALU_CYCLE_1) | instskip(NEXT) | instid1(SALU_CYCLE_1)
	s_and_b32 s35, exec_lo, s35
	s_or_b32 s17, s35, s17
	s_delay_alu instid0(SALU_CYCLE_1)
	s_and_not1_b32 exec_lo, exec_lo, s17
	s_cbranch_execz .LBB65_15
.LBB65_18:                              ;   Parent Loop BB65_13 Depth=1
                                        ;     Parent Loop BB65_16 Depth=2
                                        ; =>    This Loop Header: Depth=3
                                        ;         Child Loop BB65_24 Depth 4
                                        ;         Child Loop BB65_26 Depth 4
	;; [unrolled: 1-line block ×4, first 2 shown]
	s_delay_alu instid0(VALU_DEP_3)
	v_lshl_add_u32 v21, v12, 2, 0
	s_mov_b32 s35, exec_lo
                                        ; implicit-def: $sgpr36
	ds_load_b32 v22, v21
	s_waitcnt lgkmcnt(0)
	v_cmpx_ne_u32_e64 v22, v10
	s_xor_b32 s35, exec_lo, s35
	s_cbranch_execz .LBB65_30
; %bb.19:                               ;   in Loop: Header=BB65_18 Depth=3
	s_mov_b32 s37, exec_lo
                                        ; implicit-def: $sgpr36
	v_cmpx_ne_u32_e64 s33, v22
	s_xor_b32 s37, exec_lo, s37
; %bb.20:                               ;   in Loop: Header=BB65_18 Depth=3
	v_add_nc_u32_e32 v12, 1, v12
	s_mov_b32 s36, -1
                                        ; implicit-def: $vgpr21
	s_delay_alu instid0(VALU_DEP_1)
	v_and_b32_e32 v12, 0x1ff, v12
; %bb.21:                               ;   in Loop: Header=BB65_18 Depth=3
	s_and_not1_saveexec_b32 s37, s37
	s_cbranch_execz .LBB65_29
; %bb.22:                               ;   in Loop: Header=BB65_18 Depth=3
	v_mov_b32_e32 v22, s33
	s_mov_b32 s39, -1
	s_mov_b32 s38, exec_lo
	ds_cmpstore_rtn_b32 v22, v21, v10, v22
	s_waitcnt lgkmcnt(0)
	v_cmpx_eq_u32_e64 s33, v22
	s_cbranch_execz .LBB65_28
; %bb.23:                               ;   in Loop: Header=BB65_18 Depth=3
	v_mul_lo_u32 v22, v12, 12
	s_mov_b32 s39, 0
	s_delay_alu instid0(VALU_DEP_1)
	v_add_nc_u32_e32 v28, v21, v22
	ds_load_b64 v[21:22], v28 offset:2048
.LBB65_24:                              ;   Parent Loop BB65_13 Depth=1
                                        ;     Parent Loop BB65_16 Depth=2
                                        ;       Parent Loop BB65_18 Depth=3
                                        ; =>      This Inner Loop Header: Depth=4
	s_waitcnt lgkmcnt(0)
	v_add_f64 v[29:30], v[21:22], v[17:18]
	ds_cmpstore_rtn_b64 v[29:30], v28, v[29:30], v[21:22] offset:2048
	s_waitcnt lgkmcnt(0)
	v_cmp_eq_u64_e32 vcc_lo, v[29:30], v[21:22]
	v_dual_mov_b32 v21, v29 :: v_dual_mov_b32 v22, v30
	s_or_b32 s39, vcc_lo, s39
	s_delay_alu instid0(SALU_CYCLE_1)
	s_and_not1_b32 exec_lo, exec_lo, s39
	s_cbranch_execnz .LBB65_24
; %bb.25:                               ;   in Loop: Header=BB65_18 Depth=3
	s_or_b32 exec_lo, exec_lo, s39
	ds_load_b64 v[21:22], v28 offset:2056
	s_mov_b32 s39, 0
.LBB65_26:                              ;   Parent Loop BB65_13 Depth=1
                                        ;     Parent Loop BB65_16 Depth=2
                                        ;       Parent Loop BB65_18 Depth=3
                                        ; =>      This Inner Loop Header: Depth=4
	s_waitcnt lgkmcnt(0)
	v_add_f64 v[29:30], v[21:22], v[19:20]
	ds_cmpstore_rtn_b64 v[29:30], v28, v[29:30], v[21:22] offset:2056
	s_waitcnt lgkmcnt(0)
	v_cmp_eq_u64_e32 vcc_lo, v[29:30], v[21:22]
	v_dual_mov_b32 v21, v29 :: v_dual_mov_b32 v22, v30
	s_or_b32 s39, vcc_lo, s39
	s_delay_alu instid0(SALU_CYCLE_1)
	s_and_not1_b32 exec_lo, exec_lo, s39
	s_cbranch_execnz .LBB65_26
; %bb.27:                               ;   in Loop: Header=BB65_18 Depth=3
	s_or_b32 exec_lo, exec_lo, s39
	s_delay_alu instid0(SALU_CYCLE_1)
	s_xor_b32 s39, exec_lo, -1
.LBB65_28:                              ;   in Loop: Header=BB65_18 Depth=3
	s_or_b32 exec_lo, exec_lo, s38
	s_delay_alu instid0(SALU_CYCLE_1) | instskip(SKIP_1) | instid1(SALU_CYCLE_1)
	s_and_not1_b32 s36, s36, exec_lo
	s_and_b32 s38, s39, exec_lo
	s_or_b32 s36, s36, s38
.LBB65_29:                              ;   in Loop: Header=BB65_18 Depth=3
	s_or_b32 exec_lo, exec_lo, s37
	s_delay_alu instid0(SALU_CYCLE_1)
	s_and_b32 s36, s36, exec_lo
                                        ; implicit-def: $vgpr21
.LBB65_30:                              ;   in Loop: Header=BB65_18 Depth=3
	s_and_not1_saveexec_b32 s35, s35
	s_cbranch_execz .LBB65_17
; %bb.31:                               ;   in Loop: Header=BB65_18 Depth=3
	v_mul_lo_u32 v22, v12, 12
	s_mov_b32 s37, 0
	s_delay_alu instid0(VALU_DEP_1)
	v_add_nc_u32_e32 v28, v21, v22
	ds_load_b64 v[21:22], v28 offset:2048
.LBB65_32:                              ;   Parent Loop BB65_13 Depth=1
                                        ;     Parent Loop BB65_16 Depth=2
                                        ;       Parent Loop BB65_18 Depth=3
                                        ; =>      This Inner Loop Header: Depth=4
	s_waitcnt lgkmcnt(0)
	v_add_f64 v[29:30], v[21:22], v[17:18]
	ds_cmpstore_rtn_b64 v[29:30], v28, v[29:30], v[21:22] offset:2048
	s_waitcnt lgkmcnt(0)
	v_cmp_eq_u64_e32 vcc_lo, v[29:30], v[21:22]
	v_dual_mov_b32 v21, v29 :: v_dual_mov_b32 v22, v30
	s_or_b32 s37, vcc_lo, s37
	s_delay_alu instid0(SALU_CYCLE_1)
	s_and_not1_b32 exec_lo, exec_lo, s37
	s_cbranch_execnz .LBB65_32
; %bb.33:                               ;   in Loop: Header=BB65_18 Depth=3
	s_or_b32 exec_lo, exec_lo, s37
	ds_load_b64 v[21:22], v28 offset:2056
	s_mov_b32 s37, 0
.LBB65_34:                              ;   Parent Loop BB65_13 Depth=1
                                        ;     Parent Loop BB65_16 Depth=2
                                        ;       Parent Loop BB65_18 Depth=3
                                        ; =>      This Inner Loop Header: Depth=4
	s_waitcnt lgkmcnt(0)
	v_add_f64 v[29:30], v[21:22], v[19:20]
	ds_cmpstore_rtn_b64 v[29:30], v28, v[29:30], v[21:22] offset:2056
	s_waitcnt lgkmcnt(0)
	v_cmp_eq_u64_e32 vcc_lo, v[29:30], v[21:22]
	v_dual_mov_b32 v21, v29 :: v_dual_mov_b32 v22, v30
	s_or_b32 s37, vcc_lo, s37
	s_delay_alu instid0(SALU_CYCLE_1)
	s_and_not1_b32 exec_lo, exec_lo, s37
	s_cbranch_execnz .LBB65_34
; %bb.35:                               ;   in Loop: Header=BB65_18 Depth=3
	s_or_b32 exec_lo, exec_lo, s37
	s_delay_alu instid0(SALU_CYCLE_1)
	s_and_not1_b32 s36, s36, exec_lo
	s_branch .LBB65_17
.LBB65_36:
	s_or_b32 exec_lo, exec_lo, s2
.LBB65_37:
	s_delay_alu instid0(SALU_CYCLE_1)
	s_and_not1_b32 vcc_lo, exec_lo, s34
	s_cbranch_vccnz .LBB65_62
; %bb.38:
	s_waitcnt lgkmcnt(0)
	s_ashr_i32 s15, s14, 31
	v_subrev_nc_u32_e32 v5, s27, v0
	s_lshl_b64 s[2:3], s[14:15], 2
	s_delay_alu instid0(SALU_CYCLE_1)
	s_add_u32 s2, s4, s2
	s_addc_u32 s3, s5, s3
	s_load_b64 s[2:3], s[2:3], 0x0
	s_waitcnt lgkmcnt(0)
	v_add_nc_u32_e32 v5, s2, v5
	s_sub_i32 s1, s3, s27
	s_mov_b32 s2, exec_lo
	s_delay_alu instid0(VALU_DEP_1)
	v_cmpx_gt_i32_e64 s1, v5
	s_cbranch_execz .LBB65_61
; %bb.39:
	s_mov_b32 s3, 0
	s_branch .LBB65_41
.LBB65_40:                              ;   in Loop: Header=BB65_41 Depth=1
	s_or_b32 exec_lo, exec_lo, s4
	v_add_nc_u32_e32 v5, 0x100, v5
	s_delay_alu instid0(VALU_DEP_1) | instskip(SKIP_1) | instid1(SALU_CYCLE_1)
	v_cmp_le_i32_e32 vcc_lo, s1, v5
	s_or_b32 s3, vcc_lo, s3
	s_and_not1_b32 exec_lo, exec_lo, s3
	s_cbranch_execz .LBB65_61
.LBB65_41:                              ; =>This Loop Header: Depth=1
                                        ;     Child Loop BB65_43 Depth 2
                                        ;       Child Loop BB65_49 Depth 3
                                        ;       Child Loop BB65_51 Depth 3
	;; [unrolled: 1-line block ×4, first 2 shown]
	v_ashrrev_i32_e32 v6, 31, v5
	s_mov_b32 s4, 0
	s_delay_alu instid0(VALU_DEP_1) | instskip(NEXT) | instid1(VALU_DEP_1)
	v_lshlrev_b64 v[7:8], 4, v[5:6]
	v_add_co_u32 v7, vcc_lo, s8, v7
	s_delay_alu instid0(VALU_DEP_2) | instskip(SKIP_2) | instid1(VALU_DEP_1)
	v_add_co_ci_u32_e32 v8, vcc_lo, s9, v8, vcc_lo
	global_load_b128 v[8:11], v[7:8], off
	v_lshlrev_b64 v[6:7], 2, v[5:6]
	v_add_co_u32 v6, vcc_lo, s6, v6
	s_delay_alu instid0(VALU_DEP_2)
	v_add_co_ci_u32_e32 v7, vcc_lo, s7, v7, vcc_lo
	global_load_b32 v12, v[6:7], off
	s_waitcnt vmcnt(1)
	v_mul_f64 v[6:7], v[10:11], -v[1:2]
	v_mul_f64 v[10:11], v[3:4], v[10:11]
	s_waitcnt vmcnt(0)
	v_subrev_nc_u32_e32 v12, s27, v12
	s_delay_alu instid0(VALU_DEP_3) | instskip(NEXT) | instid1(VALU_DEP_3)
	v_fma_f64 v[6:7], v[3:4], v[8:9], v[6:7]
	v_fma_f64 v[8:9], v[1:2], v[8:9], v[10:11]
	s_delay_alu instid0(VALU_DEP_3) | instskip(NEXT) | instid1(VALU_DEP_1)
	v_mul_lo_u32 v10, 0x89, v12
	v_and_b32_e32 v13, 0x1ff, v10
	s_branch .LBB65_43
.LBB65_42:                              ;   in Loop: Header=BB65_43 Depth=2
	s_or_b32 exec_lo, exec_lo, s5
	s_xor_b32 s5, s15, -1
	s_delay_alu instid0(SALU_CYCLE_1) | instskip(NEXT) | instid1(SALU_CYCLE_1)
	s_and_b32 s5, exec_lo, s5
	s_or_b32 s4, s5, s4
	s_delay_alu instid0(SALU_CYCLE_1)
	s_and_not1_b32 exec_lo, exec_lo, s4
	s_cbranch_execz .LBB65_40
.LBB65_43:                              ;   Parent Loop BB65_41 Depth=1
                                        ; =>  This Loop Header: Depth=2
                                        ;       Child Loop BB65_49 Depth 3
                                        ;       Child Loop BB65_51 Depth 3
	;; [unrolled: 1-line block ×4, first 2 shown]
	s_delay_alu instid0(VALU_DEP_1)
	v_lshl_add_u32 v10, v13, 2, 0
	s_mov_b32 s5, exec_lo
                                        ; implicit-def: $sgpr15
	ds_load_b32 v11, v10
	s_waitcnt lgkmcnt(0)
	v_cmpx_ne_u32_e64 v11, v12
	s_xor_b32 s5, exec_lo, s5
	s_cbranch_execz .LBB65_55
; %bb.44:                               ;   in Loop: Header=BB65_43 Depth=2
	s_mov_b32 s16, exec_lo
                                        ; implicit-def: $sgpr15
	v_cmpx_ne_u32_e64 s33, v11
	s_xor_b32 s16, exec_lo, s16
; %bb.45:                               ;   in Loop: Header=BB65_43 Depth=2
	v_add_nc_u32_e32 v10, 1, v13
	s_mov_b32 s15, -1
	s_delay_alu instid0(VALU_DEP_1)
	v_and_b32_e32 v13, 0x1ff, v10
                                        ; implicit-def: $vgpr10
; %bb.46:                               ;   in Loop: Header=BB65_43 Depth=2
	s_and_not1_saveexec_b32 s16, s16
	s_cbranch_execz .LBB65_54
; %bb.47:                               ;   in Loop: Header=BB65_43 Depth=2
	v_mov_b32_e32 v11, s33
	s_mov_b32 s18, -1
	s_mov_b32 s17, exec_lo
	ds_cmpstore_rtn_b32 v11, v10, v12, v11
	s_waitcnt lgkmcnt(0)
	v_cmpx_eq_u32_e64 s33, v11
	s_cbranch_execz .LBB65_53
; %bb.48:                               ;   in Loop: Header=BB65_43 Depth=2
	v_mul_lo_u32 v11, v13, 12
	s_mov_b32 s18, 0
	s_delay_alu instid0(VALU_DEP_1)
	v_add_nc_u32_e32 v14, v10, v11
	ds_load_b64 v[10:11], v14 offset:2048
.LBB65_49:                              ;   Parent Loop BB65_41 Depth=1
                                        ;     Parent Loop BB65_43 Depth=2
                                        ; =>    This Inner Loop Header: Depth=3
	s_waitcnt lgkmcnt(0)
	v_add_f64 v[15:16], v[10:11], v[6:7]
	ds_cmpstore_rtn_b64 v[15:16], v14, v[15:16], v[10:11] offset:2048
	s_waitcnt lgkmcnt(0)
	v_cmp_eq_u64_e32 vcc_lo, v[15:16], v[10:11]
	v_dual_mov_b32 v10, v15 :: v_dual_mov_b32 v11, v16
	s_or_b32 s18, vcc_lo, s18
	s_delay_alu instid0(SALU_CYCLE_1)
	s_and_not1_b32 exec_lo, exec_lo, s18
	s_cbranch_execnz .LBB65_49
; %bb.50:                               ;   in Loop: Header=BB65_43 Depth=2
	s_or_b32 exec_lo, exec_lo, s18
	ds_load_b64 v[10:11], v14 offset:2056
	s_mov_b32 s18, 0
.LBB65_51:                              ;   Parent Loop BB65_41 Depth=1
                                        ;     Parent Loop BB65_43 Depth=2
                                        ; =>    This Inner Loop Header: Depth=3
	s_waitcnt lgkmcnt(0)
	v_add_f64 v[15:16], v[10:11], v[8:9]
	ds_cmpstore_rtn_b64 v[15:16], v14, v[15:16], v[10:11] offset:2056
	s_waitcnt lgkmcnt(0)
	v_cmp_eq_u64_e32 vcc_lo, v[15:16], v[10:11]
	v_dual_mov_b32 v10, v15 :: v_dual_mov_b32 v11, v16
	s_or_b32 s18, vcc_lo, s18
	s_delay_alu instid0(SALU_CYCLE_1)
	s_and_not1_b32 exec_lo, exec_lo, s18
	s_cbranch_execnz .LBB65_51
; %bb.52:                               ;   in Loop: Header=BB65_43 Depth=2
	s_or_b32 exec_lo, exec_lo, s18
	s_delay_alu instid0(SALU_CYCLE_1)
	s_xor_b32 s18, exec_lo, -1
.LBB65_53:                              ;   in Loop: Header=BB65_43 Depth=2
	s_or_b32 exec_lo, exec_lo, s17
	s_delay_alu instid0(SALU_CYCLE_1) | instskip(SKIP_1) | instid1(SALU_CYCLE_1)
	s_and_not1_b32 s15, s15, exec_lo
	s_and_b32 s17, s18, exec_lo
	s_or_b32 s15, s15, s17
.LBB65_54:                              ;   in Loop: Header=BB65_43 Depth=2
	s_or_b32 exec_lo, exec_lo, s16
	s_delay_alu instid0(SALU_CYCLE_1)
	s_and_b32 s15, s15, exec_lo
                                        ; implicit-def: $vgpr10
.LBB65_55:                              ;   in Loop: Header=BB65_43 Depth=2
	s_and_not1_saveexec_b32 s5, s5
	s_cbranch_execz .LBB65_42
; %bb.56:                               ;   in Loop: Header=BB65_43 Depth=2
	v_mul_lo_u32 v11, v13, 12
	s_mov_b32 s16, 0
	s_delay_alu instid0(VALU_DEP_1)
	v_add_nc_u32_e32 v14, v10, v11
	ds_load_b64 v[10:11], v14 offset:2048
.LBB65_57:                              ;   Parent Loop BB65_41 Depth=1
                                        ;     Parent Loop BB65_43 Depth=2
                                        ; =>    This Inner Loop Header: Depth=3
	s_waitcnt lgkmcnt(0)
	v_add_f64 v[15:16], v[10:11], v[6:7]
	ds_cmpstore_rtn_b64 v[15:16], v14, v[15:16], v[10:11] offset:2048
	s_waitcnt lgkmcnt(0)
	v_cmp_eq_u64_e32 vcc_lo, v[15:16], v[10:11]
	v_dual_mov_b32 v10, v15 :: v_dual_mov_b32 v11, v16
	s_or_b32 s16, vcc_lo, s16
	s_delay_alu instid0(SALU_CYCLE_1)
	s_and_not1_b32 exec_lo, exec_lo, s16
	s_cbranch_execnz .LBB65_57
; %bb.58:                               ;   in Loop: Header=BB65_43 Depth=2
	s_or_b32 exec_lo, exec_lo, s16
	ds_load_b64 v[10:11], v14 offset:2056
	s_mov_b32 s16, 0
.LBB65_59:                              ;   Parent Loop BB65_41 Depth=1
                                        ;     Parent Loop BB65_43 Depth=2
                                        ; =>    This Inner Loop Header: Depth=3
	s_waitcnt lgkmcnt(0)
	v_add_f64 v[15:16], v[10:11], v[8:9]
	ds_cmpstore_rtn_b64 v[15:16], v14, v[15:16], v[10:11] offset:2056
	s_waitcnt lgkmcnt(0)
	v_cmp_eq_u64_e32 vcc_lo, v[15:16], v[10:11]
	v_dual_mov_b32 v10, v15 :: v_dual_mov_b32 v11, v16
	s_or_b32 s16, vcc_lo, s16
	s_delay_alu instid0(SALU_CYCLE_1)
	s_and_not1_b32 exec_lo, exec_lo, s16
	s_cbranch_execnz .LBB65_59
; %bb.60:                               ;   in Loop: Header=BB65_43 Depth=2
	s_or_b32 exec_lo, exec_lo, s16
	s_delay_alu instid0(SALU_CYCLE_1)
	s_and_not1_b32 s15, s15, exec_lo
	s_branch .LBB65_42
.LBB65_61:
	s_or_b32 exec_lo, exec_lo, s2
.LBB65_62:
	s_waitcnt lgkmcnt(0)
	s_barrier
	buffer_gl0_inv
	s_and_saveexec_b32 s4, s0
	s_cbranch_execz .LBB65_75
; %bb.63:
	v_mbcnt_lo_u32_b32 v1, -1, 0
	v_lshrrev_b32_e32 v2, 4, v0
	v_cmp_eq_u32_e32 vcc_lo, 0xff, v0
	v_cmp_lt_u32_e64 s0, 63, v0
	v_cmp_lt_u32_e64 s1, 0x7f, v0
	v_xor_b32_e32 v1, 63, v1
	v_dual_mov_b32 v5, 0 :: v_dual_and_b32 v4, 12, v2
	v_cmp_lt_u32_e64 s2, 0xbf, v0
	v_add3_u32 v3, v25, 0, 0x800
	s_delay_alu instid0(VALU_DEP_4) | instskip(NEXT) | instid1(VALU_DEP_4)
	v_lshrrev_b64 v[1:2], v1, -1
	v_add_nc_u32_e32 v2, 0, v4
	v_mov_b32_e32 v4, 0
	s_mov_b32 s5, 0
	s_branch .LBB65_65
.LBB65_64:                              ;   in Loop: Header=BB65_65 Depth=1
	s_or_b32 exec_lo, exec_lo, s3
	s_waitcnt lgkmcnt(0)
	s_barrier
	buffer_gl0_inv
	ds_load_b32 v6, v4 offset:10252
	v_add_co_u32 v23, s3, 0x100, v23
	s_delay_alu instid0(VALU_DEP_1) | instskip(SKIP_3) | instid1(SALU_CYCLE_1)
	s_xor_b32 s3, s3, -1
	v_add_nc_u32_e32 v3, 0x1000, v3
	v_add_nc_u32_e32 v24, 0x400, v24
	s_and_b32 s3, exec_lo, s3
	s_or_b32 s5, s3, s5
	s_waitcnt lgkmcnt(0)
	v_add_nc_u32_e32 v5, v6, v5
	s_and_not1_b32 exec_lo, exec_lo, s5
	s_cbranch_execz .LBB65_75
.LBB65_65:                              ; =>This Inner Loop Header: Depth=1
	ds_load_b32 v6, v24
	ds_load_2addr_b64 v[7:10], v3 offset1:1
	s_waitcnt lgkmcnt(1)
	v_cmp_gt_i32_e64 s3, s33, v6
	s_waitcnt lgkmcnt(0)
	scratch_store_b128 off, v[7:10], off
	s_waitcnt_vscnt null, 0x0
	s_barrier
	buffer_gl0_inv
	s_bcnt1_i32_b32 s6, s3
	s_delay_alu instid0(SALU_CYCLE_1) | instskip(NEXT) | instid1(VALU_DEP_1)
	v_dual_mov_b32 v8, s6 :: v_dual_and_b32 v7, s3, v1
	v_bcnt_u32_b32 v7, v7, 0
	ds_store_b32 v2, v8 offset:10240
	s_waitcnt lgkmcnt(0)
	s_barrier
	buffer_gl0_inv
	s_and_saveexec_b32 s6, s0
	s_cbranch_execnz .LBB65_70
; %bb.66:                               ;   in Loop: Header=BB65_65 Depth=1
	s_or_b32 exec_lo, exec_lo, s6
	s_and_saveexec_b32 s6, s1
	s_cbranch_execnz .LBB65_71
.LBB65_67:                              ;   in Loop: Header=BB65_65 Depth=1
	s_or_b32 exec_lo, exec_lo, s6
	s_and_saveexec_b32 s6, s2
	s_cbranch_execnz .LBB65_72
.LBB65_68:                              ;   in Loop: Header=BB65_65 Depth=1
	s_or_b32 exec_lo, exec_lo, s6
	s_and_saveexec_b32 s6, s3
	s_cbranch_execnz .LBB65_73
.LBB65_69:                              ;   in Loop: Header=BB65_65 Depth=1
	s_or_b32 exec_lo, exec_lo, s6
	s_and_saveexec_b32 s3, vcc_lo
	s_cbranch_execz .LBB65_64
	s_branch .LBB65_74
.LBB65_70:                              ;   in Loop: Header=BB65_65 Depth=1
	ds_load_b32 v8, v4 offset:10240
	s_waitcnt lgkmcnt(0)
	v_add_nc_u32_e32 v7, v8, v7
	s_or_b32 exec_lo, exec_lo, s6
	s_and_saveexec_b32 s6, s1
	s_cbranch_execz .LBB65_67
.LBB65_71:                              ;   in Loop: Header=BB65_65 Depth=1
	ds_load_b32 v8, v4 offset:10244
	s_waitcnt lgkmcnt(0)
	v_add_nc_u32_e32 v7, v8, v7
	s_or_b32 exec_lo, exec_lo, s6
	s_and_saveexec_b32 s6, s2
	s_cbranch_execz .LBB65_68
.LBB65_72:                              ;   in Loop: Header=BB65_65 Depth=1
	ds_load_b32 v8, v4 offset:10248
	s_waitcnt lgkmcnt(0)
	v_add_nc_u32_e32 v7, v8, v7
	s_or_b32 exec_lo, exec_lo, s6
	s_and_saveexec_b32 s6, s3
	s_cbranch_execz .LBB65_69
.LBB65_73:                              ;   in Loop: Header=BB65_65 Depth=1
	scratch_load_b128 v[8:11], off, off
	v_add3_u32 v12, v5, -1, v7
	s_delay_alu instid0(VALU_DEP_1) | instskip(SKIP_1) | instid1(VALU_DEP_2)
	v_lshlrev_b32_e32 v13, 4, v12
	v_lshl_add_u32 v12, v12, 2, 0
	v_add3_u32 v13, 0, v13, 0x800
	ds_store_b32 v12, v6
	s_waitcnt vmcnt(0)
	ds_store_2addr_b64 v13, v[8:9], v[10:11] offset1:1
	s_or_b32 exec_lo, exec_lo, s6
	s_and_saveexec_b32 s3, vcc_lo
	s_cbranch_execz .LBB65_64
.LBB65_74:                              ;   in Loop: Header=BB65_65 Depth=1
	ds_store_b32 v4, v7 offset:10252
	s_branch .LBB65_64
.LBB65_75:
	s_or_b32 exec_lo, exec_lo, s4
	s_ashr_i32 s15, s14, 31
	s_mov_b32 s3, exec_lo
	s_lshl_b64 s[0:1], s[14:15], 2
	s_delay_alu instid0(SALU_CYCLE_1) | instskip(SKIP_4) | instid1(SALU_CYCLE_1)
	s_add_u32 s0, s10, s0
	s_addc_u32 s1, s11, s1
	s_load_b64 s[0:1], s[0:1], 0x0
	s_waitcnt lgkmcnt(0)
	s_sub_i32 s2, s1, s0
	v_cmpx_gt_i32_e64 s2, v0
	s_cbranch_execz .LBB65_85
; %bb.76:
	s_sub_i32 s3, s0, s26
	s_sub_i32 s0, s0, s1
	s_and_b32 s1, s2, 7
	s_cmp_lt_u32 s0, -7
	s_mov_b32 s7, 0
	s_cselect_b32 s4, -1, 0
	s_and_b32 s5, s2, -8
	s_cmp_lg_u32 s1, 0
	s_cselect_b32 s6, -1, 0
	s_branch .LBB65_78
.LBB65_77:                              ;   in Loop: Header=BB65_78 Depth=1
	s_waitcnt lgkmcnt(0)
	v_mul_lo_u32 v3, v0, 12
	v_add_nc_u32_e32 v0, 0x100, v0
	s_delay_alu instid0(VALU_DEP_1) | instskip(NEXT) | instid1(VALU_DEP_3)
	v_cmp_le_i32_e32 vcc_lo, s2, v0
	v_add3_u32 v2, v2, v3, 0x800
	s_or_b32 s7, vcc_lo, s7
	ds_load_2addr_b64 v[3:6], v2 offset1:1
	v_ashrrev_i32_e32 v2, 31, v1
	s_delay_alu instid0(VALU_DEP_1) | instskip(NEXT) | instid1(VALU_DEP_1)
	v_lshlrev_b64 v[1:2], 4, v[1:2]
	v_add_co_u32 v1, s0, s12, v1
	s_delay_alu instid0(VALU_DEP_1)
	v_add_co_ci_u32_e64 v2, s0, s13, v2, s0
	s_waitcnt lgkmcnt(0)
	global_store_b128 v[1:2], v[3:6], off
	s_and_not1_b32 exec_lo, exec_lo, s7
	s_cbranch_execz .LBB65_85
.LBB65_78:                              ; =>This Loop Header: Depth=1
                                        ;     Child Loop BB65_80 Depth 2
                                        ;     Child Loop BB65_84 Depth 2
	v_lshl_add_u32 v2, v0, 2, 0
	v_mov_b32_e32 v1, s3
	s_and_not1_b32 vcc_lo, exec_lo, s4
	s_mov_b32 s0, 0
	ds_load_b32 v3, v2
	s_cbranch_vccnz .LBB65_82
; %bb.79:                               ;   in Loop: Header=BB65_78 Depth=1
	v_mov_b32_e32 v1, s3
	s_mov_b32 s8, 0
	s_set_inst_prefetch_distance 0x1
	.p2align	6
.LBB65_80:                              ;   Parent Loop BB65_78 Depth=1
                                        ; =>  This Inner Loop Header: Depth=2
	v_mov_b32_e32 v10, s8
	s_add_i32 s0, s0, 8
	s_add_i32 s8, s8, 32
	s_cmp_eq_u32 s5, s0
	ds_load_2addr_b32 v[4:5], v10 offset1:1
	ds_load_2addr_b32 v[6:7], v10 offset0:2 offset1:3
	ds_load_2addr_b32 v[8:9], v10 offset0:4 offset1:5
	ds_load_2addr_b32 v[10:11], v10 offset0:6 offset1:7
	s_waitcnt lgkmcnt(3)
	v_cmp_gt_i32_e32 vcc_lo, v3, v4
	v_cndmask_b32_e64 v4, 0, 1, vcc_lo
	s_waitcnt lgkmcnt(2)
	v_cmp_gt_i32_e32 vcc_lo, v3, v6
	v_cndmask_b32_e64 v6, 0, 1, vcc_lo
	v_cmp_gt_i32_e32 vcc_lo, v3, v5
	v_add_co_ci_u32_e32 v1, vcc_lo, v1, v4, vcc_lo
	s_waitcnt lgkmcnt(1)
	v_cmp_gt_i32_e32 vcc_lo, v3, v8
	v_cndmask_b32_e64 v4, 0, 1, vcc_lo
	v_cmp_gt_i32_e32 vcc_lo, v3, v7
	v_add_co_ci_u32_e32 v1, vcc_lo, v1, v6, vcc_lo
	s_waitcnt lgkmcnt(0)
	v_cmp_gt_i32_e32 vcc_lo, v3, v10
	v_cndmask_b32_e64 v5, 0, 1, vcc_lo
	v_cmp_gt_i32_e32 vcc_lo, v3, v9
	v_add_co_ci_u32_e32 v1, vcc_lo, v1, v4, vcc_lo
	v_cmp_gt_i32_e32 vcc_lo, v3, v11
	s_delay_alu instid0(VALU_DEP_2)
	v_add_co_ci_u32_e32 v1, vcc_lo, v1, v5, vcc_lo
	s_cbranch_scc0 .LBB65_80
; %bb.81:                               ;   in Loop: Header=BB65_78 Depth=1
	s_set_inst_prefetch_distance 0x2
	s_mov_b32 s0, s5
.LBB65_82:                              ;   in Loop: Header=BB65_78 Depth=1
	s_and_not1_b32 vcc_lo, exec_lo, s6
	s_cbranch_vccnz .LBB65_77
; %bb.83:                               ;   in Loop: Header=BB65_78 Depth=1
	s_lshl_b32 s0, s0, 2
	s_mov_b32 s8, s1
	s_add_i32 s0, s0, 0
.LBB65_84:                              ;   Parent Loop BB65_78 Depth=1
                                        ; =>  This Inner Loop Header: Depth=2
	s_delay_alu instid0(SALU_CYCLE_1)
	v_mov_b32_e32 v4, s0
	s_add_i32 s8, s8, -1
	s_add_i32 s0, s0, 4
	s_cmp_lg_u32 s8, 0
	ds_load_b32 v4, v4
	s_waitcnt lgkmcnt(0)
	v_cmp_gt_i32_e32 vcc_lo, v3, v4
	v_add_co_ci_u32_e32 v1, vcc_lo, 0, v1, vcc_lo
	s_cbranch_scc1 .LBB65_84
	s_branch .LBB65_77
.LBB65_85:
	s_nop 0
	s_sendmsg sendmsg(MSG_DEALLOC_VGPRS)
	s_endpgm
	.section	.rodata,"a",@progbits
	.p2align	6, 0x0
	.amdhsa_kernel _ZN9rocsparseL41csrgemm_numeric_fill_block_per_row_kernelILj256ELj32ELj512ELj137ELj64Eii21rocsparse_complex_numIdEEEvT5_PKS3_S5_NS_24const_host_device_scalarIT6_EEPKT4_S5_PKS7_SB_S5_SD_S8_SB_S5_SD_SB_S5_PS7_21rocsparse_index_base_SF_SF_SF_bbb
		.amdhsa_group_segment_fixed_size 0
		.amdhsa_private_segment_fixed_size 40
		.amdhsa_kernarg_size 172
		.amdhsa_user_sgpr_count 15
		.amdhsa_user_sgpr_dispatch_ptr 0
		.amdhsa_user_sgpr_queue_ptr 0
		.amdhsa_user_sgpr_kernarg_segment_ptr 1
		.amdhsa_user_sgpr_dispatch_id 0
		.amdhsa_user_sgpr_private_segment_size 0
		.amdhsa_wavefront_size32 1
		.amdhsa_uses_dynamic_stack 0
		.amdhsa_enable_private_segment 1
		.amdhsa_system_sgpr_workgroup_id_x 1
		.amdhsa_system_sgpr_workgroup_id_y 0
		.amdhsa_system_sgpr_workgroup_id_z 0
		.amdhsa_system_sgpr_workgroup_info 0
		.amdhsa_system_vgpr_workitem_id 0
		.amdhsa_next_free_vgpr 31
		.amdhsa_next_free_sgpr 42
		.amdhsa_reserve_vcc 1
		.amdhsa_float_round_mode_32 0
		.amdhsa_float_round_mode_16_64 0
		.amdhsa_float_denorm_mode_32 3
		.amdhsa_float_denorm_mode_16_64 3
		.amdhsa_dx10_clamp 1
		.amdhsa_ieee_mode 1
		.amdhsa_fp16_overflow 0
		.amdhsa_workgroup_processor_mode 1
		.amdhsa_memory_ordered 1
		.amdhsa_forward_progress 0
		.amdhsa_shared_vgpr_count 0
		.amdhsa_exception_fp_ieee_invalid_op 0
		.amdhsa_exception_fp_denorm_src 0
		.amdhsa_exception_fp_ieee_div_zero 0
		.amdhsa_exception_fp_ieee_overflow 0
		.amdhsa_exception_fp_ieee_underflow 0
		.amdhsa_exception_fp_ieee_inexact 0
		.amdhsa_exception_int_div_zero 0
	.end_amdhsa_kernel
	.section	.text._ZN9rocsparseL41csrgemm_numeric_fill_block_per_row_kernelILj256ELj32ELj512ELj137ELj64Eii21rocsparse_complex_numIdEEEvT5_PKS3_S5_NS_24const_host_device_scalarIT6_EEPKT4_S5_PKS7_SB_S5_SD_S8_SB_S5_SD_SB_S5_PS7_21rocsparse_index_base_SF_SF_SF_bbb,"axG",@progbits,_ZN9rocsparseL41csrgemm_numeric_fill_block_per_row_kernelILj256ELj32ELj512ELj137ELj64Eii21rocsparse_complex_numIdEEEvT5_PKS3_S5_NS_24const_host_device_scalarIT6_EEPKT4_S5_PKS7_SB_S5_SD_S8_SB_S5_SD_SB_S5_PS7_21rocsparse_index_base_SF_SF_SF_bbb,comdat
.Lfunc_end65:
	.size	_ZN9rocsparseL41csrgemm_numeric_fill_block_per_row_kernelILj256ELj32ELj512ELj137ELj64Eii21rocsparse_complex_numIdEEEvT5_PKS3_S5_NS_24const_host_device_scalarIT6_EEPKT4_S5_PKS7_SB_S5_SD_S8_SB_S5_SD_SB_S5_PS7_21rocsparse_index_base_SF_SF_SF_bbb, .Lfunc_end65-_ZN9rocsparseL41csrgemm_numeric_fill_block_per_row_kernelILj256ELj32ELj512ELj137ELj64Eii21rocsparse_complex_numIdEEEvT5_PKS3_S5_NS_24const_host_device_scalarIT6_EEPKT4_S5_PKS7_SB_S5_SD_S8_SB_S5_SD_SB_S5_PS7_21rocsparse_index_base_SF_SF_SF_bbb
                                        ; -- End function
	.section	.AMDGPU.csdata,"",@progbits
; Kernel info:
; codeLenInByte = 3484
; NumSgprs: 44
; NumVgprs: 31
; ScratchSize: 40
; MemoryBound: 0
; FloatMode: 240
; IeeeMode: 1
; LDSByteSize: 0 bytes/workgroup (compile time only)
; SGPRBlocks: 5
; VGPRBlocks: 3
; NumSGPRsForWavesPerEU: 44
; NumVGPRsForWavesPerEU: 31
; Occupancy: 16
; WaveLimiterHint : 1
; COMPUTE_PGM_RSRC2:SCRATCH_EN: 1
; COMPUTE_PGM_RSRC2:USER_SGPR: 15
; COMPUTE_PGM_RSRC2:TRAP_HANDLER: 0
; COMPUTE_PGM_RSRC2:TGID_X_EN: 1
; COMPUTE_PGM_RSRC2:TGID_Y_EN: 0
; COMPUTE_PGM_RSRC2:TGID_Z_EN: 0
; COMPUTE_PGM_RSRC2:TIDIG_COMP_CNT: 0
	.section	.text._ZN9rocsparseL41csrgemm_numeric_fill_block_per_row_kernelILj512ELj32ELj1024ELj137ELj32Eii21rocsparse_complex_numIdEEEvT5_PKS3_S5_NS_24const_host_device_scalarIT6_EEPKT4_S5_PKS7_SB_S5_SD_S8_SB_S5_SD_SB_S5_PS7_21rocsparse_index_base_SF_SF_SF_bbb,"axG",@progbits,_ZN9rocsparseL41csrgemm_numeric_fill_block_per_row_kernelILj512ELj32ELj1024ELj137ELj32Eii21rocsparse_complex_numIdEEEvT5_PKS3_S5_NS_24const_host_device_scalarIT6_EEPKT4_S5_PKS7_SB_S5_SD_S8_SB_S5_SD_SB_S5_PS7_21rocsparse_index_base_SF_SF_SF_bbb,comdat
	.globl	_ZN9rocsparseL41csrgemm_numeric_fill_block_per_row_kernelILj512ELj32ELj1024ELj137ELj32Eii21rocsparse_complex_numIdEEEvT5_PKS3_S5_NS_24const_host_device_scalarIT6_EEPKT4_S5_PKS7_SB_S5_SD_S8_SB_S5_SD_SB_S5_PS7_21rocsparse_index_base_SF_SF_SF_bbb ; -- Begin function _ZN9rocsparseL41csrgemm_numeric_fill_block_per_row_kernelILj512ELj32ELj1024ELj137ELj32Eii21rocsparse_complex_numIdEEEvT5_PKS3_S5_NS_24const_host_device_scalarIT6_EEPKT4_S5_PKS7_SB_S5_SD_S8_SB_S5_SD_SB_S5_PS7_21rocsparse_index_base_SF_SF_SF_bbb
	.p2align	8
	.type	_ZN9rocsparseL41csrgemm_numeric_fill_block_per_row_kernelILj512ELj32ELj1024ELj137ELj32Eii21rocsparse_complex_numIdEEEvT5_PKS3_S5_NS_24const_host_device_scalarIT6_EEPKT4_S5_PKS7_SB_S5_SD_S8_SB_S5_SD_SB_S5_PS7_21rocsparse_index_base_SF_SF_SF_bbb,@function
_ZN9rocsparseL41csrgemm_numeric_fill_block_per_row_kernelILj512ELj32ELj1024ELj137ELj32Eii21rocsparse_complex_numIdEEEvT5_PKS3_S5_NS_24const_host_device_scalarIT6_EEPKT4_S5_PKS7_SB_S5_SD_S8_SB_S5_SD_SB_S5_PS7_21rocsparse_index_base_SF_SF_SF_bbb: ; @_ZN9rocsparseL41csrgemm_numeric_fill_block_per_row_kernelILj512ELj32ELj1024ELj137ELj32Eii21rocsparse_complex_numIdEEEvT5_PKS3_S5_NS_24const_host_device_scalarIT6_EEPKT4_S5_PKS7_SB_S5_SD_S8_SB_S5_SD_SB_S5_PS7_21rocsparse_index_base_SF_SF_SF_bbb
; %bb.0:
	s_clause 0x3
	s_load_b32 s14, s[0:1], 0xa8
	s_load_b128 s[4:7], s[0:1], 0x18
	s_load_b128 s[36:39], s[0:1], 0x58
	;; [unrolled: 1-line block ×3, first 2 shown]
	v_mov_b32_e32 v1, 0
	v_mov_b32_e32 v2, 0
	s_waitcnt lgkmcnt(0)
	s_bitcmp1_b32 s14, 0
	v_mov_b32_e32 v3, s4
	s_cselect_b32 s12, -1, 0
	s_bitcmp1_b32 s14, 16
	v_dual_mov_b32 v6, v2 :: v_dual_mov_b32 v5, v1
	s_cselect_b32 s2, -1, 0
	v_mov_b32_e32 v4, s5
	s_xor_b32 s13, s2, -1
	v_dual_mov_b32 v9, s36 :: v_dual_mov_b32 v10, s37
	v_cndmask_b32_e64 v7, 0, 1, s13
	s_bitcmp0_b32 s14, 0
	s_clause 0x1
	scratch_store_b64 off, v[3:4], off offset:16
	scratch_store_b64 off, v[9:10], off offset:24
	v_cmp_ne_u32_e32 vcc_lo, 1, v7
	v_dual_mov_b32 v8, v2 :: v_dual_mov_b32 v7, v1
	s_cbranch_scc1 .LBB66_3
; %bb.1:
	s_mov_b64 s[8:9], src_private_base
	s_and_b32 s3, s2, exec_lo
	s_cselect_b32 s3, s9, s5
	s_delay_alu instid0(SALU_CYCLE_1) | instskip(SKIP_2) | instid1(VALU_DEP_2)
	v_dual_mov_b32 v3, 16 :: v_dual_mov_b32 v4, s3
	v_dual_mov_b32 v8, s7 :: v_dual_mov_b32 v7, s6
	s_and_b32 vcc_lo, exec_lo, vcc_lo
	v_cndmask_b32_e64 v3, s4, v3, s2
	flat_load_b64 v[5:6], v[3:4]
	s_cbranch_vccnz .LBB66_3
; %bb.2:
	v_dual_mov_b32 v3, s4 :: v_dual_mov_b32 v4, s5
	flat_load_b64 v[7:8], v[3:4] offset:8
.LBB66_3:
	s_clause 0x4
	s_load_b64 s[34:35], s[0:1], 0x90
	s_load_b256 s[16:23], s[0:1], 0x68
	s_load_b128 s[28:31], s[0:1], 0x48
	s_load_b128 s[40:43], s[0:1], 0x8
	s_load_b256 s[4:11], s[0:1], 0x28
	s_bitcmp1_b32 s14, 8
	v_dual_mov_b32 v4, v2 :: v_dual_mov_b32 v3, v1
	s_cselect_b32 s3, -1, 0
	s_bfe_u32 s14, s14, 0x10008
	s_delay_alu instid0(SALU_CYCLE_1)
	s_cmp_eq_u32 s14, 0
	s_cbranch_scc1 .LBB66_6
; %bb.4:
	s_mov_b64 s[44:45], src_private_base
	s_and_b32 s14, s2, exec_lo
	s_cselect_b32 s14, s45, s37
	s_delay_alu instid0(SALU_CYCLE_1) | instskip(SKIP_1) | instid1(VALU_DEP_1)
	v_dual_mov_b32 v1, 24 :: v_dual_mov_b32 v2, s14
	s_and_not1_b32 vcc_lo, exec_lo, s13
	v_cndmask_b32_e64 v1, s36, v1, s2
	flat_load_b64 v[3:4], v[1:2]
	v_dual_mov_b32 v1, s38 :: v_dual_mov_b32 v2, s39
	s_cbranch_vccnz .LBB66_6
; %bb.5:
	v_dual_mov_b32 v1, s36 :: v_dual_mov_b32 v2, s37
	flat_load_b64 v[1:2], v[1:2] offset:8
.LBB66_6:
	s_load_b32 s33, s[0:1], 0x0
	s_mov_b32 s0, 0
	v_or_b32_e32 v23, 0xfffffe00, v0
	s_mov_b32 s1, s0
	s_delay_alu instid0(SALU_CYCLE_1) | instskip(SKIP_3) | instid1(VALU_DEP_2)
	v_dual_mov_b32 v10, s1 :: v_dual_lshlrev_b32 v11, 4, v0
	v_lshl_add_u32 v24, v0, 2, 0
	s_mov_b32 s36, s0
	s_mov_b32 s37, s0
	v_add3_u32 v25, v11, 0, 0x1000
	v_dual_mov_b32 v11, s36 :: v_dual_mov_b32 v14, v23
	v_dual_mov_b32 v9, s0 :: v_dual_mov_b32 v12, s37
	s_delay_alu instid0(VALU_DEP_3)
	v_dual_mov_b32 v13, v24 :: v_dual_mov_b32 v16, v25
	s_waitcnt lgkmcnt(0)
	v_mov_b32_e32 v15, s33
.LBB66_7:                               ; =>This Inner Loop Header: Depth=1
	v_add_co_u32 v14, s1, 0x200, v14
	s_delay_alu instid0(VALU_DEP_1)
	s_xor_b32 s1, s1, -1
	ds_store_b32 v13, v15
	ds_store_2addr_b64 v16, v[9:10], v[11:12] offset1:1
	v_add_nc_u32_e32 v16, 0x2000, v16
	v_add_nc_u32_e32 v13, 0x800, v13
	s_and_b32 s1, exec_lo, s1
	s_delay_alu instid0(SALU_CYCLE_1) | instskip(NEXT) | instid1(SALU_CYCLE_1)
	s_or_b32 s0, s1, s0
	s_and_not1_b32 exec_lo, exec_lo, s0
	s_cbranch_execnz .LBB66_7
; %bb.8:
	s_or_b32 exec_lo, exec_lo, s0
	s_waitcnt vmcnt(0) lgkmcnt(0)
	s_waitcnt_vscnt null, 0x0
	s_barrier
	buffer_gl0_inv
	s_load_b32 s0, s[40:41], 0x0
	s_mov_b32 s1, 0
	v_lshrrev_b32_e32 v26, 5, v0
	s_waitcnt lgkmcnt(0)
	s_add_i32 s0, s0, s15
	s_delay_alu instid0(SALU_CYCLE_1) | instskip(NEXT) | instid1(SALU_CYCLE_1)
	s_lshl_b64 s[0:1], s[0:1], 2
	s_add_u32 s0, s42, s0
	s_addc_u32 s1, s43, s1
	s_and_b32 vcc_lo, exec_lo, s12
	s_load_b32 s36, s[0:1], 0x0
	s_cbranch_vccz .LBB66_36
; %bb.9:
	s_waitcnt lgkmcnt(0)
	s_ashr_i32 s37, s36, 31
	v_subrev_nc_u32_e32 v9, s24, v26
	s_lshl_b64 s[0:1], s[36:37], 2
	s_delay_alu instid0(SALU_CYCLE_1)
	s_add_u32 s0, s4, s0
	s_addc_u32 s1, s5, s1
	s_load_b64 s[0:1], s[0:1], 0x0
	s_waitcnt lgkmcnt(0)
	v_add_nc_u32_e32 v9, s0, v9
	s_sub_i32 s0, s1, s24
	s_mov_b32 s1, exec_lo
	s_delay_alu instid0(VALU_DEP_1)
	v_cmpx_gt_i32_e64 s0, v9
	s_cbranch_execz .LBB66_35
; %bb.10:
	v_and_b32_e32 v10, 31, v0
	s_mov_b32 s2, 0
	s_delay_alu instid0(VALU_DEP_1)
	v_subrev_nc_u32_e32 v27, s25, v10
	s_branch .LBB66_12
.LBB66_11:                              ;   in Loop: Header=BB66_12 Depth=1
	s_or_b32 exec_lo, exec_lo, s4
	v_add_nc_u32_e32 v9, 16, v9
	s_delay_alu instid0(VALU_DEP_1) | instskip(SKIP_1) | instid1(SALU_CYCLE_1)
	v_cmp_le_i32_e32 vcc_lo, s0, v9
	s_or_b32 s2, vcc_lo, s2
	s_and_not1_b32 exec_lo, exec_lo, s2
	s_cbranch_execz .LBB66_35
.LBB66_12:                              ; =>This Loop Header: Depth=1
                                        ;     Child Loop BB66_15 Depth 2
                                        ;       Child Loop BB66_17 Depth 3
                                        ;         Child Loop BB66_23 Depth 4
                                        ;         Child Loop BB66_25 Depth 4
	;; [unrolled: 1-line block ×4, first 2 shown]
	v_ashrrev_i32_e32 v10, 31, v9
	s_mov_b32 s4, exec_lo
	s_delay_alu instid0(VALU_DEP_1) | instskip(NEXT) | instid1(VALU_DEP_1)
	v_lshlrev_b64 v[11:12], 2, v[9:10]
	v_add_co_u32 v11, vcc_lo, s6, v11
	s_delay_alu instid0(VALU_DEP_2) | instskip(SKIP_3) | instid1(VALU_DEP_1)
	v_add_co_ci_u32_e32 v12, vcc_lo, s7, v12, vcc_lo
	global_load_b32 v11, v[11:12], off
	s_waitcnt vmcnt(0)
	v_subrev_nc_u32_e32 v11, s24, v11
	v_ashrrev_i32_e32 v12, 31, v11
	s_delay_alu instid0(VALU_DEP_1) | instskip(NEXT) | instid1(VALU_DEP_1)
	v_lshlrev_b64 v[11:12], 2, v[11:12]
	v_add_co_u32 v11, vcc_lo, s10, v11
	s_delay_alu instid0(VALU_DEP_2) | instskip(SKIP_4) | instid1(VALU_DEP_1)
	v_add_co_ci_u32_e32 v12, vcc_lo, s11, v12, vcc_lo
	global_load_b64 v[11:12], v[11:12], off
	s_waitcnt vmcnt(0)
	v_subrev_nc_u32_e32 v28, s25, v12
	v_add_nc_u32_e32 v11, v11, v27
	v_cmpx_lt_i32_e64 v11, v28
	s_cbranch_execz .LBB66_11
; %bb.13:                               ;   in Loop: Header=BB66_12 Depth=1
	v_lshlrev_b64 v[12:13], 4, v[9:10]
	s_mov_b32 s5, 0
	s_delay_alu instid0(VALU_DEP_1) | instskip(NEXT) | instid1(VALU_DEP_2)
	v_add_co_u32 v12, vcc_lo, s8, v12
	v_add_co_ci_u32_e32 v13, vcc_lo, s9, v13, vcc_lo
	global_load_b128 v[15:18], v[12:13], off
	s_waitcnt vmcnt(0)
	v_mul_f64 v[12:13], v[17:18], -v[7:8]
	v_mul_f64 v[17:18], v[5:6], v[17:18]
	s_delay_alu instid0(VALU_DEP_2) | instskip(NEXT) | instid1(VALU_DEP_2)
	v_fma_f64 v[13:14], v[5:6], v[15:16], v[12:13]
	v_fma_f64 v[15:16], v[7:8], v[15:16], v[17:18]
	s_branch .LBB66_15
.LBB66_14:                              ;   in Loop: Header=BB66_15 Depth=2
	s_or_b32 exec_lo, exec_lo, s12
	v_add_nc_u32_e32 v11, 32, v11
	s_delay_alu instid0(VALU_DEP_1) | instskip(SKIP_1) | instid1(SALU_CYCLE_1)
	v_cmp_ge_i32_e32 vcc_lo, v11, v28
	s_or_b32 s5, vcc_lo, s5
	s_and_not1_b32 exec_lo, exec_lo, s5
	s_cbranch_execz .LBB66_11
.LBB66_15:                              ;   Parent Loop BB66_12 Depth=1
                                        ; =>  This Loop Header: Depth=2
                                        ;       Child Loop BB66_17 Depth 3
                                        ;         Child Loop BB66_23 Depth 4
                                        ;         Child Loop BB66_25 Depth 4
	;; [unrolled: 1-line block ×4, first 2 shown]
	v_ashrrev_i32_e32 v12, 31, v11
	s_mov_b32 s12, 0
	s_delay_alu instid0(VALU_DEP_1) | instskip(NEXT) | instid1(VALU_DEP_1)
	v_lshlrev_b64 v[17:18], 4, v[11:12]
	v_add_co_u32 v17, vcc_lo, s30, v17
	s_delay_alu instid0(VALU_DEP_2) | instskip(SKIP_2) | instid1(VALU_DEP_1)
	v_add_co_ci_u32_e32 v18, vcc_lo, s31, v18, vcc_lo
	global_load_b128 v[19:22], v[17:18], off
	v_lshlrev_b64 v[17:18], 2, v[11:12]
	v_add_co_u32 v17, vcc_lo, s28, v17
	s_delay_alu instid0(VALU_DEP_2)
	v_add_co_ci_u32_e32 v18, vcc_lo, s29, v18, vcc_lo
	global_load_b32 v10, v[17:18], off
	s_waitcnt vmcnt(1)
	v_mul_f64 v[17:18], v[21:22], -v[15:16]
	v_mul_f64 v[21:22], v[13:14], v[21:22]
	s_waitcnt vmcnt(0)
	v_subrev_nc_u32_e32 v10, s25, v10
	s_delay_alu instid0(VALU_DEP_1) | instskip(NEXT) | instid1(VALU_DEP_1)
	v_mul_lo_u32 v12, 0x89, v10
	v_and_b32_e32 v12, 0x3ff, v12
	v_fma_f64 v[17:18], v[13:14], v[19:20], v[17:18]
	v_fma_f64 v[19:20], v[15:16], v[19:20], v[21:22]
	s_branch .LBB66_17
.LBB66_16:                              ;   in Loop: Header=BB66_17 Depth=3
	s_or_b32 exec_lo, exec_lo, s13
	s_xor_b32 s13, s14, -1
	s_delay_alu instid0(SALU_CYCLE_1) | instskip(NEXT) | instid1(SALU_CYCLE_1)
	s_and_b32 s13, exec_lo, s13
	s_or_b32 s12, s13, s12
	s_delay_alu instid0(SALU_CYCLE_1)
	s_and_not1_b32 exec_lo, exec_lo, s12
	s_cbranch_execz .LBB66_14
.LBB66_17:                              ;   Parent Loop BB66_12 Depth=1
                                        ;     Parent Loop BB66_15 Depth=2
                                        ; =>    This Loop Header: Depth=3
                                        ;         Child Loop BB66_23 Depth 4
                                        ;         Child Loop BB66_25 Depth 4
	;; [unrolled: 1-line block ×4, first 2 shown]
	s_delay_alu instid0(VALU_DEP_3)
	v_lshl_add_u32 v21, v12, 2, 0
	s_mov_b32 s13, exec_lo
                                        ; implicit-def: $sgpr14
	ds_load_b32 v22, v21
	s_waitcnt lgkmcnt(0)
	v_cmpx_ne_u32_e64 v22, v10
	s_xor_b32 s13, exec_lo, s13
	s_cbranch_execz .LBB66_29
; %bb.18:                               ;   in Loop: Header=BB66_17 Depth=3
	s_mov_b32 s15, exec_lo
                                        ; implicit-def: $sgpr14
	v_cmpx_ne_u32_e64 s33, v22
	s_xor_b32 s15, exec_lo, s15
; %bb.19:                               ;   in Loop: Header=BB66_17 Depth=3
	v_add_nc_u32_e32 v12, 1, v12
	s_mov_b32 s14, -1
                                        ; implicit-def: $vgpr21
	s_delay_alu instid0(VALU_DEP_1)
	v_and_b32_e32 v12, 0x3ff, v12
; %bb.20:                               ;   in Loop: Header=BB66_17 Depth=3
	s_and_not1_saveexec_b32 s15, s15
	s_cbranch_execz .LBB66_28
; %bb.21:                               ;   in Loop: Header=BB66_17 Depth=3
	v_mov_b32_e32 v22, s33
	s_mov_b32 s38, -1
	s_mov_b32 s37, exec_lo
	ds_cmpstore_rtn_b32 v22, v21, v10, v22
	s_waitcnt lgkmcnt(0)
	v_cmpx_eq_u32_e64 s33, v22
	s_cbranch_execz .LBB66_27
; %bb.22:                               ;   in Loop: Header=BB66_17 Depth=3
	v_mul_lo_u32 v22, v12, 12
	s_mov_b32 s38, 0
	s_delay_alu instid0(VALU_DEP_1)
	v_add_nc_u32_e32 v29, v21, v22
	ds_load_b64 v[21:22], v29 offset:4096
.LBB66_23:                              ;   Parent Loop BB66_12 Depth=1
                                        ;     Parent Loop BB66_15 Depth=2
                                        ;       Parent Loop BB66_17 Depth=3
                                        ; =>      This Inner Loop Header: Depth=4
	s_waitcnt lgkmcnt(0)
	v_add_f64 v[30:31], v[21:22], v[17:18]
	ds_cmpstore_rtn_b64 v[30:31], v29, v[30:31], v[21:22] offset:4096
	s_waitcnt lgkmcnt(0)
	v_cmp_eq_u64_e32 vcc_lo, v[30:31], v[21:22]
	v_dual_mov_b32 v21, v30 :: v_dual_mov_b32 v22, v31
	s_or_b32 s38, vcc_lo, s38
	s_delay_alu instid0(SALU_CYCLE_1)
	s_and_not1_b32 exec_lo, exec_lo, s38
	s_cbranch_execnz .LBB66_23
; %bb.24:                               ;   in Loop: Header=BB66_17 Depth=3
	s_or_b32 exec_lo, exec_lo, s38
	ds_load_b64 v[21:22], v29 offset:4104
	s_mov_b32 s38, 0
.LBB66_25:                              ;   Parent Loop BB66_12 Depth=1
                                        ;     Parent Loop BB66_15 Depth=2
                                        ;       Parent Loop BB66_17 Depth=3
                                        ; =>      This Inner Loop Header: Depth=4
	s_waitcnt lgkmcnt(0)
	v_add_f64 v[30:31], v[21:22], v[19:20]
	ds_cmpstore_rtn_b64 v[30:31], v29, v[30:31], v[21:22] offset:4104
	s_waitcnt lgkmcnt(0)
	v_cmp_eq_u64_e32 vcc_lo, v[30:31], v[21:22]
	v_dual_mov_b32 v21, v30 :: v_dual_mov_b32 v22, v31
	s_or_b32 s38, vcc_lo, s38
	s_delay_alu instid0(SALU_CYCLE_1)
	s_and_not1_b32 exec_lo, exec_lo, s38
	s_cbranch_execnz .LBB66_25
; %bb.26:                               ;   in Loop: Header=BB66_17 Depth=3
	s_or_b32 exec_lo, exec_lo, s38
	s_delay_alu instid0(SALU_CYCLE_1)
	s_xor_b32 s38, exec_lo, -1
.LBB66_27:                              ;   in Loop: Header=BB66_17 Depth=3
	s_or_b32 exec_lo, exec_lo, s37
	s_delay_alu instid0(SALU_CYCLE_1) | instskip(SKIP_1) | instid1(SALU_CYCLE_1)
	s_and_not1_b32 s14, s14, exec_lo
	s_and_b32 s37, s38, exec_lo
	s_or_b32 s14, s14, s37
.LBB66_28:                              ;   in Loop: Header=BB66_17 Depth=3
	s_or_b32 exec_lo, exec_lo, s15
	s_delay_alu instid0(SALU_CYCLE_1)
	s_and_b32 s14, s14, exec_lo
                                        ; implicit-def: $vgpr21
.LBB66_29:                              ;   in Loop: Header=BB66_17 Depth=3
	s_and_not1_saveexec_b32 s13, s13
	s_cbranch_execz .LBB66_16
; %bb.30:                               ;   in Loop: Header=BB66_17 Depth=3
	v_mul_lo_u32 v22, v12, 12
	s_mov_b32 s15, 0
	s_delay_alu instid0(VALU_DEP_1)
	v_add_nc_u32_e32 v29, v21, v22
	ds_load_b64 v[21:22], v29 offset:4096
.LBB66_31:                              ;   Parent Loop BB66_12 Depth=1
                                        ;     Parent Loop BB66_15 Depth=2
                                        ;       Parent Loop BB66_17 Depth=3
                                        ; =>      This Inner Loop Header: Depth=4
	s_waitcnt lgkmcnt(0)
	v_add_f64 v[30:31], v[21:22], v[17:18]
	ds_cmpstore_rtn_b64 v[30:31], v29, v[30:31], v[21:22] offset:4096
	s_waitcnt lgkmcnt(0)
	v_cmp_eq_u64_e32 vcc_lo, v[30:31], v[21:22]
	v_dual_mov_b32 v21, v30 :: v_dual_mov_b32 v22, v31
	s_or_b32 s15, vcc_lo, s15
	s_delay_alu instid0(SALU_CYCLE_1)
	s_and_not1_b32 exec_lo, exec_lo, s15
	s_cbranch_execnz .LBB66_31
; %bb.32:                               ;   in Loop: Header=BB66_17 Depth=3
	s_or_b32 exec_lo, exec_lo, s15
	ds_load_b64 v[21:22], v29 offset:4104
	s_mov_b32 s15, 0
.LBB66_33:                              ;   Parent Loop BB66_12 Depth=1
                                        ;     Parent Loop BB66_15 Depth=2
                                        ;       Parent Loop BB66_17 Depth=3
                                        ; =>      This Inner Loop Header: Depth=4
	s_waitcnt lgkmcnt(0)
	v_add_f64 v[30:31], v[21:22], v[19:20]
	ds_cmpstore_rtn_b64 v[30:31], v29, v[30:31], v[21:22] offset:4104
	s_waitcnt lgkmcnt(0)
	v_cmp_eq_u64_e32 vcc_lo, v[30:31], v[21:22]
	v_dual_mov_b32 v21, v30 :: v_dual_mov_b32 v22, v31
	s_or_b32 s15, vcc_lo, s15
	s_delay_alu instid0(SALU_CYCLE_1)
	s_and_not1_b32 exec_lo, exec_lo, s15
	s_cbranch_execnz .LBB66_33
; %bb.34:                               ;   in Loop: Header=BB66_17 Depth=3
	s_or_b32 exec_lo, exec_lo, s15
	s_delay_alu instid0(SALU_CYCLE_1)
	s_and_not1_b32 s14, s14, exec_lo
	s_branch .LBB66_16
.LBB66_35:
	s_or_b32 exec_lo, exec_lo, s1
.LBB66_36:
	s_delay_alu instid0(SALU_CYCLE_1)
	s_and_not1_b32 vcc_lo, exec_lo, s3
	s_cbranch_vccnz .LBB66_61
; %bb.37:
	s_waitcnt lgkmcnt(0)
	s_ashr_i32 s37, s36, 31
	v_subrev_nc_u32_e32 v5, s27, v0
	s_lshl_b64 s[0:1], s[36:37], 2
	s_delay_alu instid0(SALU_CYCLE_1)
	s_add_u32 s0, s16, s0
	s_addc_u32 s1, s17, s1
	s_load_b64 s[0:1], s[0:1], 0x0
	s_waitcnt lgkmcnt(0)
	v_add_nc_u32_e32 v5, s0, v5
	s_sub_i32 s0, s1, s27
	s_mov_b32 s1, exec_lo
	s_delay_alu instid0(VALU_DEP_1)
	v_cmpx_gt_i32_e64 s0, v5
	s_cbranch_execz .LBB66_60
; %bb.38:
	s_mov_b32 s2, 0
	s_branch .LBB66_40
.LBB66_39:                              ;   in Loop: Header=BB66_40 Depth=1
	s_or_b32 exec_lo, exec_lo, s3
	v_add_nc_u32_e32 v5, 0x200, v5
	s_delay_alu instid0(VALU_DEP_1) | instskip(SKIP_1) | instid1(SALU_CYCLE_1)
	v_cmp_le_i32_e32 vcc_lo, s0, v5
	s_or_b32 s2, vcc_lo, s2
	s_and_not1_b32 exec_lo, exec_lo, s2
	s_cbranch_execz .LBB66_60
.LBB66_40:                              ; =>This Loop Header: Depth=1
                                        ;     Child Loop BB66_42 Depth 2
                                        ;       Child Loop BB66_48 Depth 3
                                        ;       Child Loop BB66_50 Depth 3
	;; [unrolled: 1-line block ×4, first 2 shown]
	v_ashrrev_i32_e32 v6, 31, v5
	s_mov_b32 s3, 0
	s_delay_alu instid0(VALU_DEP_1) | instskip(NEXT) | instid1(VALU_DEP_1)
	v_lshlrev_b64 v[7:8], 4, v[5:6]
	v_add_co_u32 v7, vcc_lo, s20, v7
	s_delay_alu instid0(VALU_DEP_2) | instskip(SKIP_2) | instid1(VALU_DEP_1)
	v_add_co_ci_u32_e32 v8, vcc_lo, s21, v8, vcc_lo
	global_load_b128 v[8:11], v[7:8], off
	v_lshlrev_b64 v[6:7], 2, v[5:6]
	v_add_co_u32 v6, vcc_lo, s18, v6
	s_delay_alu instid0(VALU_DEP_2)
	v_add_co_ci_u32_e32 v7, vcc_lo, s19, v7, vcc_lo
	global_load_b32 v12, v[6:7], off
	s_waitcnt vmcnt(1)
	v_mul_f64 v[6:7], v[10:11], -v[1:2]
	v_mul_f64 v[10:11], v[3:4], v[10:11]
	s_waitcnt vmcnt(0)
	v_subrev_nc_u32_e32 v12, s27, v12
	s_delay_alu instid0(VALU_DEP_3) | instskip(NEXT) | instid1(VALU_DEP_3)
	v_fma_f64 v[6:7], v[3:4], v[8:9], v[6:7]
	v_fma_f64 v[8:9], v[1:2], v[8:9], v[10:11]
	s_delay_alu instid0(VALU_DEP_3) | instskip(NEXT) | instid1(VALU_DEP_1)
	v_mul_lo_u32 v10, 0x89, v12
	v_and_b32_e32 v13, 0x3ff, v10
	s_branch .LBB66_42
.LBB66_41:                              ;   in Loop: Header=BB66_42 Depth=2
	s_or_b32 exec_lo, exec_lo, s4
	s_xor_b32 s4, s5, -1
	s_delay_alu instid0(SALU_CYCLE_1) | instskip(NEXT) | instid1(SALU_CYCLE_1)
	s_and_b32 s4, exec_lo, s4
	s_or_b32 s3, s4, s3
	s_delay_alu instid0(SALU_CYCLE_1)
	s_and_not1_b32 exec_lo, exec_lo, s3
	s_cbranch_execz .LBB66_39
.LBB66_42:                              ;   Parent Loop BB66_40 Depth=1
                                        ; =>  This Loop Header: Depth=2
                                        ;       Child Loop BB66_48 Depth 3
                                        ;       Child Loop BB66_50 Depth 3
	;; [unrolled: 1-line block ×4, first 2 shown]
	s_delay_alu instid0(VALU_DEP_1)
	v_lshl_add_u32 v10, v13, 2, 0
	s_mov_b32 s4, exec_lo
                                        ; implicit-def: $sgpr5
	ds_load_b32 v11, v10
	s_waitcnt lgkmcnt(0)
	v_cmpx_ne_u32_e64 v11, v12
	s_xor_b32 s4, exec_lo, s4
	s_cbranch_execz .LBB66_54
; %bb.43:                               ;   in Loop: Header=BB66_42 Depth=2
	s_mov_b32 s6, exec_lo
                                        ; implicit-def: $sgpr5
	v_cmpx_ne_u32_e64 s33, v11
	s_xor_b32 s6, exec_lo, s6
; %bb.44:                               ;   in Loop: Header=BB66_42 Depth=2
	v_add_nc_u32_e32 v10, 1, v13
	s_mov_b32 s5, -1
	s_delay_alu instid0(VALU_DEP_1)
	v_and_b32_e32 v13, 0x3ff, v10
                                        ; implicit-def: $vgpr10
; %bb.45:                               ;   in Loop: Header=BB66_42 Depth=2
	s_and_not1_saveexec_b32 s6, s6
	s_cbranch_execz .LBB66_53
; %bb.46:                               ;   in Loop: Header=BB66_42 Depth=2
	v_mov_b32_e32 v11, s33
	s_mov_b32 s8, -1
	s_mov_b32 s7, exec_lo
	ds_cmpstore_rtn_b32 v11, v10, v12, v11
	s_waitcnt lgkmcnt(0)
	v_cmpx_eq_u32_e64 s33, v11
	s_cbranch_execz .LBB66_52
; %bb.47:                               ;   in Loop: Header=BB66_42 Depth=2
	v_mul_lo_u32 v11, v13, 12
	s_mov_b32 s8, 0
	s_delay_alu instid0(VALU_DEP_1)
	v_add_nc_u32_e32 v14, v10, v11
	ds_load_b64 v[10:11], v14 offset:4096
.LBB66_48:                              ;   Parent Loop BB66_40 Depth=1
                                        ;     Parent Loop BB66_42 Depth=2
                                        ; =>    This Inner Loop Header: Depth=3
	s_waitcnt lgkmcnt(0)
	v_add_f64 v[15:16], v[10:11], v[6:7]
	ds_cmpstore_rtn_b64 v[15:16], v14, v[15:16], v[10:11] offset:4096
	s_waitcnt lgkmcnt(0)
	v_cmp_eq_u64_e32 vcc_lo, v[15:16], v[10:11]
	v_dual_mov_b32 v10, v15 :: v_dual_mov_b32 v11, v16
	s_or_b32 s8, vcc_lo, s8
	s_delay_alu instid0(SALU_CYCLE_1)
	s_and_not1_b32 exec_lo, exec_lo, s8
	s_cbranch_execnz .LBB66_48
; %bb.49:                               ;   in Loop: Header=BB66_42 Depth=2
	s_or_b32 exec_lo, exec_lo, s8
	ds_load_b64 v[10:11], v14 offset:4104
	s_mov_b32 s8, 0
.LBB66_50:                              ;   Parent Loop BB66_40 Depth=1
                                        ;     Parent Loop BB66_42 Depth=2
                                        ; =>    This Inner Loop Header: Depth=3
	s_waitcnt lgkmcnt(0)
	v_add_f64 v[15:16], v[10:11], v[8:9]
	ds_cmpstore_rtn_b64 v[15:16], v14, v[15:16], v[10:11] offset:4104
	s_waitcnt lgkmcnt(0)
	v_cmp_eq_u64_e32 vcc_lo, v[15:16], v[10:11]
	v_dual_mov_b32 v10, v15 :: v_dual_mov_b32 v11, v16
	s_or_b32 s8, vcc_lo, s8
	s_delay_alu instid0(SALU_CYCLE_1)
	s_and_not1_b32 exec_lo, exec_lo, s8
	s_cbranch_execnz .LBB66_50
; %bb.51:                               ;   in Loop: Header=BB66_42 Depth=2
	s_or_b32 exec_lo, exec_lo, s8
	s_delay_alu instid0(SALU_CYCLE_1)
	s_xor_b32 s8, exec_lo, -1
.LBB66_52:                              ;   in Loop: Header=BB66_42 Depth=2
	s_or_b32 exec_lo, exec_lo, s7
	s_delay_alu instid0(SALU_CYCLE_1) | instskip(SKIP_1) | instid1(SALU_CYCLE_1)
	s_and_not1_b32 s5, s5, exec_lo
	s_and_b32 s7, s8, exec_lo
	s_or_b32 s5, s5, s7
.LBB66_53:                              ;   in Loop: Header=BB66_42 Depth=2
	s_or_b32 exec_lo, exec_lo, s6
	s_delay_alu instid0(SALU_CYCLE_1)
	s_and_b32 s5, s5, exec_lo
                                        ; implicit-def: $vgpr10
.LBB66_54:                              ;   in Loop: Header=BB66_42 Depth=2
	s_and_not1_saveexec_b32 s4, s4
	s_cbranch_execz .LBB66_41
; %bb.55:                               ;   in Loop: Header=BB66_42 Depth=2
	v_mul_lo_u32 v11, v13, 12
	s_mov_b32 s6, 0
	s_delay_alu instid0(VALU_DEP_1)
	v_add_nc_u32_e32 v14, v10, v11
	ds_load_b64 v[10:11], v14 offset:4096
.LBB66_56:                              ;   Parent Loop BB66_40 Depth=1
                                        ;     Parent Loop BB66_42 Depth=2
                                        ; =>    This Inner Loop Header: Depth=3
	s_waitcnt lgkmcnt(0)
	v_add_f64 v[15:16], v[10:11], v[6:7]
	ds_cmpstore_rtn_b64 v[15:16], v14, v[15:16], v[10:11] offset:4096
	s_waitcnt lgkmcnt(0)
	v_cmp_eq_u64_e32 vcc_lo, v[15:16], v[10:11]
	v_dual_mov_b32 v10, v15 :: v_dual_mov_b32 v11, v16
	s_or_b32 s6, vcc_lo, s6
	s_delay_alu instid0(SALU_CYCLE_1)
	s_and_not1_b32 exec_lo, exec_lo, s6
	s_cbranch_execnz .LBB66_56
; %bb.57:                               ;   in Loop: Header=BB66_42 Depth=2
	s_or_b32 exec_lo, exec_lo, s6
	ds_load_b64 v[10:11], v14 offset:4104
	s_mov_b32 s6, 0
.LBB66_58:                              ;   Parent Loop BB66_40 Depth=1
                                        ;     Parent Loop BB66_42 Depth=2
                                        ; =>    This Inner Loop Header: Depth=3
	s_waitcnt lgkmcnt(0)
	v_add_f64 v[15:16], v[10:11], v[8:9]
	ds_cmpstore_rtn_b64 v[15:16], v14, v[15:16], v[10:11] offset:4104
	s_waitcnt lgkmcnt(0)
	v_cmp_eq_u64_e32 vcc_lo, v[15:16], v[10:11]
	v_dual_mov_b32 v10, v15 :: v_dual_mov_b32 v11, v16
	s_or_b32 s6, vcc_lo, s6
	s_delay_alu instid0(SALU_CYCLE_1)
	s_and_not1_b32 exec_lo, exec_lo, s6
	s_cbranch_execnz .LBB66_58
; %bb.59:                               ;   in Loop: Header=BB66_42 Depth=2
	s_or_b32 exec_lo, exec_lo, s6
	s_delay_alu instid0(SALU_CYCLE_1)
	s_and_not1_b32 s5, s5, exec_lo
	s_branch .LBB66_41
.LBB66_60:
	s_or_b32 exec_lo, exec_lo, s1
.LBB66_61:
	v_mbcnt_lo_u32_b32 v1, -1, 0
	v_lshl_add_u32 v3, v26, 2, 0
	v_cmp_eq_u32_e32 vcc_lo, 0x1ff, v0
	v_cmp_lt_u32_e64 s0, 31, v0
	v_cmp_lt_u32_e64 s1, 63, v0
	v_xor_b32_e32 v1, 63, v1
	v_cmp_lt_u32_e64 s2, 0x5f, v0
	v_cmp_lt_u32_e64 s3, 0x7f, v0
	;; [unrolled: 1-line block ×4, first 2 shown]
	v_lshrrev_b64 v[1:2], v1, -1
	v_cmp_lt_u32_e64 s6, 0xdf, v0
	v_cmp_lt_u32_e64 s7, 0xff, v0
	v_cmp_lt_u32_e64 s8, 0x11f, v0
	v_cmp_lt_u32_e64 s9, 0x13f, v0
	v_cmp_lt_u32_e64 s10, 0x15f, v0
	v_cmp_lt_u32_e64 s11, 0x17f, v0
	v_cmp_lt_u32_e64 s12, 0x19f, v0
	v_cmp_lt_u32_e64 s13, 0x1bf, v0
	v_cmp_lt_u32_e64 s14, 0x1df, v0
	v_mov_b32_e32 v2, 0
	v_mov_b32_e32 v4, 0
	s_mov_b32 s16, 0
	s_waitcnt lgkmcnt(0)
	s_barrier
	buffer_gl0_inv
	s_branch .LBB66_63
.LBB66_62:                              ;   in Loop: Header=BB66_63 Depth=1
	s_or_b32 exec_lo, exec_lo, s15
	s_waitcnt lgkmcnt(0)
	s_barrier
	buffer_gl0_inv
	ds_load_b32 v5, v2 offset:20540
	v_add_co_u32 v23, s15, 0x200, v23
	s_delay_alu instid0(VALU_DEP_1) | instskip(SKIP_3) | instid1(SALU_CYCLE_1)
	s_xor_b32 s15, s15, -1
	v_add_nc_u32_e32 v25, 0x2000, v25
	v_add_nc_u32_e32 v24, 0x800, v24
	s_and_b32 s15, exec_lo, s15
	s_or_b32 s16, s15, s16
	s_waitcnt lgkmcnt(0)
	v_add_nc_u32_e32 v4, v5, v4
	s_and_not1_b32 exec_lo, exec_lo, s16
	s_cbranch_execz .LBB66_97
.LBB66_63:                              ; =>This Inner Loop Header: Depth=1
	ds_load_b32 v5, v24
	ds_load_2addr_b64 v[6:9], v25 offset1:1
	s_waitcnt lgkmcnt(1)
	v_cmp_gt_i32_e64 s15, s33, v5
	s_waitcnt lgkmcnt(0)
	scratch_store_b128 off, v[6:9], off
	s_waitcnt_vscnt null, 0x0
	s_barrier
	buffer_gl0_inv
	s_bcnt1_i32_b32 s17, s15
	s_delay_alu instid0(SALU_CYCLE_1) | instskip(NEXT) | instid1(VALU_DEP_1)
	v_dual_mov_b32 v7, s17 :: v_dual_and_b32 v6, s15, v1
	v_bcnt_u32_b32 v6, v6, 0
	ds_store_b32 v3, v7 offset:20480
	s_waitcnt lgkmcnt(0)
	s_barrier
	buffer_gl0_inv
	s_and_saveexec_b32 s17, s0
	s_cbranch_execnz .LBB66_80
; %bb.64:                               ;   in Loop: Header=BB66_63 Depth=1
	s_or_b32 exec_lo, exec_lo, s17
	s_and_saveexec_b32 s17, s1
	s_cbranch_execnz .LBB66_81
.LBB66_65:                              ;   in Loop: Header=BB66_63 Depth=1
	s_or_b32 exec_lo, exec_lo, s17
	s_and_saveexec_b32 s17, s2
	s_cbranch_execnz .LBB66_82
.LBB66_66:                              ;   in Loop: Header=BB66_63 Depth=1
	s_or_b32 exec_lo, exec_lo, s17
	s_and_saveexec_b32 s17, s3
	s_cbranch_execnz .LBB66_83
.LBB66_67:                              ;   in Loop: Header=BB66_63 Depth=1
	s_or_b32 exec_lo, exec_lo, s17
	s_and_saveexec_b32 s17, s4
	s_cbranch_execnz .LBB66_84
.LBB66_68:                              ;   in Loop: Header=BB66_63 Depth=1
	s_or_b32 exec_lo, exec_lo, s17
	s_and_saveexec_b32 s17, s5
	s_cbranch_execnz .LBB66_85
.LBB66_69:                              ;   in Loop: Header=BB66_63 Depth=1
	s_or_b32 exec_lo, exec_lo, s17
	s_and_saveexec_b32 s17, s6
	s_cbranch_execnz .LBB66_86
.LBB66_70:                              ;   in Loop: Header=BB66_63 Depth=1
	s_or_b32 exec_lo, exec_lo, s17
	s_and_saveexec_b32 s17, s7
	s_cbranch_execnz .LBB66_87
.LBB66_71:                              ;   in Loop: Header=BB66_63 Depth=1
	s_or_b32 exec_lo, exec_lo, s17
	s_and_saveexec_b32 s17, s8
	s_cbranch_execnz .LBB66_88
.LBB66_72:                              ;   in Loop: Header=BB66_63 Depth=1
	s_or_b32 exec_lo, exec_lo, s17
	s_and_saveexec_b32 s17, s9
	s_cbranch_execnz .LBB66_89
.LBB66_73:                              ;   in Loop: Header=BB66_63 Depth=1
	s_or_b32 exec_lo, exec_lo, s17
	s_and_saveexec_b32 s17, s10
	s_cbranch_execnz .LBB66_90
.LBB66_74:                              ;   in Loop: Header=BB66_63 Depth=1
	s_or_b32 exec_lo, exec_lo, s17
	s_and_saveexec_b32 s17, s11
	s_cbranch_execnz .LBB66_91
.LBB66_75:                              ;   in Loop: Header=BB66_63 Depth=1
	s_or_b32 exec_lo, exec_lo, s17
	s_and_saveexec_b32 s17, s12
	s_cbranch_execnz .LBB66_92
.LBB66_76:                              ;   in Loop: Header=BB66_63 Depth=1
	s_or_b32 exec_lo, exec_lo, s17
	s_and_saveexec_b32 s17, s13
	s_cbranch_execnz .LBB66_93
.LBB66_77:                              ;   in Loop: Header=BB66_63 Depth=1
	s_or_b32 exec_lo, exec_lo, s17
	s_and_saveexec_b32 s17, s14
	s_cbranch_execnz .LBB66_94
.LBB66_78:                              ;   in Loop: Header=BB66_63 Depth=1
	s_or_b32 exec_lo, exec_lo, s17
	s_and_saveexec_b32 s17, s15
	s_cbranch_execnz .LBB66_95
.LBB66_79:                              ;   in Loop: Header=BB66_63 Depth=1
	s_or_b32 exec_lo, exec_lo, s17
	s_and_saveexec_b32 s15, vcc_lo
	s_cbranch_execz .LBB66_62
	s_branch .LBB66_96
.LBB66_80:                              ;   in Loop: Header=BB66_63 Depth=1
	ds_load_b32 v7, v2 offset:20480
	s_waitcnt lgkmcnt(0)
	v_add_nc_u32_e32 v6, v7, v6
	s_or_b32 exec_lo, exec_lo, s17
	s_and_saveexec_b32 s17, s1
	s_cbranch_execz .LBB66_65
.LBB66_81:                              ;   in Loop: Header=BB66_63 Depth=1
	ds_load_b32 v7, v2 offset:20484
	s_waitcnt lgkmcnt(0)
	v_add_nc_u32_e32 v6, v7, v6
	s_or_b32 exec_lo, exec_lo, s17
	s_and_saveexec_b32 s17, s2
	s_cbranch_execz .LBB66_66
.LBB66_82:                              ;   in Loop: Header=BB66_63 Depth=1
	ds_load_b32 v7, v2 offset:20488
	s_waitcnt lgkmcnt(0)
	v_add_nc_u32_e32 v6, v7, v6
	s_or_b32 exec_lo, exec_lo, s17
	s_and_saveexec_b32 s17, s3
	s_cbranch_execz .LBB66_67
.LBB66_83:                              ;   in Loop: Header=BB66_63 Depth=1
	ds_load_b32 v7, v2 offset:20492
	s_waitcnt lgkmcnt(0)
	v_add_nc_u32_e32 v6, v7, v6
	s_or_b32 exec_lo, exec_lo, s17
	s_and_saveexec_b32 s17, s4
	s_cbranch_execz .LBB66_68
.LBB66_84:                              ;   in Loop: Header=BB66_63 Depth=1
	ds_load_b32 v7, v2 offset:20496
	s_waitcnt lgkmcnt(0)
	v_add_nc_u32_e32 v6, v7, v6
	s_or_b32 exec_lo, exec_lo, s17
	s_and_saveexec_b32 s17, s5
	s_cbranch_execz .LBB66_69
.LBB66_85:                              ;   in Loop: Header=BB66_63 Depth=1
	ds_load_b32 v7, v2 offset:20500
	s_waitcnt lgkmcnt(0)
	v_add_nc_u32_e32 v6, v7, v6
	s_or_b32 exec_lo, exec_lo, s17
	s_and_saveexec_b32 s17, s6
	s_cbranch_execz .LBB66_70
.LBB66_86:                              ;   in Loop: Header=BB66_63 Depth=1
	ds_load_b32 v7, v2 offset:20504
	s_waitcnt lgkmcnt(0)
	v_add_nc_u32_e32 v6, v7, v6
	s_or_b32 exec_lo, exec_lo, s17
	s_and_saveexec_b32 s17, s7
	s_cbranch_execz .LBB66_71
.LBB66_87:                              ;   in Loop: Header=BB66_63 Depth=1
	ds_load_b32 v7, v2 offset:20508
	s_waitcnt lgkmcnt(0)
	v_add_nc_u32_e32 v6, v7, v6
	s_or_b32 exec_lo, exec_lo, s17
	s_and_saveexec_b32 s17, s8
	s_cbranch_execz .LBB66_72
.LBB66_88:                              ;   in Loop: Header=BB66_63 Depth=1
	ds_load_b32 v7, v2 offset:20512
	s_waitcnt lgkmcnt(0)
	v_add_nc_u32_e32 v6, v7, v6
	s_or_b32 exec_lo, exec_lo, s17
	s_and_saveexec_b32 s17, s9
	s_cbranch_execz .LBB66_73
.LBB66_89:                              ;   in Loop: Header=BB66_63 Depth=1
	ds_load_b32 v7, v2 offset:20516
	s_waitcnt lgkmcnt(0)
	v_add_nc_u32_e32 v6, v7, v6
	s_or_b32 exec_lo, exec_lo, s17
	s_and_saveexec_b32 s17, s10
	s_cbranch_execz .LBB66_74
.LBB66_90:                              ;   in Loop: Header=BB66_63 Depth=1
	ds_load_b32 v7, v2 offset:20520
	s_waitcnt lgkmcnt(0)
	v_add_nc_u32_e32 v6, v7, v6
	s_or_b32 exec_lo, exec_lo, s17
	s_and_saveexec_b32 s17, s11
	s_cbranch_execz .LBB66_75
.LBB66_91:                              ;   in Loop: Header=BB66_63 Depth=1
	ds_load_b32 v7, v2 offset:20524
	s_waitcnt lgkmcnt(0)
	v_add_nc_u32_e32 v6, v7, v6
	s_or_b32 exec_lo, exec_lo, s17
	s_and_saveexec_b32 s17, s12
	s_cbranch_execz .LBB66_76
.LBB66_92:                              ;   in Loop: Header=BB66_63 Depth=1
	ds_load_b32 v7, v2 offset:20528
	s_waitcnt lgkmcnt(0)
	v_add_nc_u32_e32 v6, v7, v6
	s_or_b32 exec_lo, exec_lo, s17
	s_and_saveexec_b32 s17, s13
	s_cbranch_execz .LBB66_77
.LBB66_93:                              ;   in Loop: Header=BB66_63 Depth=1
	ds_load_b32 v7, v2 offset:20532
	s_waitcnt lgkmcnt(0)
	v_add_nc_u32_e32 v6, v7, v6
	s_or_b32 exec_lo, exec_lo, s17
	s_and_saveexec_b32 s17, s14
	s_cbranch_execz .LBB66_78
.LBB66_94:                              ;   in Loop: Header=BB66_63 Depth=1
	ds_load_b32 v7, v2 offset:20536
	s_waitcnt lgkmcnt(0)
	v_add_nc_u32_e32 v6, v7, v6
	s_or_b32 exec_lo, exec_lo, s17
	s_and_saveexec_b32 s17, s15
	s_cbranch_execz .LBB66_79
.LBB66_95:                              ;   in Loop: Header=BB66_63 Depth=1
	scratch_load_b128 v[7:10], off, off
	v_add3_u32 v11, v4, -1, v6
	s_delay_alu instid0(VALU_DEP_1) | instskip(SKIP_1) | instid1(VALU_DEP_2)
	v_lshlrev_b32_e32 v12, 4, v11
	v_lshl_add_u32 v11, v11, 2, 0
	v_add3_u32 v12, 0, v12, 0x1000
	ds_store_b32 v11, v5
	s_waitcnt vmcnt(0)
	ds_store_2addr_b64 v12, v[7:8], v[9:10] offset1:1
	s_or_b32 exec_lo, exec_lo, s17
	s_and_saveexec_b32 s15, vcc_lo
	s_cbranch_execz .LBB66_62
.LBB66_96:                              ;   in Loop: Header=BB66_63 Depth=1
	ds_store_b32 v2, v6 offset:20540
	s_branch .LBB66_62
.LBB66_97:
	s_or_b32 exec_lo, exec_lo, s16
	s_ashr_i32 s37, s36, 31
	s_mov_b32 s3, exec_lo
	s_lshl_b64 s[0:1], s[36:37], 2
	s_delay_alu instid0(SALU_CYCLE_1) | instskip(SKIP_4) | instid1(SALU_CYCLE_1)
	s_add_u32 s0, s22, s0
	s_addc_u32 s1, s23, s1
	s_load_b64 s[0:1], s[0:1], 0x0
	s_waitcnt lgkmcnt(0)
	s_sub_i32 s2, s1, s0
	v_cmpx_gt_i32_e64 s2, v0
	s_cbranch_execz .LBB66_107
; %bb.98:
	s_sub_i32 s3, s0, s26
	s_sub_i32 s0, s0, s1
	s_and_b32 s1, s2, 7
	s_cmp_lt_u32 s0, -7
	s_mov_b32 s7, 0
	s_cselect_b32 s4, -1, 0
	s_and_b32 s5, s2, -8
	s_cmp_lg_u32 s1, 0
	s_cselect_b32 s6, -1, 0
	s_branch .LBB66_100
.LBB66_99:                              ;   in Loop: Header=BB66_100 Depth=1
	s_waitcnt lgkmcnt(0)
	v_mul_lo_u32 v3, v0, 12
	v_add_nc_u32_e32 v0, 0x200, v0
	s_delay_alu instid0(VALU_DEP_1) | instskip(NEXT) | instid1(VALU_DEP_3)
	v_cmp_le_i32_e32 vcc_lo, s2, v0
	v_add3_u32 v2, v2, v3, 0x1000
	s_or_b32 s7, vcc_lo, s7
	ds_load_2addr_b64 v[3:6], v2 offset1:1
	v_ashrrev_i32_e32 v2, 31, v1
	s_delay_alu instid0(VALU_DEP_1) | instskip(NEXT) | instid1(VALU_DEP_1)
	v_lshlrev_b64 v[1:2], 4, v[1:2]
	v_add_co_u32 v1, s0, s34, v1
	s_delay_alu instid0(VALU_DEP_1)
	v_add_co_ci_u32_e64 v2, s0, s35, v2, s0
	s_waitcnt lgkmcnt(0)
	global_store_b128 v[1:2], v[3:6], off
	s_and_not1_b32 exec_lo, exec_lo, s7
	s_cbranch_execz .LBB66_107
.LBB66_100:                             ; =>This Loop Header: Depth=1
                                        ;     Child Loop BB66_102 Depth 2
                                        ;     Child Loop BB66_106 Depth 2
	v_lshl_add_u32 v2, v0, 2, 0
	v_mov_b32_e32 v1, s3
	s_and_not1_b32 vcc_lo, exec_lo, s4
	s_mov_b32 s0, 0
	ds_load_b32 v3, v2
	s_cbranch_vccnz .LBB66_104
; %bb.101:                              ;   in Loop: Header=BB66_100 Depth=1
	v_mov_b32_e32 v1, s3
	s_mov_b32 s8, 0
	s_set_inst_prefetch_distance 0x1
	.p2align	6
.LBB66_102:                             ;   Parent Loop BB66_100 Depth=1
                                        ; =>  This Inner Loop Header: Depth=2
	v_mov_b32_e32 v10, s8
	s_add_i32 s0, s0, 8
	s_add_i32 s8, s8, 32
	s_cmp_eq_u32 s5, s0
	ds_load_2addr_b32 v[4:5], v10 offset1:1
	ds_load_2addr_b32 v[6:7], v10 offset0:2 offset1:3
	ds_load_2addr_b32 v[8:9], v10 offset0:4 offset1:5
	;; [unrolled: 1-line block ×3, first 2 shown]
	s_waitcnt lgkmcnt(3)
	v_cmp_gt_i32_e32 vcc_lo, v3, v4
	v_cndmask_b32_e64 v4, 0, 1, vcc_lo
	s_waitcnt lgkmcnt(2)
	v_cmp_gt_i32_e32 vcc_lo, v3, v6
	v_cndmask_b32_e64 v6, 0, 1, vcc_lo
	v_cmp_gt_i32_e32 vcc_lo, v3, v5
	v_add_co_ci_u32_e32 v1, vcc_lo, v1, v4, vcc_lo
	s_waitcnt lgkmcnt(1)
	v_cmp_gt_i32_e32 vcc_lo, v3, v8
	v_cndmask_b32_e64 v4, 0, 1, vcc_lo
	v_cmp_gt_i32_e32 vcc_lo, v3, v7
	v_add_co_ci_u32_e32 v1, vcc_lo, v1, v6, vcc_lo
	;; [unrolled: 5-line block ×3, first 2 shown]
	v_cmp_gt_i32_e32 vcc_lo, v3, v11
	s_delay_alu instid0(VALU_DEP_2)
	v_add_co_ci_u32_e32 v1, vcc_lo, v1, v5, vcc_lo
	s_cbranch_scc0 .LBB66_102
; %bb.103:                              ;   in Loop: Header=BB66_100 Depth=1
	s_set_inst_prefetch_distance 0x2
	s_mov_b32 s0, s5
.LBB66_104:                             ;   in Loop: Header=BB66_100 Depth=1
	s_and_not1_b32 vcc_lo, exec_lo, s6
	s_cbranch_vccnz .LBB66_99
; %bb.105:                              ;   in Loop: Header=BB66_100 Depth=1
	s_lshl_b32 s0, s0, 2
	s_mov_b32 s8, s1
	s_add_i32 s0, s0, 0
.LBB66_106:                             ;   Parent Loop BB66_100 Depth=1
                                        ; =>  This Inner Loop Header: Depth=2
	s_delay_alu instid0(SALU_CYCLE_1)
	v_mov_b32_e32 v4, s0
	s_add_i32 s8, s8, -1
	s_add_i32 s0, s0, 4
	s_cmp_lg_u32 s8, 0
	ds_load_b32 v4, v4
	s_waitcnt lgkmcnt(0)
	v_cmp_gt_i32_e32 vcc_lo, v3, v4
	v_add_co_ci_u32_e32 v1, vcc_lo, 0, v1, vcc_lo
	s_cbranch_scc1 .LBB66_106
	s_branch .LBB66_99
.LBB66_107:
	s_nop 0
	s_sendmsg sendmsg(MSG_DEALLOC_VGPRS)
	s_endpgm
	.section	.rodata,"a",@progbits
	.p2align	6, 0x0
	.amdhsa_kernel _ZN9rocsparseL41csrgemm_numeric_fill_block_per_row_kernelILj512ELj32ELj1024ELj137ELj32Eii21rocsparse_complex_numIdEEEvT5_PKS3_S5_NS_24const_host_device_scalarIT6_EEPKT4_S5_PKS7_SB_S5_SD_S8_SB_S5_SD_SB_S5_PS7_21rocsparse_index_base_SF_SF_SF_bbb
		.amdhsa_group_segment_fixed_size 0
		.amdhsa_private_segment_fixed_size 40
		.amdhsa_kernarg_size 172
		.amdhsa_user_sgpr_count 15
		.amdhsa_user_sgpr_dispatch_ptr 0
		.amdhsa_user_sgpr_queue_ptr 0
		.amdhsa_user_sgpr_kernarg_segment_ptr 1
		.amdhsa_user_sgpr_dispatch_id 0
		.amdhsa_user_sgpr_private_segment_size 0
		.amdhsa_wavefront_size32 1
		.amdhsa_uses_dynamic_stack 0
		.amdhsa_enable_private_segment 1
		.amdhsa_system_sgpr_workgroup_id_x 1
		.amdhsa_system_sgpr_workgroup_id_y 0
		.amdhsa_system_sgpr_workgroup_id_z 0
		.amdhsa_system_sgpr_workgroup_info 0
		.amdhsa_system_vgpr_workitem_id 0
		.amdhsa_next_free_vgpr 32
		.amdhsa_next_free_sgpr 46
		.amdhsa_reserve_vcc 1
		.amdhsa_float_round_mode_32 0
		.amdhsa_float_round_mode_16_64 0
		.amdhsa_float_denorm_mode_32 3
		.amdhsa_float_denorm_mode_16_64 3
		.amdhsa_dx10_clamp 1
		.amdhsa_ieee_mode 1
		.amdhsa_fp16_overflow 0
		.amdhsa_workgroup_processor_mode 1
		.amdhsa_memory_ordered 1
		.amdhsa_forward_progress 0
		.amdhsa_shared_vgpr_count 0
		.amdhsa_exception_fp_ieee_invalid_op 0
		.amdhsa_exception_fp_denorm_src 0
		.amdhsa_exception_fp_ieee_div_zero 0
		.amdhsa_exception_fp_ieee_overflow 0
		.amdhsa_exception_fp_ieee_underflow 0
		.amdhsa_exception_fp_ieee_inexact 0
		.amdhsa_exception_int_div_zero 0
	.end_amdhsa_kernel
	.section	.text._ZN9rocsparseL41csrgemm_numeric_fill_block_per_row_kernelILj512ELj32ELj1024ELj137ELj32Eii21rocsparse_complex_numIdEEEvT5_PKS3_S5_NS_24const_host_device_scalarIT6_EEPKT4_S5_PKS7_SB_S5_SD_S8_SB_S5_SD_SB_S5_PS7_21rocsparse_index_base_SF_SF_SF_bbb,"axG",@progbits,_ZN9rocsparseL41csrgemm_numeric_fill_block_per_row_kernelILj512ELj32ELj1024ELj137ELj32Eii21rocsparse_complex_numIdEEEvT5_PKS3_S5_NS_24const_host_device_scalarIT6_EEPKT4_S5_PKS7_SB_S5_SD_S8_SB_S5_SD_SB_S5_PS7_21rocsparse_index_base_SF_SF_SF_bbb,comdat
.Lfunc_end66:
	.size	_ZN9rocsparseL41csrgemm_numeric_fill_block_per_row_kernelILj512ELj32ELj1024ELj137ELj32Eii21rocsparse_complex_numIdEEEvT5_PKS3_S5_NS_24const_host_device_scalarIT6_EEPKT4_S5_PKS7_SB_S5_SD_S8_SB_S5_SD_SB_S5_PS7_21rocsparse_index_base_SF_SF_SF_bbb, .Lfunc_end66-_ZN9rocsparseL41csrgemm_numeric_fill_block_per_row_kernelILj512ELj32ELj1024ELj137ELj32Eii21rocsparse_complex_numIdEEEvT5_PKS3_S5_NS_24const_host_device_scalarIT6_EEPKT4_S5_PKS7_SB_S5_SD_S8_SB_S5_SD_SB_S5_PS7_21rocsparse_index_base_SF_SF_SF_bbb
                                        ; -- End function
	.section	.AMDGPU.csdata,"",@progbits
; Kernel info:
; codeLenInByte = 4056
; NumSgprs: 48
; NumVgprs: 32
; ScratchSize: 40
; MemoryBound: 0
; FloatMode: 240
; IeeeMode: 1
; LDSByteSize: 0 bytes/workgroup (compile time only)
; SGPRBlocks: 5
; VGPRBlocks: 3
; NumSGPRsForWavesPerEU: 48
; NumVGPRsForWavesPerEU: 32
; Occupancy: 16
; WaveLimiterHint : 1
; COMPUTE_PGM_RSRC2:SCRATCH_EN: 1
; COMPUTE_PGM_RSRC2:USER_SGPR: 15
; COMPUTE_PGM_RSRC2:TRAP_HANDLER: 0
; COMPUTE_PGM_RSRC2:TGID_X_EN: 1
; COMPUTE_PGM_RSRC2:TGID_Y_EN: 0
; COMPUTE_PGM_RSRC2:TGID_Z_EN: 0
; COMPUTE_PGM_RSRC2:TIDIG_COMP_CNT: 0
	.section	.text._ZN9rocsparseL41csrgemm_numeric_fill_block_per_row_kernelILj512ELj32ELj1024ELj137ELj64Eii21rocsparse_complex_numIdEEEvT5_PKS3_S5_NS_24const_host_device_scalarIT6_EEPKT4_S5_PKS7_SB_S5_SD_S8_SB_S5_SD_SB_S5_PS7_21rocsparse_index_base_SF_SF_SF_bbb,"axG",@progbits,_ZN9rocsparseL41csrgemm_numeric_fill_block_per_row_kernelILj512ELj32ELj1024ELj137ELj64Eii21rocsparse_complex_numIdEEEvT5_PKS3_S5_NS_24const_host_device_scalarIT6_EEPKT4_S5_PKS7_SB_S5_SD_S8_SB_S5_SD_SB_S5_PS7_21rocsparse_index_base_SF_SF_SF_bbb,comdat
	.globl	_ZN9rocsparseL41csrgemm_numeric_fill_block_per_row_kernelILj512ELj32ELj1024ELj137ELj64Eii21rocsparse_complex_numIdEEEvT5_PKS3_S5_NS_24const_host_device_scalarIT6_EEPKT4_S5_PKS7_SB_S5_SD_S8_SB_S5_SD_SB_S5_PS7_21rocsparse_index_base_SF_SF_SF_bbb ; -- Begin function _ZN9rocsparseL41csrgemm_numeric_fill_block_per_row_kernelILj512ELj32ELj1024ELj137ELj64Eii21rocsparse_complex_numIdEEEvT5_PKS3_S5_NS_24const_host_device_scalarIT6_EEPKT4_S5_PKS7_SB_S5_SD_S8_SB_S5_SD_SB_S5_PS7_21rocsparse_index_base_SF_SF_SF_bbb
	.p2align	8
	.type	_ZN9rocsparseL41csrgemm_numeric_fill_block_per_row_kernelILj512ELj32ELj1024ELj137ELj64Eii21rocsparse_complex_numIdEEEvT5_PKS3_S5_NS_24const_host_device_scalarIT6_EEPKT4_S5_PKS7_SB_S5_SD_S8_SB_S5_SD_SB_S5_PS7_21rocsparse_index_base_SF_SF_SF_bbb,@function
_ZN9rocsparseL41csrgemm_numeric_fill_block_per_row_kernelILj512ELj32ELj1024ELj137ELj64Eii21rocsparse_complex_numIdEEEvT5_PKS3_S5_NS_24const_host_device_scalarIT6_EEPKT4_S5_PKS7_SB_S5_SD_S8_SB_S5_SD_SB_S5_PS7_21rocsparse_index_base_SF_SF_SF_bbb: ; @_ZN9rocsparseL41csrgemm_numeric_fill_block_per_row_kernelILj512ELj32ELj1024ELj137ELj64Eii21rocsparse_complex_numIdEEEvT5_PKS3_S5_NS_24const_host_device_scalarIT6_EEPKT4_S5_PKS7_SB_S5_SD_S8_SB_S5_SD_SB_S5_PS7_21rocsparse_index_base_SF_SF_SF_bbb
; %bb.0:
	s_clause 0x3
	s_load_b32 s33, s[0:1], 0xa8
	s_load_b128 s[4:7], s[0:1], 0x18
	s_load_b128 s[36:39], s[0:1], 0x58
	;; [unrolled: 1-line block ×3, first 2 shown]
	v_mov_b32_e32 v1, 0
	v_mov_b32_e32 v2, 0
	s_waitcnt lgkmcnt(0)
	s_bitcmp1_b32 s33, 0
	v_mov_b32_e32 v3, s4
	s_cselect_b32 s34, -1, 0
	s_bitcmp1_b32 s33, 16
	v_dual_mov_b32 v6, v2 :: v_dual_mov_b32 v5, v1
	s_cselect_b32 s2, -1, 0
	v_mov_b32_e32 v4, s5
	s_xor_b32 s14, s2, -1
	v_dual_mov_b32 v9, s36 :: v_dual_mov_b32 v10, s37
	v_cndmask_b32_e64 v7, 0, 1, s14
	s_bitcmp0_b32 s33, 0
	s_clause 0x1
	scratch_store_b64 off, v[3:4], off offset:16
	scratch_store_b64 off, v[9:10], off offset:24
	v_cmp_ne_u32_e32 vcc_lo, 1, v7
	v_dual_mov_b32 v8, v2 :: v_dual_mov_b32 v7, v1
	s_cbranch_scc1 .LBB67_3
; %bb.1:
	s_mov_b64 s[8:9], src_private_base
	s_and_b32 s3, s2, exec_lo
	s_cselect_b32 s3, s9, s5
	s_delay_alu instid0(SALU_CYCLE_1) | instskip(SKIP_2) | instid1(VALU_DEP_2)
	v_dual_mov_b32 v3, 16 :: v_dual_mov_b32 v4, s3
	v_dual_mov_b32 v8, s7 :: v_dual_mov_b32 v7, s6
	s_and_b32 vcc_lo, exec_lo, vcc_lo
	v_cndmask_b32_e64 v3, s4, v3, s2
	flat_load_b64 v[5:6], v[3:4]
	s_cbranch_vccnz .LBB67_3
; %bb.2:
	v_dual_mov_b32 v3, s4 :: v_dual_mov_b32 v4, s5
	flat_load_b64 v[7:8], v[3:4] offset:8
.LBB67_3:
	s_clause 0x4
	s_load_b64 s[12:13], s[0:1], 0x90
	s_load_b256 s[4:11], s[0:1], 0x68
	s_load_b128 s[28:31], s[0:1], 0x48
	s_load_b128 s[40:43], s[0:1], 0x8
	s_load_b256 s[16:23], s[0:1], 0x28
	s_bitcmp1_b32 s33, 8
	v_dual_mov_b32 v4, v2 :: v_dual_mov_b32 v3, v1
	s_cselect_b32 s3, -1, 0
	s_bfe_u32 s33, s33, 0x10008
	s_delay_alu instid0(SALU_CYCLE_1)
	s_cmp_eq_u32 s33, 0
	s_cbranch_scc1 .LBB67_6
; %bb.4:
	s_mov_b64 s[44:45], src_private_base
	s_and_b32 s33, s2, exec_lo
	s_cselect_b32 s33, s45, s37
	s_delay_alu instid0(SALU_CYCLE_1) | instskip(SKIP_1) | instid1(VALU_DEP_1)
	v_dual_mov_b32 v1, 24 :: v_dual_mov_b32 v2, s33
	s_and_not1_b32 vcc_lo, exec_lo, s14
	v_cndmask_b32_e64 v1, s36, v1, s2
	flat_load_b64 v[3:4], v[1:2]
	v_dual_mov_b32 v1, s38 :: v_dual_mov_b32 v2, s39
	s_cbranch_vccnz .LBB67_6
; %bb.5:
	v_dual_mov_b32 v1, s36 :: v_dual_mov_b32 v2, s37
	flat_load_b64 v[1:2], v[1:2] offset:8
.LBB67_6:
	s_load_b32 s33, s[0:1], 0x0
	s_mov_b32 s0, 0
	v_or_b32_e32 v23, 0xfffffe00, v0
	s_mov_b32 s1, s0
	s_delay_alu instid0(SALU_CYCLE_1) | instskip(SKIP_3) | instid1(VALU_DEP_2)
	v_dual_mov_b32 v10, s1 :: v_dual_lshlrev_b32 v11, 4, v0
	v_lshl_add_u32 v24, v0, 2, 0
	s_mov_b32 s36, s0
	s_mov_b32 s37, s0
	v_add3_u32 v25, v11, 0, 0x1000
	v_dual_mov_b32 v11, s36 :: v_dual_mov_b32 v14, v23
	v_dual_mov_b32 v9, s0 :: v_dual_mov_b32 v12, s37
	s_delay_alu instid0(VALU_DEP_3)
	v_dual_mov_b32 v13, v24 :: v_dual_mov_b32 v16, v25
	s_waitcnt lgkmcnt(0)
	v_mov_b32_e32 v15, s33
.LBB67_7:                               ; =>This Inner Loop Header: Depth=1
	v_add_co_u32 v14, s1, 0x200, v14
	s_delay_alu instid0(VALU_DEP_1)
	s_xor_b32 s1, s1, -1
	ds_store_b32 v13, v15
	ds_store_2addr_b64 v16, v[9:10], v[11:12] offset1:1
	v_add_nc_u32_e32 v16, 0x2000, v16
	v_add_nc_u32_e32 v13, 0x800, v13
	s_and_b32 s1, exec_lo, s1
	s_delay_alu instid0(SALU_CYCLE_1) | instskip(NEXT) | instid1(SALU_CYCLE_1)
	s_or_b32 s0, s1, s0
	s_and_not1_b32 exec_lo, exec_lo, s0
	s_cbranch_execnz .LBB67_7
; %bb.8:
	s_or_b32 exec_lo, exec_lo, s0
	s_waitcnt vmcnt(0) lgkmcnt(0)
	s_waitcnt_vscnt null, 0x0
	s_barrier
	buffer_gl0_inv
	s_load_b32 s0, s[40:41], 0x0
	s_mov_b32 s1, 0
	s_waitcnt lgkmcnt(0)
	s_add_i32 s0, s0, s15
	s_delay_alu instid0(SALU_CYCLE_1) | instskip(NEXT) | instid1(SALU_CYCLE_1)
	s_lshl_b64 s[0:1], s[0:1], 2
	s_add_u32 s0, s42, s0
	s_addc_u32 s1, s43, s1
	s_and_b32 vcc_lo, exec_lo, s34
	s_load_b32 s14, s[0:1], 0x0
	s_cbranch_vccz .LBB67_36
; %bb.9:
	s_waitcnt lgkmcnt(0)
	s_ashr_i32 s15, s14, 31
	v_lshrrev_b32_e32 v9, 5, v0
	s_lshl_b64 s[0:1], s[14:15], 2
	s_delay_alu instid0(SALU_CYCLE_1) | instskip(SKIP_1) | instid1(VALU_DEP_1)
	s_add_u32 s0, s16, s0
	s_addc_u32 s1, s17, s1
	v_subrev_nc_u32_e32 v9, s24, v9
	s_load_b64 s[0:1], s[0:1], 0x0
	s_waitcnt lgkmcnt(0)
	s_delay_alu instid0(VALU_DEP_1) | instskip(SKIP_2) | instid1(VALU_DEP_1)
	v_add_nc_u32_e32 v9, s0, v9
	s_sub_i32 s0, s1, s24
	s_mov_b32 s1, exec_lo
	v_cmpx_gt_i32_e64 s0, v9
	s_cbranch_execz .LBB67_35
; %bb.10:
	v_and_b32_e32 v10, 31, v0
	s_mov_b32 s2, 0
	s_delay_alu instid0(VALU_DEP_1)
	v_subrev_nc_u32_e32 v26, s25, v10
	s_branch .LBB67_12
.LBB67_11:                              ;   in Loop: Header=BB67_12 Depth=1
	s_or_b32 exec_lo, exec_lo, s15
	v_add_nc_u32_e32 v9, 16, v9
	s_delay_alu instid0(VALU_DEP_1) | instskip(SKIP_1) | instid1(SALU_CYCLE_1)
	v_cmp_le_i32_e32 vcc_lo, s0, v9
	s_or_b32 s2, vcc_lo, s2
	s_and_not1_b32 exec_lo, exec_lo, s2
	s_cbranch_execz .LBB67_35
.LBB67_12:                              ; =>This Loop Header: Depth=1
                                        ;     Child Loop BB67_15 Depth 2
                                        ;       Child Loop BB67_17 Depth 3
                                        ;         Child Loop BB67_23 Depth 4
                                        ;         Child Loop BB67_25 Depth 4
	;; [unrolled: 1-line block ×4, first 2 shown]
	v_ashrrev_i32_e32 v10, 31, v9
	s_mov_b32 s15, exec_lo
	s_delay_alu instid0(VALU_DEP_1) | instskip(NEXT) | instid1(VALU_DEP_1)
	v_lshlrev_b64 v[11:12], 2, v[9:10]
	v_add_co_u32 v11, vcc_lo, s18, v11
	s_delay_alu instid0(VALU_DEP_2) | instskip(SKIP_3) | instid1(VALU_DEP_1)
	v_add_co_ci_u32_e32 v12, vcc_lo, s19, v12, vcc_lo
	global_load_b32 v11, v[11:12], off
	s_waitcnt vmcnt(0)
	v_subrev_nc_u32_e32 v11, s24, v11
	v_ashrrev_i32_e32 v12, 31, v11
	s_delay_alu instid0(VALU_DEP_1) | instskip(NEXT) | instid1(VALU_DEP_1)
	v_lshlrev_b64 v[11:12], 2, v[11:12]
	v_add_co_u32 v11, vcc_lo, s22, v11
	s_delay_alu instid0(VALU_DEP_2) | instskip(SKIP_4) | instid1(VALU_DEP_1)
	v_add_co_ci_u32_e32 v12, vcc_lo, s23, v12, vcc_lo
	global_load_b64 v[11:12], v[11:12], off
	s_waitcnt vmcnt(0)
	v_subrev_nc_u32_e32 v27, s25, v12
	v_add_nc_u32_e32 v11, v11, v26
	v_cmpx_lt_i32_e64 v11, v27
	s_cbranch_execz .LBB67_11
; %bb.13:                               ;   in Loop: Header=BB67_12 Depth=1
	v_lshlrev_b64 v[12:13], 4, v[9:10]
	s_mov_b32 s16, 0
	s_delay_alu instid0(VALU_DEP_1) | instskip(NEXT) | instid1(VALU_DEP_2)
	v_add_co_u32 v12, vcc_lo, s20, v12
	v_add_co_ci_u32_e32 v13, vcc_lo, s21, v13, vcc_lo
	global_load_b128 v[15:18], v[12:13], off
	s_waitcnt vmcnt(0)
	v_mul_f64 v[12:13], v[17:18], -v[7:8]
	v_mul_f64 v[17:18], v[5:6], v[17:18]
	s_delay_alu instid0(VALU_DEP_2) | instskip(NEXT) | instid1(VALU_DEP_2)
	v_fma_f64 v[13:14], v[5:6], v[15:16], v[12:13]
	v_fma_f64 v[15:16], v[7:8], v[15:16], v[17:18]
	s_branch .LBB67_15
.LBB67_14:                              ;   in Loop: Header=BB67_15 Depth=2
	s_or_b32 exec_lo, exec_lo, s17
	v_add_nc_u32_e32 v11, 32, v11
	s_delay_alu instid0(VALU_DEP_1) | instskip(SKIP_1) | instid1(SALU_CYCLE_1)
	v_cmp_ge_i32_e32 vcc_lo, v11, v27
	s_or_b32 s16, vcc_lo, s16
	s_and_not1_b32 exec_lo, exec_lo, s16
	s_cbranch_execz .LBB67_11
.LBB67_15:                              ;   Parent Loop BB67_12 Depth=1
                                        ; =>  This Loop Header: Depth=2
                                        ;       Child Loop BB67_17 Depth 3
                                        ;         Child Loop BB67_23 Depth 4
                                        ;         Child Loop BB67_25 Depth 4
	;; [unrolled: 1-line block ×4, first 2 shown]
	v_ashrrev_i32_e32 v12, 31, v11
	s_mov_b32 s17, 0
	s_delay_alu instid0(VALU_DEP_1) | instskip(NEXT) | instid1(VALU_DEP_1)
	v_lshlrev_b64 v[17:18], 4, v[11:12]
	v_add_co_u32 v17, vcc_lo, s30, v17
	s_delay_alu instid0(VALU_DEP_2) | instskip(SKIP_2) | instid1(VALU_DEP_1)
	v_add_co_ci_u32_e32 v18, vcc_lo, s31, v18, vcc_lo
	global_load_b128 v[19:22], v[17:18], off
	v_lshlrev_b64 v[17:18], 2, v[11:12]
	v_add_co_u32 v17, vcc_lo, s28, v17
	s_delay_alu instid0(VALU_DEP_2)
	v_add_co_ci_u32_e32 v18, vcc_lo, s29, v18, vcc_lo
	global_load_b32 v10, v[17:18], off
	s_waitcnt vmcnt(1)
	v_mul_f64 v[17:18], v[21:22], -v[15:16]
	v_mul_f64 v[21:22], v[13:14], v[21:22]
	s_waitcnt vmcnt(0)
	v_subrev_nc_u32_e32 v10, s25, v10
	s_delay_alu instid0(VALU_DEP_1) | instskip(NEXT) | instid1(VALU_DEP_1)
	v_mul_lo_u32 v12, 0x89, v10
	v_and_b32_e32 v12, 0x3ff, v12
	v_fma_f64 v[17:18], v[13:14], v[19:20], v[17:18]
	v_fma_f64 v[19:20], v[15:16], v[19:20], v[21:22]
	s_branch .LBB67_17
.LBB67_16:                              ;   in Loop: Header=BB67_17 Depth=3
	s_or_b32 exec_lo, exec_lo, s34
	s_xor_b32 s34, s35, -1
	s_delay_alu instid0(SALU_CYCLE_1) | instskip(NEXT) | instid1(SALU_CYCLE_1)
	s_and_b32 s34, exec_lo, s34
	s_or_b32 s17, s34, s17
	s_delay_alu instid0(SALU_CYCLE_1)
	s_and_not1_b32 exec_lo, exec_lo, s17
	s_cbranch_execz .LBB67_14
.LBB67_17:                              ;   Parent Loop BB67_12 Depth=1
                                        ;     Parent Loop BB67_15 Depth=2
                                        ; =>    This Loop Header: Depth=3
                                        ;         Child Loop BB67_23 Depth 4
                                        ;         Child Loop BB67_25 Depth 4
	;; [unrolled: 1-line block ×4, first 2 shown]
	s_delay_alu instid0(VALU_DEP_3)
	v_lshl_add_u32 v21, v12, 2, 0
	s_mov_b32 s34, exec_lo
                                        ; implicit-def: $sgpr35
	ds_load_b32 v22, v21
	s_waitcnt lgkmcnt(0)
	v_cmpx_ne_u32_e64 v22, v10
	s_xor_b32 s34, exec_lo, s34
	s_cbranch_execz .LBB67_29
; %bb.18:                               ;   in Loop: Header=BB67_17 Depth=3
	s_mov_b32 s36, exec_lo
                                        ; implicit-def: $sgpr35
	v_cmpx_ne_u32_e64 s33, v22
	s_xor_b32 s36, exec_lo, s36
; %bb.19:                               ;   in Loop: Header=BB67_17 Depth=3
	v_add_nc_u32_e32 v12, 1, v12
	s_mov_b32 s35, -1
                                        ; implicit-def: $vgpr21
	s_delay_alu instid0(VALU_DEP_1)
	v_and_b32_e32 v12, 0x3ff, v12
; %bb.20:                               ;   in Loop: Header=BB67_17 Depth=3
	s_and_not1_saveexec_b32 s36, s36
	s_cbranch_execz .LBB67_28
; %bb.21:                               ;   in Loop: Header=BB67_17 Depth=3
	v_mov_b32_e32 v22, s33
	s_mov_b32 s38, -1
	s_mov_b32 s37, exec_lo
	ds_cmpstore_rtn_b32 v22, v21, v10, v22
	s_waitcnt lgkmcnt(0)
	v_cmpx_eq_u32_e64 s33, v22
	s_cbranch_execz .LBB67_27
; %bb.22:                               ;   in Loop: Header=BB67_17 Depth=3
	v_mul_lo_u32 v22, v12, 12
	s_mov_b32 s38, 0
	s_delay_alu instid0(VALU_DEP_1)
	v_add_nc_u32_e32 v28, v21, v22
	ds_load_b64 v[21:22], v28 offset:4096
.LBB67_23:                              ;   Parent Loop BB67_12 Depth=1
                                        ;     Parent Loop BB67_15 Depth=2
                                        ;       Parent Loop BB67_17 Depth=3
                                        ; =>      This Inner Loop Header: Depth=4
	s_waitcnt lgkmcnt(0)
	v_add_f64 v[29:30], v[21:22], v[17:18]
	ds_cmpstore_rtn_b64 v[29:30], v28, v[29:30], v[21:22] offset:4096
	s_waitcnt lgkmcnt(0)
	v_cmp_eq_u64_e32 vcc_lo, v[29:30], v[21:22]
	v_dual_mov_b32 v21, v29 :: v_dual_mov_b32 v22, v30
	s_or_b32 s38, vcc_lo, s38
	s_delay_alu instid0(SALU_CYCLE_1)
	s_and_not1_b32 exec_lo, exec_lo, s38
	s_cbranch_execnz .LBB67_23
; %bb.24:                               ;   in Loop: Header=BB67_17 Depth=3
	s_or_b32 exec_lo, exec_lo, s38
	ds_load_b64 v[21:22], v28 offset:4104
	s_mov_b32 s38, 0
.LBB67_25:                              ;   Parent Loop BB67_12 Depth=1
                                        ;     Parent Loop BB67_15 Depth=2
                                        ;       Parent Loop BB67_17 Depth=3
                                        ; =>      This Inner Loop Header: Depth=4
	s_waitcnt lgkmcnt(0)
	v_add_f64 v[29:30], v[21:22], v[19:20]
	ds_cmpstore_rtn_b64 v[29:30], v28, v[29:30], v[21:22] offset:4104
	s_waitcnt lgkmcnt(0)
	v_cmp_eq_u64_e32 vcc_lo, v[29:30], v[21:22]
	v_dual_mov_b32 v21, v29 :: v_dual_mov_b32 v22, v30
	s_or_b32 s38, vcc_lo, s38
	s_delay_alu instid0(SALU_CYCLE_1)
	s_and_not1_b32 exec_lo, exec_lo, s38
	s_cbranch_execnz .LBB67_25
; %bb.26:                               ;   in Loop: Header=BB67_17 Depth=3
	s_or_b32 exec_lo, exec_lo, s38
	s_delay_alu instid0(SALU_CYCLE_1)
	s_xor_b32 s38, exec_lo, -1
.LBB67_27:                              ;   in Loop: Header=BB67_17 Depth=3
	s_or_b32 exec_lo, exec_lo, s37
	s_delay_alu instid0(SALU_CYCLE_1) | instskip(SKIP_1) | instid1(SALU_CYCLE_1)
	s_and_not1_b32 s35, s35, exec_lo
	s_and_b32 s37, s38, exec_lo
	s_or_b32 s35, s35, s37
.LBB67_28:                              ;   in Loop: Header=BB67_17 Depth=3
	s_or_b32 exec_lo, exec_lo, s36
	s_delay_alu instid0(SALU_CYCLE_1)
	s_and_b32 s35, s35, exec_lo
                                        ; implicit-def: $vgpr21
.LBB67_29:                              ;   in Loop: Header=BB67_17 Depth=3
	s_and_not1_saveexec_b32 s34, s34
	s_cbranch_execz .LBB67_16
; %bb.30:                               ;   in Loop: Header=BB67_17 Depth=3
	v_mul_lo_u32 v22, v12, 12
	s_mov_b32 s36, 0
	s_delay_alu instid0(VALU_DEP_1)
	v_add_nc_u32_e32 v28, v21, v22
	ds_load_b64 v[21:22], v28 offset:4096
.LBB67_31:                              ;   Parent Loop BB67_12 Depth=1
                                        ;     Parent Loop BB67_15 Depth=2
                                        ;       Parent Loop BB67_17 Depth=3
                                        ; =>      This Inner Loop Header: Depth=4
	s_waitcnt lgkmcnt(0)
	v_add_f64 v[29:30], v[21:22], v[17:18]
	ds_cmpstore_rtn_b64 v[29:30], v28, v[29:30], v[21:22] offset:4096
	s_waitcnt lgkmcnt(0)
	v_cmp_eq_u64_e32 vcc_lo, v[29:30], v[21:22]
	v_dual_mov_b32 v21, v29 :: v_dual_mov_b32 v22, v30
	s_or_b32 s36, vcc_lo, s36
	s_delay_alu instid0(SALU_CYCLE_1)
	s_and_not1_b32 exec_lo, exec_lo, s36
	s_cbranch_execnz .LBB67_31
; %bb.32:                               ;   in Loop: Header=BB67_17 Depth=3
	s_or_b32 exec_lo, exec_lo, s36
	ds_load_b64 v[21:22], v28 offset:4104
	s_mov_b32 s36, 0
.LBB67_33:                              ;   Parent Loop BB67_12 Depth=1
                                        ;     Parent Loop BB67_15 Depth=2
                                        ;       Parent Loop BB67_17 Depth=3
                                        ; =>      This Inner Loop Header: Depth=4
	s_waitcnt lgkmcnt(0)
	v_add_f64 v[29:30], v[21:22], v[19:20]
	ds_cmpstore_rtn_b64 v[29:30], v28, v[29:30], v[21:22] offset:4104
	s_waitcnt lgkmcnt(0)
	v_cmp_eq_u64_e32 vcc_lo, v[29:30], v[21:22]
	v_dual_mov_b32 v21, v29 :: v_dual_mov_b32 v22, v30
	s_or_b32 s36, vcc_lo, s36
	s_delay_alu instid0(SALU_CYCLE_1)
	s_and_not1_b32 exec_lo, exec_lo, s36
	s_cbranch_execnz .LBB67_33
; %bb.34:                               ;   in Loop: Header=BB67_17 Depth=3
	s_or_b32 exec_lo, exec_lo, s36
	s_delay_alu instid0(SALU_CYCLE_1)
	s_and_not1_b32 s35, s35, exec_lo
	s_branch .LBB67_16
.LBB67_35:
	s_or_b32 exec_lo, exec_lo, s1
.LBB67_36:
	s_delay_alu instid0(SALU_CYCLE_1)
	s_and_not1_b32 vcc_lo, exec_lo, s3
	s_cbranch_vccnz .LBB67_61
; %bb.37:
	s_waitcnt lgkmcnt(0)
	s_ashr_i32 s15, s14, 31
	v_subrev_nc_u32_e32 v5, s27, v0
	s_lshl_b64 s[0:1], s[14:15], 2
	s_delay_alu instid0(SALU_CYCLE_1)
	s_add_u32 s0, s4, s0
	s_addc_u32 s1, s5, s1
	s_load_b64 s[0:1], s[0:1], 0x0
	s_waitcnt lgkmcnt(0)
	v_add_nc_u32_e32 v5, s0, v5
	s_sub_i32 s0, s1, s27
	s_mov_b32 s1, exec_lo
	s_delay_alu instid0(VALU_DEP_1)
	v_cmpx_gt_i32_e64 s0, v5
	s_cbranch_execz .LBB67_60
; %bb.38:
	s_mov_b32 s2, 0
	s_branch .LBB67_40
.LBB67_39:                              ;   in Loop: Header=BB67_40 Depth=1
	s_or_b32 exec_lo, exec_lo, s3
	v_add_nc_u32_e32 v5, 0x200, v5
	s_delay_alu instid0(VALU_DEP_1) | instskip(SKIP_1) | instid1(SALU_CYCLE_1)
	v_cmp_le_i32_e32 vcc_lo, s0, v5
	s_or_b32 s2, vcc_lo, s2
	s_and_not1_b32 exec_lo, exec_lo, s2
	s_cbranch_execz .LBB67_60
.LBB67_40:                              ; =>This Loop Header: Depth=1
                                        ;     Child Loop BB67_42 Depth 2
                                        ;       Child Loop BB67_48 Depth 3
                                        ;       Child Loop BB67_50 Depth 3
	;; [unrolled: 1-line block ×4, first 2 shown]
	v_ashrrev_i32_e32 v6, 31, v5
	s_mov_b32 s3, 0
	s_delay_alu instid0(VALU_DEP_1) | instskip(NEXT) | instid1(VALU_DEP_1)
	v_lshlrev_b64 v[7:8], 4, v[5:6]
	v_add_co_u32 v7, vcc_lo, s8, v7
	s_delay_alu instid0(VALU_DEP_2) | instskip(SKIP_2) | instid1(VALU_DEP_1)
	v_add_co_ci_u32_e32 v8, vcc_lo, s9, v8, vcc_lo
	global_load_b128 v[8:11], v[7:8], off
	v_lshlrev_b64 v[6:7], 2, v[5:6]
	v_add_co_u32 v6, vcc_lo, s6, v6
	s_delay_alu instid0(VALU_DEP_2)
	v_add_co_ci_u32_e32 v7, vcc_lo, s7, v7, vcc_lo
	global_load_b32 v12, v[6:7], off
	s_waitcnt vmcnt(1)
	v_mul_f64 v[6:7], v[10:11], -v[1:2]
	v_mul_f64 v[10:11], v[3:4], v[10:11]
	s_waitcnt vmcnt(0)
	v_subrev_nc_u32_e32 v12, s27, v12
	s_delay_alu instid0(VALU_DEP_3) | instskip(NEXT) | instid1(VALU_DEP_3)
	v_fma_f64 v[6:7], v[3:4], v[8:9], v[6:7]
	v_fma_f64 v[8:9], v[1:2], v[8:9], v[10:11]
	s_delay_alu instid0(VALU_DEP_3) | instskip(NEXT) | instid1(VALU_DEP_1)
	v_mul_lo_u32 v10, 0x89, v12
	v_and_b32_e32 v13, 0x3ff, v10
	s_branch .LBB67_42
.LBB67_41:                              ;   in Loop: Header=BB67_42 Depth=2
	s_or_b32 exec_lo, exec_lo, s4
	s_xor_b32 s4, s5, -1
	s_delay_alu instid0(SALU_CYCLE_1) | instskip(NEXT) | instid1(SALU_CYCLE_1)
	s_and_b32 s4, exec_lo, s4
	s_or_b32 s3, s4, s3
	s_delay_alu instid0(SALU_CYCLE_1)
	s_and_not1_b32 exec_lo, exec_lo, s3
	s_cbranch_execz .LBB67_39
.LBB67_42:                              ;   Parent Loop BB67_40 Depth=1
                                        ; =>  This Loop Header: Depth=2
                                        ;       Child Loop BB67_48 Depth 3
                                        ;       Child Loop BB67_50 Depth 3
	;; [unrolled: 1-line block ×4, first 2 shown]
	s_delay_alu instid0(VALU_DEP_1)
	v_lshl_add_u32 v10, v13, 2, 0
	s_mov_b32 s4, exec_lo
                                        ; implicit-def: $sgpr5
	ds_load_b32 v11, v10
	s_waitcnt lgkmcnt(0)
	v_cmpx_ne_u32_e64 v11, v12
	s_xor_b32 s4, exec_lo, s4
	s_cbranch_execz .LBB67_54
; %bb.43:                               ;   in Loop: Header=BB67_42 Depth=2
	s_mov_b32 s15, exec_lo
                                        ; implicit-def: $sgpr5
	v_cmpx_ne_u32_e64 s33, v11
	s_xor_b32 s15, exec_lo, s15
; %bb.44:                               ;   in Loop: Header=BB67_42 Depth=2
	v_add_nc_u32_e32 v10, 1, v13
	s_mov_b32 s5, -1
	s_delay_alu instid0(VALU_DEP_1)
	v_and_b32_e32 v13, 0x3ff, v10
                                        ; implicit-def: $vgpr10
; %bb.45:                               ;   in Loop: Header=BB67_42 Depth=2
	s_and_not1_saveexec_b32 s15, s15
	s_cbranch_execz .LBB67_53
; %bb.46:                               ;   in Loop: Header=BB67_42 Depth=2
	v_mov_b32_e32 v11, s33
	s_mov_b32 s17, -1
	s_mov_b32 s16, exec_lo
	ds_cmpstore_rtn_b32 v11, v10, v12, v11
	s_waitcnt lgkmcnt(0)
	v_cmpx_eq_u32_e64 s33, v11
	s_cbranch_execz .LBB67_52
; %bb.47:                               ;   in Loop: Header=BB67_42 Depth=2
	v_mul_lo_u32 v11, v13, 12
	s_mov_b32 s17, 0
	s_delay_alu instid0(VALU_DEP_1)
	v_add_nc_u32_e32 v14, v10, v11
	ds_load_b64 v[10:11], v14 offset:4096
.LBB67_48:                              ;   Parent Loop BB67_40 Depth=1
                                        ;     Parent Loop BB67_42 Depth=2
                                        ; =>    This Inner Loop Header: Depth=3
	s_waitcnt lgkmcnt(0)
	v_add_f64 v[15:16], v[10:11], v[6:7]
	ds_cmpstore_rtn_b64 v[15:16], v14, v[15:16], v[10:11] offset:4096
	s_waitcnt lgkmcnt(0)
	v_cmp_eq_u64_e32 vcc_lo, v[15:16], v[10:11]
	v_dual_mov_b32 v10, v15 :: v_dual_mov_b32 v11, v16
	s_or_b32 s17, vcc_lo, s17
	s_delay_alu instid0(SALU_CYCLE_1)
	s_and_not1_b32 exec_lo, exec_lo, s17
	s_cbranch_execnz .LBB67_48
; %bb.49:                               ;   in Loop: Header=BB67_42 Depth=2
	s_or_b32 exec_lo, exec_lo, s17
	ds_load_b64 v[10:11], v14 offset:4104
	s_mov_b32 s17, 0
.LBB67_50:                              ;   Parent Loop BB67_40 Depth=1
                                        ;     Parent Loop BB67_42 Depth=2
                                        ; =>    This Inner Loop Header: Depth=3
	s_waitcnt lgkmcnt(0)
	v_add_f64 v[15:16], v[10:11], v[8:9]
	ds_cmpstore_rtn_b64 v[15:16], v14, v[15:16], v[10:11] offset:4104
	s_waitcnt lgkmcnt(0)
	v_cmp_eq_u64_e32 vcc_lo, v[15:16], v[10:11]
	v_dual_mov_b32 v10, v15 :: v_dual_mov_b32 v11, v16
	s_or_b32 s17, vcc_lo, s17
	s_delay_alu instid0(SALU_CYCLE_1)
	s_and_not1_b32 exec_lo, exec_lo, s17
	s_cbranch_execnz .LBB67_50
; %bb.51:                               ;   in Loop: Header=BB67_42 Depth=2
	s_or_b32 exec_lo, exec_lo, s17
	s_delay_alu instid0(SALU_CYCLE_1)
	s_xor_b32 s17, exec_lo, -1
.LBB67_52:                              ;   in Loop: Header=BB67_42 Depth=2
	s_or_b32 exec_lo, exec_lo, s16
	s_delay_alu instid0(SALU_CYCLE_1) | instskip(SKIP_1) | instid1(SALU_CYCLE_1)
	s_and_not1_b32 s5, s5, exec_lo
	s_and_b32 s16, s17, exec_lo
	s_or_b32 s5, s5, s16
.LBB67_53:                              ;   in Loop: Header=BB67_42 Depth=2
	s_or_b32 exec_lo, exec_lo, s15
	s_delay_alu instid0(SALU_CYCLE_1)
	s_and_b32 s5, s5, exec_lo
                                        ; implicit-def: $vgpr10
.LBB67_54:                              ;   in Loop: Header=BB67_42 Depth=2
	s_and_not1_saveexec_b32 s4, s4
	s_cbranch_execz .LBB67_41
; %bb.55:                               ;   in Loop: Header=BB67_42 Depth=2
	v_mul_lo_u32 v11, v13, 12
	s_mov_b32 s15, 0
	s_delay_alu instid0(VALU_DEP_1)
	v_add_nc_u32_e32 v14, v10, v11
	ds_load_b64 v[10:11], v14 offset:4096
.LBB67_56:                              ;   Parent Loop BB67_40 Depth=1
                                        ;     Parent Loop BB67_42 Depth=2
                                        ; =>    This Inner Loop Header: Depth=3
	s_waitcnt lgkmcnt(0)
	v_add_f64 v[15:16], v[10:11], v[6:7]
	ds_cmpstore_rtn_b64 v[15:16], v14, v[15:16], v[10:11] offset:4096
	s_waitcnt lgkmcnt(0)
	v_cmp_eq_u64_e32 vcc_lo, v[15:16], v[10:11]
	v_dual_mov_b32 v10, v15 :: v_dual_mov_b32 v11, v16
	s_or_b32 s15, vcc_lo, s15
	s_delay_alu instid0(SALU_CYCLE_1)
	s_and_not1_b32 exec_lo, exec_lo, s15
	s_cbranch_execnz .LBB67_56
; %bb.57:                               ;   in Loop: Header=BB67_42 Depth=2
	s_or_b32 exec_lo, exec_lo, s15
	ds_load_b64 v[10:11], v14 offset:4104
	s_mov_b32 s15, 0
.LBB67_58:                              ;   Parent Loop BB67_40 Depth=1
                                        ;     Parent Loop BB67_42 Depth=2
                                        ; =>    This Inner Loop Header: Depth=3
	s_waitcnt lgkmcnt(0)
	v_add_f64 v[15:16], v[10:11], v[8:9]
	ds_cmpstore_rtn_b64 v[15:16], v14, v[15:16], v[10:11] offset:4104
	s_waitcnt lgkmcnt(0)
	v_cmp_eq_u64_e32 vcc_lo, v[15:16], v[10:11]
	v_dual_mov_b32 v10, v15 :: v_dual_mov_b32 v11, v16
	s_or_b32 s15, vcc_lo, s15
	s_delay_alu instid0(SALU_CYCLE_1)
	s_and_not1_b32 exec_lo, exec_lo, s15
	s_cbranch_execnz .LBB67_58
; %bb.59:                               ;   in Loop: Header=BB67_42 Depth=2
	s_or_b32 exec_lo, exec_lo, s15
	s_delay_alu instid0(SALU_CYCLE_1)
	s_and_not1_b32 s5, s5, exec_lo
	s_branch .LBB67_41
.LBB67_60:
	s_or_b32 exec_lo, exec_lo, s1
.LBB67_61:
	v_mbcnt_lo_u32_b32 v1, -1, 0
	v_lshrrev_b32_e32 v2, 4, v0
	v_cmp_eq_u32_e32 vcc_lo, 0x1ff, v0
	v_cmp_lt_u32_e64 s0, 63, v0
	v_cmp_lt_u32_e64 s1, 0x7f, v0
	v_xor_b32_e32 v1, 63, v1
	v_dual_mov_b32 v4, 0 :: v_dual_and_b32 v3, 28, v2
	v_cmp_lt_u32_e64 s2, 0xbf, v0
	v_cmp_lt_u32_e64 s3, 0xff, v0
	s_delay_alu instid0(VALU_DEP_4) | instskip(NEXT) | instid1(VALU_DEP_4)
	v_lshrrev_b64 v[1:2], v1, -1
	v_dual_mov_b32 v3, 0 :: v_dual_add_nc_u32 v2, 0, v3
	v_cmp_lt_u32_e64 s4, 0x13f, v0
	v_cmp_lt_u32_e64 s5, 0x17f, v0
	;; [unrolled: 1-line block ×3, first 2 shown]
	s_mov_b32 s8, 0
	s_waitcnt lgkmcnt(0)
	s_barrier
	buffer_gl0_inv
	s_branch .LBB67_63
.LBB67_62:                              ;   in Loop: Header=BB67_63 Depth=1
	s_or_b32 exec_lo, exec_lo, s7
	s_waitcnt lgkmcnt(0)
	s_barrier
	buffer_gl0_inv
	ds_load_b32 v5, v3 offset:20508
	v_add_co_u32 v23, s7, 0x200, v23
	s_delay_alu instid0(VALU_DEP_1) | instskip(SKIP_3) | instid1(SALU_CYCLE_1)
	s_xor_b32 s7, s7, -1
	v_add_nc_u32_e32 v25, 0x2000, v25
	v_add_nc_u32_e32 v24, 0x800, v24
	s_and_b32 s7, exec_lo, s7
	s_or_b32 s8, s7, s8
	s_waitcnt lgkmcnt(0)
	v_add_nc_u32_e32 v4, v5, v4
	s_and_not1_b32 exec_lo, exec_lo, s8
	s_cbranch_execz .LBB67_81
.LBB67_63:                              ; =>This Inner Loop Header: Depth=1
	ds_load_b32 v5, v24
	ds_load_2addr_b64 v[6:9], v25 offset1:1
	s_waitcnt lgkmcnt(1)
	v_cmp_gt_i32_e64 s7, s33, v5
	s_waitcnt lgkmcnt(0)
	scratch_store_b128 off, v[6:9], off
	s_waitcnt_vscnt null, 0x0
	s_barrier
	buffer_gl0_inv
	s_bcnt1_i32_b32 s9, s7
	s_delay_alu instid0(SALU_CYCLE_1) | instskip(NEXT) | instid1(VALU_DEP_1)
	v_dual_mov_b32 v7, s9 :: v_dual_and_b32 v6, s7, v1
	v_bcnt_u32_b32 v6, v6, 0
	ds_store_b32 v2, v7 offset:20480
	s_waitcnt lgkmcnt(0)
	s_barrier
	buffer_gl0_inv
	s_and_saveexec_b32 s9, s0
	s_cbranch_execnz .LBB67_72
; %bb.64:                               ;   in Loop: Header=BB67_63 Depth=1
	s_or_b32 exec_lo, exec_lo, s9
	s_and_saveexec_b32 s9, s1
	s_cbranch_execnz .LBB67_73
.LBB67_65:                              ;   in Loop: Header=BB67_63 Depth=1
	s_or_b32 exec_lo, exec_lo, s9
	s_and_saveexec_b32 s9, s2
	s_cbranch_execnz .LBB67_74
.LBB67_66:                              ;   in Loop: Header=BB67_63 Depth=1
	s_or_b32 exec_lo, exec_lo, s9
	s_and_saveexec_b32 s9, s3
	s_cbranch_execnz .LBB67_75
.LBB67_67:                              ;   in Loop: Header=BB67_63 Depth=1
	s_or_b32 exec_lo, exec_lo, s9
	s_and_saveexec_b32 s9, s4
	s_cbranch_execnz .LBB67_76
.LBB67_68:                              ;   in Loop: Header=BB67_63 Depth=1
	s_or_b32 exec_lo, exec_lo, s9
	s_and_saveexec_b32 s9, s5
	s_cbranch_execnz .LBB67_77
.LBB67_69:                              ;   in Loop: Header=BB67_63 Depth=1
	s_or_b32 exec_lo, exec_lo, s9
	s_and_saveexec_b32 s9, s6
	s_cbranch_execnz .LBB67_78
.LBB67_70:                              ;   in Loop: Header=BB67_63 Depth=1
	s_or_b32 exec_lo, exec_lo, s9
	s_and_saveexec_b32 s9, s7
	s_cbranch_execnz .LBB67_79
.LBB67_71:                              ;   in Loop: Header=BB67_63 Depth=1
	s_or_b32 exec_lo, exec_lo, s9
	s_and_saveexec_b32 s7, vcc_lo
	s_cbranch_execz .LBB67_62
	s_branch .LBB67_80
.LBB67_72:                              ;   in Loop: Header=BB67_63 Depth=1
	ds_load_b32 v7, v3 offset:20480
	s_waitcnt lgkmcnt(0)
	v_add_nc_u32_e32 v6, v7, v6
	s_or_b32 exec_lo, exec_lo, s9
	s_and_saveexec_b32 s9, s1
	s_cbranch_execz .LBB67_65
.LBB67_73:                              ;   in Loop: Header=BB67_63 Depth=1
	ds_load_b32 v7, v3 offset:20484
	s_waitcnt lgkmcnt(0)
	v_add_nc_u32_e32 v6, v7, v6
	s_or_b32 exec_lo, exec_lo, s9
	s_and_saveexec_b32 s9, s2
	s_cbranch_execz .LBB67_66
.LBB67_74:                              ;   in Loop: Header=BB67_63 Depth=1
	ds_load_b32 v7, v3 offset:20488
	s_waitcnt lgkmcnt(0)
	v_add_nc_u32_e32 v6, v7, v6
	s_or_b32 exec_lo, exec_lo, s9
	s_and_saveexec_b32 s9, s3
	s_cbranch_execz .LBB67_67
.LBB67_75:                              ;   in Loop: Header=BB67_63 Depth=1
	ds_load_b32 v7, v3 offset:20492
	s_waitcnt lgkmcnt(0)
	v_add_nc_u32_e32 v6, v7, v6
	s_or_b32 exec_lo, exec_lo, s9
	s_and_saveexec_b32 s9, s4
	s_cbranch_execz .LBB67_68
.LBB67_76:                              ;   in Loop: Header=BB67_63 Depth=1
	ds_load_b32 v7, v3 offset:20496
	s_waitcnt lgkmcnt(0)
	v_add_nc_u32_e32 v6, v7, v6
	s_or_b32 exec_lo, exec_lo, s9
	s_and_saveexec_b32 s9, s5
	s_cbranch_execz .LBB67_69
.LBB67_77:                              ;   in Loop: Header=BB67_63 Depth=1
	ds_load_b32 v7, v3 offset:20500
	s_waitcnt lgkmcnt(0)
	v_add_nc_u32_e32 v6, v7, v6
	s_or_b32 exec_lo, exec_lo, s9
	s_and_saveexec_b32 s9, s6
	s_cbranch_execz .LBB67_70
.LBB67_78:                              ;   in Loop: Header=BB67_63 Depth=1
	ds_load_b32 v7, v3 offset:20504
	s_waitcnt lgkmcnt(0)
	v_add_nc_u32_e32 v6, v7, v6
	s_or_b32 exec_lo, exec_lo, s9
	s_and_saveexec_b32 s9, s7
	s_cbranch_execz .LBB67_71
.LBB67_79:                              ;   in Loop: Header=BB67_63 Depth=1
	scratch_load_b128 v[7:10], off, off
	v_add3_u32 v11, v4, -1, v6
	s_delay_alu instid0(VALU_DEP_1) | instskip(SKIP_1) | instid1(VALU_DEP_2)
	v_lshlrev_b32_e32 v12, 4, v11
	v_lshl_add_u32 v11, v11, 2, 0
	v_add3_u32 v12, 0, v12, 0x1000
	ds_store_b32 v11, v5
	s_waitcnt vmcnt(0)
	ds_store_2addr_b64 v12, v[7:8], v[9:10] offset1:1
	s_or_b32 exec_lo, exec_lo, s9
	s_and_saveexec_b32 s7, vcc_lo
	s_cbranch_execz .LBB67_62
.LBB67_80:                              ;   in Loop: Header=BB67_63 Depth=1
	ds_store_b32 v3, v6 offset:20508
	s_branch .LBB67_62
.LBB67_81:
	s_or_b32 exec_lo, exec_lo, s8
	s_ashr_i32 s15, s14, 31
	s_mov_b32 s3, exec_lo
	s_lshl_b64 s[0:1], s[14:15], 2
	s_delay_alu instid0(SALU_CYCLE_1) | instskip(SKIP_4) | instid1(SALU_CYCLE_1)
	s_add_u32 s0, s10, s0
	s_addc_u32 s1, s11, s1
	s_load_b64 s[0:1], s[0:1], 0x0
	s_waitcnt lgkmcnt(0)
	s_sub_i32 s2, s1, s0
	v_cmpx_gt_i32_e64 s2, v0
	s_cbranch_execz .LBB67_91
; %bb.82:
	s_sub_i32 s3, s0, s26
	s_sub_i32 s0, s0, s1
	s_and_b32 s1, s2, 7
	s_cmp_lt_u32 s0, -7
	s_mov_b32 s7, 0
	s_cselect_b32 s4, -1, 0
	s_and_b32 s5, s2, -8
	s_cmp_lg_u32 s1, 0
	s_cselect_b32 s6, -1, 0
	s_branch .LBB67_84
.LBB67_83:                              ;   in Loop: Header=BB67_84 Depth=1
	s_waitcnt lgkmcnt(0)
	v_mul_lo_u32 v3, v0, 12
	v_add_nc_u32_e32 v0, 0x200, v0
	s_delay_alu instid0(VALU_DEP_1) | instskip(NEXT) | instid1(VALU_DEP_3)
	v_cmp_le_i32_e32 vcc_lo, s2, v0
	v_add3_u32 v2, v2, v3, 0x1000
	s_or_b32 s7, vcc_lo, s7
	ds_load_2addr_b64 v[3:6], v2 offset1:1
	v_ashrrev_i32_e32 v2, 31, v1
	s_delay_alu instid0(VALU_DEP_1) | instskip(NEXT) | instid1(VALU_DEP_1)
	v_lshlrev_b64 v[1:2], 4, v[1:2]
	v_add_co_u32 v1, s0, s12, v1
	s_delay_alu instid0(VALU_DEP_1)
	v_add_co_ci_u32_e64 v2, s0, s13, v2, s0
	s_waitcnt lgkmcnt(0)
	global_store_b128 v[1:2], v[3:6], off
	s_and_not1_b32 exec_lo, exec_lo, s7
	s_cbranch_execz .LBB67_91
.LBB67_84:                              ; =>This Loop Header: Depth=1
                                        ;     Child Loop BB67_86 Depth 2
                                        ;     Child Loop BB67_90 Depth 2
	v_lshl_add_u32 v2, v0, 2, 0
	v_mov_b32_e32 v1, s3
	s_and_not1_b32 vcc_lo, exec_lo, s4
	s_mov_b32 s0, 0
	ds_load_b32 v3, v2
	s_cbranch_vccnz .LBB67_88
; %bb.85:                               ;   in Loop: Header=BB67_84 Depth=1
	v_mov_b32_e32 v1, s3
	s_mov_b32 s8, 0
	s_set_inst_prefetch_distance 0x1
	.p2align	6
.LBB67_86:                              ;   Parent Loop BB67_84 Depth=1
                                        ; =>  This Inner Loop Header: Depth=2
	v_mov_b32_e32 v10, s8
	s_add_i32 s0, s0, 8
	s_add_i32 s8, s8, 32
	s_cmp_eq_u32 s5, s0
	ds_load_2addr_b32 v[4:5], v10 offset1:1
	ds_load_2addr_b32 v[6:7], v10 offset0:2 offset1:3
	ds_load_2addr_b32 v[8:9], v10 offset0:4 offset1:5
	;; [unrolled: 1-line block ×3, first 2 shown]
	s_waitcnt lgkmcnt(3)
	v_cmp_gt_i32_e32 vcc_lo, v3, v4
	v_cndmask_b32_e64 v4, 0, 1, vcc_lo
	s_waitcnt lgkmcnt(2)
	v_cmp_gt_i32_e32 vcc_lo, v3, v6
	v_cndmask_b32_e64 v6, 0, 1, vcc_lo
	v_cmp_gt_i32_e32 vcc_lo, v3, v5
	v_add_co_ci_u32_e32 v1, vcc_lo, v1, v4, vcc_lo
	s_waitcnt lgkmcnt(1)
	v_cmp_gt_i32_e32 vcc_lo, v3, v8
	v_cndmask_b32_e64 v4, 0, 1, vcc_lo
	v_cmp_gt_i32_e32 vcc_lo, v3, v7
	v_add_co_ci_u32_e32 v1, vcc_lo, v1, v6, vcc_lo
	;; [unrolled: 5-line block ×3, first 2 shown]
	v_cmp_gt_i32_e32 vcc_lo, v3, v11
	s_delay_alu instid0(VALU_DEP_2)
	v_add_co_ci_u32_e32 v1, vcc_lo, v1, v5, vcc_lo
	s_cbranch_scc0 .LBB67_86
; %bb.87:                               ;   in Loop: Header=BB67_84 Depth=1
	s_set_inst_prefetch_distance 0x2
	s_mov_b32 s0, s5
.LBB67_88:                              ;   in Loop: Header=BB67_84 Depth=1
	s_and_not1_b32 vcc_lo, exec_lo, s6
	s_cbranch_vccnz .LBB67_83
; %bb.89:                               ;   in Loop: Header=BB67_84 Depth=1
	s_lshl_b32 s0, s0, 2
	s_mov_b32 s8, s1
	s_add_i32 s0, s0, 0
.LBB67_90:                              ;   Parent Loop BB67_84 Depth=1
                                        ; =>  This Inner Loop Header: Depth=2
	s_delay_alu instid0(SALU_CYCLE_1)
	v_mov_b32_e32 v4, s0
	s_add_i32 s8, s8, -1
	s_add_i32 s0, s0, 4
	s_cmp_lg_u32 s8, 0
	ds_load_b32 v4, v4
	s_waitcnt lgkmcnt(0)
	v_cmp_gt_i32_e32 vcc_lo, v3, v4
	v_add_co_ci_u32_e32 v1, vcc_lo, 0, v1, vcc_lo
	s_cbranch_scc1 .LBB67_90
	s_branch .LBB67_83
.LBB67_91:
	s_nop 0
	s_sendmsg sendmsg(MSG_DEALLOC_VGPRS)
	s_endpgm
	.section	.rodata,"a",@progbits
	.p2align	6, 0x0
	.amdhsa_kernel _ZN9rocsparseL41csrgemm_numeric_fill_block_per_row_kernelILj512ELj32ELj1024ELj137ELj64Eii21rocsparse_complex_numIdEEEvT5_PKS3_S5_NS_24const_host_device_scalarIT6_EEPKT4_S5_PKS7_SB_S5_SD_S8_SB_S5_SD_SB_S5_PS7_21rocsparse_index_base_SF_SF_SF_bbb
		.amdhsa_group_segment_fixed_size 0
		.amdhsa_private_segment_fixed_size 40
		.amdhsa_kernarg_size 172
		.amdhsa_user_sgpr_count 15
		.amdhsa_user_sgpr_dispatch_ptr 0
		.amdhsa_user_sgpr_queue_ptr 0
		.amdhsa_user_sgpr_kernarg_segment_ptr 1
		.amdhsa_user_sgpr_dispatch_id 0
		.amdhsa_user_sgpr_private_segment_size 0
		.amdhsa_wavefront_size32 1
		.amdhsa_uses_dynamic_stack 0
		.amdhsa_enable_private_segment 1
		.amdhsa_system_sgpr_workgroup_id_x 1
		.amdhsa_system_sgpr_workgroup_id_y 0
		.amdhsa_system_sgpr_workgroup_id_z 0
		.amdhsa_system_sgpr_workgroup_info 0
		.amdhsa_system_vgpr_workitem_id 0
		.amdhsa_next_free_vgpr 31
		.amdhsa_next_free_sgpr 46
		.amdhsa_reserve_vcc 1
		.amdhsa_float_round_mode_32 0
		.amdhsa_float_round_mode_16_64 0
		.amdhsa_float_denorm_mode_32 3
		.amdhsa_float_denorm_mode_16_64 3
		.amdhsa_dx10_clamp 1
		.amdhsa_ieee_mode 1
		.amdhsa_fp16_overflow 0
		.amdhsa_workgroup_processor_mode 1
		.amdhsa_memory_ordered 1
		.amdhsa_forward_progress 0
		.amdhsa_shared_vgpr_count 0
		.amdhsa_exception_fp_ieee_invalid_op 0
		.amdhsa_exception_fp_denorm_src 0
		.amdhsa_exception_fp_ieee_div_zero 0
		.amdhsa_exception_fp_ieee_overflow 0
		.amdhsa_exception_fp_ieee_underflow 0
		.amdhsa_exception_fp_ieee_inexact 0
		.amdhsa_exception_int_div_zero 0
	.end_amdhsa_kernel
	.section	.text._ZN9rocsparseL41csrgemm_numeric_fill_block_per_row_kernelILj512ELj32ELj1024ELj137ELj64Eii21rocsparse_complex_numIdEEEvT5_PKS3_S5_NS_24const_host_device_scalarIT6_EEPKT4_S5_PKS7_SB_S5_SD_S8_SB_S5_SD_SB_S5_PS7_21rocsparse_index_base_SF_SF_SF_bbb,"axG",@progbits,_ZN9rocsparseL41csrgemm_numeric_fill_block_per_row_kernelILj512ELj32ELj1024ELj137ELj64Eii21rocsparse_complex_numIdEEEvT5_PKS3_S5_NS_24const_host_device_scalarIT6_EEPKT4_S5_PKS7_SB_S5_SD_S8_SB_S5_SD_SB_S5_PS7_21rocsparse_index_base_SF_SF_SF_bbb,comdat
.Lfunc_end67:
	.size	_ZN9rocsparseL41csrgemm_numeric_fill_block_per_row_kernelILj512ELj32ELj1024ELj137ELj64Eii21rocsparse_complex_numIdEEEvT5_PKS3_S5_NS_24const_host_device_scalarIT6_EEPKT4_S5_PKS7_SB_S5_SD_S8_SB_S5_SD_SB_S5_PS7_21rocsparse_index_base_SF_SF_SF_bbb, .Lfunc_end67-_ZN9rocsparseL41csrgemm_numeric_fill_block_per_row_kernelILj512ELj32ELj1024ELj137ELj64Eii21rocsparse_complex_numIdEEEvT5_PKS3_S5_NS_24const_host_device_scalarIT6_EEPKT4_S5_PKS7_SB_S5_SD_S8_SB_S5_SD_SB_S5_PS7_21rocsparse_index_base_SF_SF_SF_bbb
                                        ; -- End function
	.section	.AMDGPU.csdata,"",@progbits
; Kernel info:
; codeLenInByte = 3652
; NumSgprs: 48
; NumVgprs: 31
; ScratchSize: 40
; MemoryBound: 0
; FloatMode: 240
; IeeeMode: 1
; LDSByteSize: 0 bytes/workgroup (compile time only)
; SGPRBlocks: 5
; VGPRBlocks: 3
; NumSGPRsForWavesPerEU: 48
; NumVGPRsForWavesPerEU: 31
; Occupancy: 16
; WaveLimiterHint : 1
; COMPUTE_PGM_RSRC2:SCRATCH_EN: 1
; COMPUTE_PGM_RSRC2:USER_SGPR: 15
; COMPUTE_PGM_RSRC2:TRAP_HANDLER: 0
; COMPUTE_PGM_RSRC2:TGID_X_EN: 1
; COMPUTE_PGM_RSRC2:TGID_Y_EN: 0
; COMPUTE_PGM_RSRC2:TGID_Z_EN: 0
; COMPUTE_PGM_RSRC2:TIDIG_COMP_CNT: 0
	.section	.text._ZN9rocsparseL41csrgemm_numeric_fill_block_per_row_kernelILj1024ELj32ELj2048ELj137ELj32Eii21rocsparse_complex_numIdEEEvT5_PKS3_S5_NS_24const_host_device_scalarIT6_EEPKT4_S5_PKS7_SB_S5_SD_S8_SB_S5_SD_SB_S5_PS7_21rocsparse_index_base_SF_SF_SF_bbb,"axG",@progbits,_ZN9rocsparseL41csrgemm_numeric_fill_block_per_row_kernelILj1024ELj32ELj2048ELj137ELj32Eii21rocsparse_complex_numIdEEEvT5_PKS3_S5_NS_24const_host_device_scalarIT6_EEPKT4_S5_PKS7_SB_S5_SD_S8_SB_S5_SD_SB_S5_PS7_21rocsparse_index_base_SF_SF_SF_bbb,comdat
	.globl	_ZN9rocsparseL41csrgemm_numeric_fill_block_per_row_kernelILj1024ELj32ELj2048ELj137ELj32Eii21rocsparse_complex_numIdEEEvT5_PKS3_S5_NS_24const_host_device_scalarIT6_EEPKT4_S5_PKS7_SB_S5_SD_S8_SB_S5_SD_SB_S5_PS7_21rocsparse_index_base_SF_SF_SF_bbb ; -- Begin function _ZN9rocsparseL41csrgemm_numeric_fill_block_per_row_kernelILj1024ELj32ELj2048ELj137ELj32Eii21rocsparse_complex_numIdEEEvT5_PKS3_S5_NS_24const_host_device_scalarIT6_EEPKT4_S5_PKS7_SB_S5_SD_S8_SB_S5_SD_SB_S5_PS7_21rocsparse_index_base_SF_SF_SF_bbb
	.p2align	8
	.type	_ZN9rocsparseL41csrgemm_numeric_fill_block_per_row_kernelILj1024ELj32ELj2048ELj137ELj32Eii21rocsparse_complex_numIdEEEvT5_PKS3_S5_NS_24const_host_device_scalarIT6_EEPKT4_S5_PKS7_SB_S5_SD_S8_SB_S5_SD_SB_S5_PS7_21rocsparse_index_base_SF_SF_SF_bbb,@function
_ZN9rocsparseL41csrgemm_numeric_fill_block_per_row_kernelILj1024ELj32ELj2048ELj137ELj32Eii21rocsparse_complex_numIdEEEvT5_PKS3_S5_NS_24const_host_device_scalarIT6_EEPKT4_S5_PKS7_SB_S5_SD_S8_SB_S5_SD_SB_S5_PS7_21rocsparse_index_base_SF_SF_SF_bbb: ; @_ZN9rocsparseL41csrgemm_numeric_fill_block_per_row_kernelILj1024ELj32ELj2048ELj137ELj32Eii21rocsparse_complex_numIdEEEvT5_PKS3_S5_NS_24const_host_device_scalarIT6_EEPKT4_S5_PKS7_SB_S5_SD_S8_SB_S5_SD_SB_S5_PS7_21rocsparse_index_base_SF_SF_SF_bbb
; %bb.0:
	s_clause 0x3
	s_load_b32 s14, s[0:1], 0xa8
	s_load_b128 s[4:7], s[0:1], 0x18
	s_load_b128 s[20:23], s[0:1], 0x58
	;; [unrolled: 1-line block ×3, first 2 shown]
	v_mov_b32_e32 v1, 0
	v_mov_b32_e32 v2, 0
	s_waitcnt lgkmcnt(0)
	s_bitcmp1_b32 s14, 0
	v_mov_b32_e32 v3, s4
	s_cselect_b32 s12, -1, 0
	s_bitcmp1_b32 s14, 16
	v_dual_mov_b32 v6, v2 :: v_dual_mov_b32 v5, v1
	s_cselect_b32 s2, -1, 0
	v_mov_b32_e32 v4, s5
	s_xor_b32 s13, s2, -1
	v_dual_mov_b32 v9, s20 :: v_dual_mov_b32 v10, s21
	v_cndmask_b32_e64 v7, 0, 1, s13
	s_bitcmp0_b32 s14, 0
	s_clause 0x1
	scratch_store_b64 off, v[3:4], off offset:16
	scratch_store_b64 off, v[9:10], off offset:24
	v_cmp_ne_u32_e32 vcc_lo, 1, v7
	v_dual_mov_b32 v8, v2 :: v_dual_mov_b32 v7, v1
	s_cbranch_scc1 .LBB68_3
; %bb.1:
	s_mov_b64 s[8:9], src_private_base
	s_and_b32 s3, s2, exec_lo
	s_cselect_b32 s3, s9, s5
	s_delay_alu instid0(SALU_CYCLE_1) | instskip(SKIP_2) | instid1(VALU_DEP_2)
	v_dual_mov_b32 v3, 16 :: v_dual_mov_b32 v4, s3
	v_dual_mov_b32 v8, s7 :: v_dual_mov_b32 v7, s6
	s_and_b32 vcc_lo, exec_lo, vcc_lo
	v_cndmask_b32_e64 v3, s4, v3, s2
	flat_load_b64 v[5:6], v[3:4]
	s_cbranch_vccnz .LBB68_3
; %bb.2:
	v_dual_mov_b32 v3, s4 :: v_dual_mov_b32 v4, s5
	flat_load_b64 v[7:8], v[3:4] offset:8
.LBB68_3:
	s_clause 0x4
	s_load_b64 s[34:35], s[0:1], 0x90
	s_load_b256 s[36:43], s[0:1], 0x68
	s_load_b128 s[16:19], s[0:1], 0x48
	s_load_b128 s[24:27], s[0:1], 0x8
	s_load_b256 s[4:11], s[0:1], 0x28
	s_bitcmp1_b32 s14, 8
	v_dual_mov_b32 v4, v2 :: v_dual_mov_b32 v3, v1
	s_cselect_b32 s3, -1, 0
	s_bfe_u32 s14, s14, 0x10008
	s_delay_alu instid0(SALU_CYCLE_1)
	s_cmp_eq_u32 s14, 0
	s_cbranch_scc1 .LBB68_6
; %bb.4:
	s_mov_b64 s[28:29], src_private_base
	s_and_b32 s14, s2, exec_lo
	s_cselect_b32 s14, s29, s21
	s_delay_alu instid0(SALU_CYCLE_1) | instskip(SKIP_1) | instid1(VALU_DEP_1)
	v_dual_mov_b32 v1, 24 :: v_dual_mov_b32 v2, s14
	s_and_not1_b32 vcc_lo, exec_lo, s13
	v_cndmask_b32_e64 v1, s20, v1, s2
	flat_load_b64 v[3:4], v[1:2]
	v_dual_mov_b32 v1, s22 :: v_dual_mov_b32 v2, s23
	s_cbranch_vccnz .LBB68_6
; %bb.5:
	v_dual_mov_b32 v1, s20 :: v_dual_mov_b32 v2, s21
	flat_load_b64 v[1:2], v[1:2] offset:8
.LBB68_6:
	s_load_b32 s33, s[0:1], 0x0
	s_mov_b32 s0, 0
	v_or_b32_e32 v23, 0xfffffc00, v0
	s_mov_b32 s1, s0
	s_delay_alu instid0(SALU_CYCLE_1) | instskip(SKIP_3) | instid1(VALU_DEP_2)
	v_dual_mov_b32 v10, s1 :: v_dual_lshlrev_b32 v11, 4, v0
	v_lshl_add_u32 v24, v0, 2, 0
	s_mov_b32 s20, s0
	s_mov_b32 s21, s0
	v_add3_u32 v25, v11, 0, 0x2000
	v_dual_mov_b32 v11, s20 :: v_dual_mov_b32 v14, v23
	v_dual_mov_b32 v9, s0 :: v_dual_mov_b32 v12, s21
	s_delay_alu instid0(VALU_DEP_3)
	v_dual_mov_b32 v13, v24 :: v_dual_mov_b32 v16, v25
	s_waitcnt lgkmcnt(0)
	v_mov_b32_e32 v15, s33
.LBB68_7:                               ; =>This Inner Loop Header: Depth=1
	v_add_co_u32 v14, s1, 0x400, v14
	s_delay_alu instid0(VALU_DEP_1)
	s_xor_b32 s1, s1, -1
	ds_store_b32 v13, v15
	ds_store_2addr_b64 v16, v[9:10], v[11:12] offset1:1
	v_add_nc_u32_e32 v16, 0x4000, v16
	v_add_nc_u32_e32 v13, 0x1000, v13
	s_and_b32 s1, exec_lo, s1
	s_delay_alu instid0(SALU_CYCLE_1) | instskip(NEXT) | instid1(SALU_CYCLE_1)
	s_or_b32 s0, s1, s0
	s_and_not1_b32 exec_lo, exec_lo, s0
	s_cbranch_execnz .LBB68_7
; %bb.8:
	s_or_b32 exec_lo, exec_lo, s0
	s_waitcnt vmcnt(0) lgkmcnt(0)
	s_waitcnt_vscnt null, 0x0
	s_barrier
	buffer_gl0_inv
	s_load_b32 s0, s[24:25], 0x0
	s_mov_b32 s1, 0
	v_lshrrev_b32_e32 v26, 5, v0
	s_waitcnt lgkmcnt(0)
	s_add_i32 s0, s0, s15
	s_delay_alu instid0(SALU_CYCLE_1) | instskip(NEXT) | instid1(SALU_CYCLE_1)
	s_lshl_b64 s[0:1], s[0:1], 2
	s_add_u32 s0, s26, s0
	s_addc_u32 s1, s27, s1
	s_and_b32 vcc_lo, exec_lo, s12
	s_load_b32 s48, s[0:1], 0x0
	s_cbranch_vccz .LBB68_36
; %bb.9:
	s_waitcnt lgkmcnt(0)
	s_ashr_i32 s49, s48, 31
	v_subrev_nc_u32_e32 v9, s44, v26
	s_lshl_b64 s[0:1], s[48:49], 2
	s_delay_alu instid0(SALU_CYCLE_1)
	s_add_u32 s0, s4, s0
	s_addc_u32 s1, s5, s1
	s_load_b64 s[0:1], s[0:1], 0x0
	s_waitcnt lgkmcnt(0)
	v_add_nc_u32_e32 v9, s0, v9
	s_sub_i32 s0, s1, s44
	s_mov_b32 s1, exec_lo
	s_delay_alu instid0(VALU_DEP_1)
	v_cmpx_gt_i32_e64 s0, v9
	s_cbranch_execz .LBB68_35
; %bb.10:
	v_and_b32_e32 v10, 31, v0
	s_mov_b32 s2, 0
	s_delay_alu instid0(VALU_DEP_1)
	v_subrev_nc_u32_e32 v27, s45, v10
	s_branch .LBB68_12
.LBB68_11:                              ;   in Loop: Header=BB68_12 Depth=1
	s_or_b32 exec_lo, exec_lo, s4
	v_add_nc_u32_e32 v9, 32, v9
	s_delay_alu instid0(VALU_DEP_1) | instskip(SKIP_1) | instid1(SALU_CYCLE_1)
	v_cmp_le_i32_e32 vcc_lo, s0, v9
	s_or_b32 s2, vcc_lo, s2
	s_and_not1_b32 exec_lo, exec_lo, s2
	s_cbranch_execz .LBB68_35
.LBB68_12:                              ; =>This Loop Header: Depth=1
                                        ;     Child Loop BB68_15 Depth 2
                                        ;       Child Loop BB68_17 Depth 3
                                        ;         Child Loop BB68_23 Depth 4
                                        ;         Child Loop BB68_25 Depth 4
                                        ;         Child Loop BB68_31 Depth 4
                                        ;         Child Loop BB68_33 Depth 4
	v_ashrrev_i32_e32 v10, 31, v9
	s_mov_b32 s4, exec_lo
	s_delay_alu instid0(VALU_DEP_1) | instskip(NEXT) | instid1(VALU_DEP_1)
	v_lshlrev_b64 v[11:12], 2, v[9:10]
	v_add_co_u32 v11, vcc_lo, s6, v11
	s_delay_alu instid0(VALU_DEP_2) | instskip(SKIP_3) | instid1(VALU_DEP_1)
	v_add_co_ci_u32_e32 v12, vcc_lo, s7, v12, vcc_lo
	global_load_b32 v11, v[11:12], off
	s_waitcnt vmcnt(0)
	v_subrev_nc_u32_e32 v11, s44, v11
	v_ashrrev_i32_e32 v12, 31, v11
	s_delay_alu instid0(VALU_DEP_1) | instskip(NEXT) | instid1(VALU_DEP_1)
	v_lshlrev_b64 v[11:12], 2, v[11:12]
	v_add_co_u32 v11, vcc_lo, s10, v11
	s_delay_alu instid0(VALU_DEP_2) | instskip(SKIP_4) | instid1(VALU_DEP_1)
	v_add_co_ci_u32_e32 v12, vcc_lo, s11, v12, vcc_lo
	global_load_b64 v[11:12], v[11:12], off
	s_waitcnt vmcnt(0)
	v_subrev_nc_u32_e32 v28, s45, v12
	v_add_nc_u32_e32 v11, v11, v27
	v_cmpx_lt_i32_e64 v11, v28
	s_cbranch_execz .LBB68_11
; %bb.13:                               ;   in Loop: Header=BB68_12 Depth=1
	v_lshlrev_b64 v[12:13], 4, v[9:10]
	s_mov_b32 s5, 0
	s_delay_alu instid0(VALU_DEP_1) | instskip(NEXT) | instid1(VALU_DEP_2)
	v_add_co_u32 v12, vcc_lo, s8, v12
	v_add_co_ci_u32_e32 v13, vcc_lo, s9, v13, vcc_lo
	global_load_b128 v[15:18], v[12:13], off
	s_waitcnt vmcnt(0)
	v_mul_f64 v[12:13], v[17:18], -v[7:8]
	v_mul_f64 v[17:18], v[5:6], v[17:18]
	s_delay_alu instid0(VALU_DEP_2) | instskip(NEXT) | instid1(VALU_DEP_2)
	v_fma_f64 v[13:14], v[5:6], v[15:16], v[12:13]
	v_fma_f64 v[15:16], v[7:8], v[15:16], v[17:18]
	s_branch .LBB68_15
.LBB68_14:                              ;   in Loop: Header=BB68_15 Depth=2
	s_or_b32 exec_lo, exec_lo, s12
	v_add_nc_u32_e32 v11, 32, v11
	s_delay_alu instid0(VALU_DEP_1) | instskip(SKIP_1) | instid1(SALU_CYCLE_1)
	v_cmp_ge_i32_e32 vcc_lo, v11, v28
	s_or_b32 s5, vcc_lo, s5
	s_and_not1_b32 exec_lo, exec_lo, s5
	s_cbranch_execz .LBB68_11
.LBB68_15:                              ;   Parent Loop BB68_12 Depth=1
                                        ; =>  This Loop Header: Depth=2
                                        ;       Child Loop BB68_17 Depth 3
                                        ;         Child Loop BB68_23 Depth 4
                                        ;         Child Loop BB68_25 Depth 4
	;; [unrolled: 1-line block ×4, first 2 shown]
	v_ashrrev_i32_e32 v12, 31, v11
	s_mov_b32 s12, 0
	s_delay_alu instid0(VALU_DEP_1) | instskip(NEXT) | instid1(VALU_DEP_1)
	v_lshlrev_b64 v[17:18], 4, v[11:12]
	v_add_co_u32 v17, vcc_lo, s18, v17
	s_delay_alu instid0(VALU_DEP_2) | instskip(SKIP_2) | instid1(VALU_DEP_1)
	v_add_co_ci_u32_e32 v18, vcc_lo, s19, v18, vcc_lo
	global_load_b128 v[19:22], v[17:18], off
	v_lshlrev_b64 v[17:18], 2, v[11:12]
	v_add_co_u32 v17, vcc_lo, s16, v17
	s_delay_alu instid0(VALU_DEP_2)
	v_add_co_ci_u32_e32 v18, vcc_lo, s17, v18, vcc_lo
	global_load_b32 v10, v[17:18], off
	s_waitcnt vmcnt(1)
	v_mul_f64 v[17:18], v[21:22], -v[15:16]
	v_mul_f64 v[21:22], v[13:14], v[21:22]
	s_waitcnt vmcnt(0)
	v_subrev_nc_u32_e32 v10, s45, v10
	s_delay_alu instid0(VALU_DEP_1) | instskip(NEXT) | instid1(VALU_DEP_1)
	v_mul_lo_u32 v12, 0x89, v10
	v_and_b32_e32 v12, 0x7ff, v12
	v_fma_f64 v[17:18], v[13:14], v[19:20], v[17:18]
	v_fma_f64 v[19:20], v[15:16], v[19:20], v[21:22]
	s_branch .LBB68_17
.LBB68_16:                              ;   in Loop: Header=BB68_17 Depth=3
	s_or_b32 exec_lo, exec_lo, s13
	s_xor_b32 s13, s14, -1
	s_delay_alu instid0(SALU_CYCLE_1) | instskip(NEXT) | instid1(SALU_CYCLE_1)
	s_and_b32 s13, exec_lo, s13
	s_or_b32 s12, s13, s12
	s_delay_alu instid0(SALU_CYCLE_1)
	s_and_not1_b32 exec_lo, exec_lo, s12
	s_cbranch_execz .LBB68_14
.LBB68_17:                              ;   Parent Loop BB68_12 Depth=1
                                        ;     Parent Loop BB68_15 Depth=2
                                        ; =>    This Loop Header: Depth=3
                                        ;         Child Loop BB68_23 Depth 4
                                        ;         Child Loop BB68_25 Depth 4
                                        ;         Child Loop BB68_31 Depth 4
                                        ;         Child Loop BB68_33 Depth 4
	s_delay_alu instid0(VALU_DEP_3)
	v_lshl_add_u32 v21, v12, 2, 0
	s_mov_b32 s13, exec_lo
                                        ; implicit-def: $sgpr14
	ds_load_b32 v22, v21
	s_waitcnt lgkmcnt(0)
	v_cmpx_ne_u32_e64 v22, v10
	s_xor_b32 s13, exec_lo, s13
	s_cbranch_execz .LBB68_29
; %bb.18:                               ;   in Loop: Header=BB68_17 Depth=3
	s_mov_b32 s15, exec_lo
                                        ; implicit-def: $sgpr14
	v_cmpx_ne_u32_e64 s33, v22
	s_xor_b32 s15, exec_lo, s15
; %bb.19:                               ;   in Loop: Header=BB68_17 Depth=3
	v_add_nc_u32_e32 v12, 1, v12
	s_mov_b32 s14, -1
                                        ; implicit-def: $vgpr21
	s_delay_alu instid0(VALU_DEP_1)
	v_and_b32_e32 v12, 0x7ff, v12
; %bb.20:                               ;   in Loop: Header=BB68_17 Depth=3
	s_and_not1_saveexec_b32 s15, s15
	s_cbranch_execz .LBB68_28
; %bb.21:                               ;   in Loop: Header=BB68_17 Depth=3
	v_mov_b32_e32 v22, s33
	s_mov_b32 s21, -1
	s_mov_b32 s20, exec_lo
	ds_cmpstore_rtn_b32 v22, v21, v10, v22
	s_waitcnt lgkmcnt(0)
	v_cmpx_eq_u32_e64 s33, v22
	s_cbranch_execz .LBB68_27
; %bb.22:                               ;   in Loop: Header=BB68_17 Depth=3
	v_mul_lo_u32 v22, v12, 12
	s_mov_b32 s21, 0
	s_delay_alu instid0(VALU_DEP_1)
	v_add_nc_u32_e32 v29, v21, v22
	ds_load_b64 v[21:22], v29 offset:8192
.LBB68_23:                              ;   Parent Loop BB68_12 Depth=1
                                        ;     Parent Loop BB68_15 Depth=2
                                        ;       Parent Loop BB68_17 Depth=3
                                        ; =>      This Inner Loop Header: Depth=4
	s_waitcnt lgkmcnt(0)
	v_add_f64 v[30:31], v[21:22], v[17:18]
	ds_cmpstore_rtn_b64 v[30:31], v29, v[30:31], v[21:22] offset:8192
	s_waitcnt lgkmcnt(0)
	v_cmp_eq_u64_e32 vcc_lo, v[30:31], v[21:22]
	v_dual_mov_b32 v21, v30 :: v_dual_mov_b32 v22, v31
	s_or_b32 s21, vcc_lo, s21
	s_delay_alu instid0(SALU_CYCLE_1)
	s_and_not1_b32 exec_lo, exec_lo, s21
	s_cbranch_execnz .LBB68_23
; %bb.24:                               ;   in Loop: Header=BB68_17 Depth=3
	s_or_b32 exec_lo, exec_lo, s21
	ds_load_b64 v[21:22], v29 offset:8200
	s_mov_b32 s21, 0
.LBB68_25:                              ;   Parent Loop BB68_12 Depth=1
                                        ;     Parent Loop BB68_15 Depth=2
                                        ;       Parent Loop BB68_17 Depth=3
                                        ; =>      This Inner Loop Header: Depth=4
	s_waitcnt lgkmcnt(0)
	v_add_f64 v[30:31], v[21:22], v[19:20]
	ds_cmpstore_rtn_b64 v[30:31], v29, v[30:31], v[21:22] offset:8200
	s_waitcnt lgkmcnt(0)
	v_cmp_eq_u64_e32 vcc_lo, v[30:31], v[21:22]
	v_dual_mov_b32 v21, v30 :: v_dual_mov_b32 v22, v31
	s_or_b32 s21, vcc_lo, s21
	s_delay_alu instid0(SALU_CYCLE_1)
	s_and_not1_b32 exec_lo, exec_lo, s21
	s_cbranch_execnz .LBB68_25
; %bb.26:                               ;   in Loop: Header=BB68_17 Depth=3
	s_or_b32 exec_lo, exec_lo, s21
	s_delay_alu instid0(SALU_CYCLE_1)
	s_xor_b32 s21, exec_lo, -1
.LBB68_27:                              ;   in Loop: Header=BB68_17 Depth=3
	s_or_b32 exec_lo, exec_lo, s20
	s_delay_alu instid0(SALU_CYCLE_1) | instskip(SKIP_1) | instid1(SALU_CYCLE_1)
	s_and_not1_b32 s14, s14, exec_lo
	s_and_b32 s20, s21, exec_lo
	s_or_b32 s14, s14, s20
.LBB68_28:                              ;   in Loop: Header=BB68_17 Depth=3
	s_or_b32 exec_lo, exec_lo, s15
	s_delay_alu instid0(SALU_CYCLE_1)
	s_and_b32 s14, s14, exec_lo
                                        ; implicit-def: $vgpr21
.LBB68_29:                              ;   in Loop: Header=BB68_17 Depth=3
	s_and_not1_saveexec_b32 s13, s13
	s_cbranch_execz .LBB68_16
; %bb.30:                               ;   in Loop: Header=BB68_17 Depth=3
	v_mul_lo_u32 v22, v12, 12
	s_mov_b32 s15, 0
	s_delay_alu instid0(VALU_DEP_1)
	v_add_nc_u32_e32 v29, v21, v22
	ds_load_b64 v[21:22], v29 offset:8192
.LBB68_31:                              ;   Parent Loop BB68_12 Depth=1
                                        ;     Parent Loop BB68_15 Depth=2
                                        ;       Parent Loop BB68_17 Depth=3
                                        ; =>      This Inner Loop Header: Depth=4
	s_waitcnt lgkmcnt(0)
	v_add_f64 v[30:31], v[21:22], v[17:18]
	ds_cmpstore_rtn_b64 v[30:31], v29, v[30:31], v[21:22] offset:8192
	s_waitcnt lgkmcnt(0)
	v_cmp_eq_u64_e32 vcc_lo, v[30:31], v[21:22]
	v_dual_mov_b32 v21, v30 :: v_dual_mov_b32 v22, v31
	s_or_b32 s15, vcc_lo, s15
	s_delay_alu instid0(SALU_CYCLE_1)
	s_and_not1_b32 exec_lo, exec_lo, s15
	s_cbranch_execnz .LBB68_31
; %bb.32:                               ;   in Loop: Header=BB68_17 Depth=3
	s_or_b32 exec_lo, exec_lo, s15
	ds_load_b64 v[21:22], v29 offset:8200
	s_mov_b32 s15, 0
.LBB68_33:                              ;   Parent Loop BB68_12 Depth=1
                                        ;     Parent Loop BB68_15 Depth=2
                                        ;       Parent Loop BB68_17 Depth=3
                                        ; =>      This Inner Loop Header: Depth=4
	s_waitcnt lgkmcnt(0)
	v_add_f64 v[30:31], v[21:22], v[19:20]
	ds_cmpstore_rtn_b64 v[30:31], v29, v[30:31], v[21:22] offset:8200
	s_waitcnt lgkmcnt(0)
	v_cmp_eq_u64_e32 vcc_lo, v[30:31], v[21:22]
	v_dual_mov_b32 v21, v30 :: v_dual_mov_b32 v22, v31
	s_or_b32 s15, vcc_lo, s15
	s_delay_alu instid0(SALU_CYCLE_1)
	s_and_not1_b32 exec_lo, exec_lo, s15
	s_cbranch_execnz .LBB68_33
; %bb.34:                               ;   in Loop: Header=BB68_17 Depth=3
	s_or_b32 exec_lo, exec_lo, s15
	s_delay_alu instid0(SALU_CYCLE_1)
	s_and_not1_b32 s14, s14, exec_lo
	s_branch .LBB68_16
.LBB68_35:
	s_or_b32 exec_lo, exec_lo, s1
.LBB68_36:
	s_delay_alu instid0(SALU_CYCLE_1)
	s_and_not1_b32 vcc_lo, exec_lo, s3
	s_cbranch_vccnz .LBB68_61
; %bb.37:
	s_waitcnt lgkmcnt(0)
	s_ashr_i32 s49, s48, 31
	v_subrev_nc_u32_e32 v5, s47, v0
	s_lshl_b64 s[0:1], s[48:49], 2
	s_delay_alu instid0(SALU_CYCLE_1)
	s_add_u32 s0, s36, s0
	s_addc_u32 s1, s37, s1
	s_load_b64 s[0:1], s[0:1], 0x0
	s_waitcnt lgkmcnt(0)
	v_add_nc_u32_e32 v5, s0, v5
	s_sub_i32 s0, s1, s47
	s_mov_b32 s1, exec_lo
	s_delay_alu instid0(VALU_DEP_1)
	v_cmpx_gt_i32_e64 s0, v5
	s_cbranch_execz .LBB68_60
; %bb.38:
	s_mov_b32 s2, 0
	s_branch .LBB68_40
.LBB68_39:                              ;   in Loop: Header=BB68_40 Depth=1
	s_or_b32 exec_lo, exec_lo, s3
	v_add_nc_u32_e32 v5, 0x400, v5
	s_delay_alu instid0(VALU_DEP_1) | instskip(SKIP_1) | instid1(SALU_CYCLE_1)
	v_cmp_le_i32_e32 vcc_lo, s0, v5
	s_or_b32 s2, vcc_lo, s2
	s_and_not1_b32 exec_lo, exec_lo, s2
	s_cbranch_execz .LBB68_60
.LBB68_40:                              ; =>This Loop Header: Depth=1
                                        ;     Child Loop BB68_42 Depth 2
                                        ;       Child Loop BB68_48 Depth 3
                                        ;       Child Loop BB68_50 Depth 3
	;; [unrolled: 1-line block ×4, first 2 shown]
	v_ashrrev_i32_e32 v6, 31, v5
	s_mov_b32 s3, 0
	s_delay_alu instid0(VALU_DEP_1) | instskip(NEXT) | instid1(VALU_DEP_1)
	v_lshlrev_b64 v[7:8], 4, v[5:6]
	v_add_co_u32 v7, vcc_lo, s40, v7
	s_delay_alu instid0(VALU_DEP_2) | instskip(SKIP_2) | instid1(VALU_DEP_1)
	v_add_co_ci_u32_e32 v8, vcc_lo, s41, v8, vcc_lo
	global_load_b128 v[8:11], v[7:8], off
	v_lshlrev_b64 v[6:7], 2, v[5:6]
	v_add_co_u32 v6, vcc_lo, s38, v6
	s_delay_alu instid0(VALU_DEP_2)
	v_add_co_ci_u32_e32 v7, vcc_lo, s39, v7, vcc_lo
	global_load_b32 v12, v[6:7], off
	s_waitcnt vmcnt(1)
	v_mul_f64 v[6:7], v[10:11], -v[1:2]
	v_mul_f64 v[10:11], v[3:4], v[10:11]
	s_waitcnt vmcnt(0)
	v_subrev_nc_u32_e32 v12, s47, v12
	s_delay_alu instid0(VALU_DEP_3) | instskip(NEXT) | instid1(VALU_DEP_3)
	v_fma_f64 v[6:7], v[3:4], v[8:9], v[6:7]
	v_fma_f64 v[8:9], v[1:2], v[8:9], v[10:11]
	s_delay_alu instid0(VALU_DEP_3) | instskip(NEXT) | instid1(VALU_DEP_1)
	v_mul_lo_u32 v10, 0x89, v12
	v_and_b32_e32 v13, 0x7ff, v10
	s_branch .LBB68_42
.LBB68_41:                              ;   in Loop: Header=BB68_42 Depth=2
	s_or_b32 exec_lo, exec_lo, s4
	s_xor_b32 s4, s5, -1
	s_delay_alu instid0(SALU_CYCLE_1) | instskip(NEXT) | instid1(SALU_CYCLE_1)
	s_and_b32 s4, exec_lo, s4
	s_or_b32 s3, s4, s3
	s_delay_alu instid0(SALU_CYCLE_1)
	s_and_not1_b32 exec_lo, exec_lo, s3
	s_cbranch_execz .LBB68_39
.LBB68_42:                              ;   Parent Loop BB68_40 Depth=1
                                        ; =>  This Loop Header: Depth=2
                                        ;       Child Loop BB68_48 Depth 3
                                        ;       Child Loop BB68_50 Depth 3
	;; [unrolled: 1-line block ×4, first 2 shown]
	s_delay_alu instid0(VALU_DEP_1)
	v_lshl_add_u32 v10, v13, 2, 0
	s_mov_b32 s4, exec_lo
                                        ; implicit-def: $sgpr5
	ds_load_b32 v11, v10
	s_waitcnt lgkmcnt(0)
	v_cmpx_ne_u32_e64 v11, v12
	s_xor_b32 s4, exec_lo, s4
	s_cbranch_execz .LBB68_54
; %bb.43:                               ;   in Loop: Header=BB68_42 Depth=2
	s_mov_b32 s6, exec_lo
                                        ; implicit-def: $sgpr5
	v_cmpx_ne_u32_e64 s33, v11
	s_xor_b32 s6, exec_lo, s6
; %bb.44:                               ;   in Loop: Header=BB68_42 Depth=2
	v_add_nc_u32_e32 v10, 1, v13
	s_mov_b32 s5, -1
	s_delay_alu instid0(VALU_DEP_1)
	v_and_b32_e32 v13, 0x7ff, v10
                                        ; implicit-def: $vgpr10
; %bb.45:                               ;   in Loop: Header=BB68_42 Depth=2
	s_and_not1_saveexec_b32 s6, s6
	s_cbranch_execz .LBB68_53
; %bb.46:                               ;   in Loop: Header=BB68_42 Depth=2
	v_mov_b32_e32 v11, s33
	s_mov_b32 s8, -1
	s_mov_b32 s7, exec_lo
	ds_cmpstore_rtn_b32 v11, v10, v12, v11
	s_waitcnt lgkmcnt(0)
	v_cmpx_eq_u32_e64 s33, v11
	s_cbranch_execz .LBB68_52
; %bb.47:                               ;   in Loop: Header=BB68_42 Depth=2
	v_mul_lo_u32 v11, v13, 12
	s_mov_b32 s8, 0
	s_delay_alu instid0(VALU_DEP_1)
	v_add_nc_u32_e32 v14, v10, v11
	ds_load_b64 v[10:11], v14 offset:8192
.LBB68_48:                              ;   Parent Loop BB68_40 Depth=1
                                        ;     Parent Loop BB68_42 Depth=2
                                        ; =>    This Inner Loop Header: Depth=3
	s_waitcnt lgkmcnt(0)
	v_add_f64 v[15:16], v[10:11], v[6:7]
	ds_cmpstore_rtn_b64 v[15:16], v14, v[15:16], v[10:11] offset:8192
	s_waitcnt lgkmcnt(0)
	v_cmp_eq_u64_e32 vcc_lo, v[15:16], v[10:11]
	v_dual_mov_b32 v10, v15 :: v_dual_mov_b32 v11, v16
	s_or_b32 s8, vcc_lo, s8
	s_delay_alu instid0(SALU_CYCLE_1)
	s_and_not1_b32 exec_lo, exec_lo, s8
	s_cbranch_execnz .LBB68_48
; %bb.49:                               ;   in Loop: Header=BB68_42 Depth=2
	s_or_b32 exec_lo, exec_lo, s8
	ds_load_b64 v[10:11], v14 offset:8200
	s_mov_b32 s8, 0
.LBB68_50:                              ;   Parent Loop BB68_40 Depth=1
                                        ;     Parent Loop BB68_42 Depth=2
                                        ; =>    This Inner Loop Header: Depth=3
	s_waitcnt lgkmcnt(0)
	v_add_f64 v[15:16], v[10:11], v[8:9]
	ds_cmpstore_rtn_b64 v[15:16], v14, v[15:16], v[10:11] offset:8200
	s_waitcnt lgkmcnt(0)
	v_cmp_eq_u64_e32 vcc_lo, v[15:16], v[10:11]
	v_dual_mov_b32 v10, v15 :: v_dual_mov_b32 v11, v16
	s_or_b32 s8, vcc_lo, s8
	s_delay_alu instid0(SALU_CYCLE_1)
	s_and_not1_b32 exec_lo, exec_lo, s8
	s_cbranch_execnz .LBB68_50
; %bb.51:                               ;   in Loop: Header=BB68_42 Depth=2
	s_or_b32 exec_lo, exec_lo, s8
	s_delay_alu instid0(SALU_CYCLE_1)
	s_xor_b32 s8, exec_lo, -1
.LBB68_52:                              ;   in Loop: Header=BB68_42 Depth=2
	s_or_b32 exec_lo, exec_lo, s7
	s_delay_alu instid0(SALU_CYCLE_1) | instskip(SKIP_1) | instid1(SALU_CYCLE_1)
	s_and_not1_b32 s5, s5, exec_lo
	s_and_b32 s7, s8, exec_lo
	s_or_b32 s5, s5, s7
.LBB68_53:                              ;   in Loop: Header=BB68_42 Depth=2
	s_or_b32 exec_lo, exec_lo, s6
	s_delay_alu instid0(SALU_CYCLE_1)
	s_and_b32 s5, s5, exec_lo
                                        ; implicit-def: $vgpr10
.LBB68_54:                              ;   in Loop: Header=BB68_42 Depth=2
	s_and_not1_saveexec_b32 s4, s4
	s_cbranch_execz .LBB68_41
; %bb.55:                               ;   in Loop: Header=BB68_42 Depth=2
	v_mul_lo_u32 v11, v13, 12
	s_mov_b32 s6, 0
	s_delay_alu instid0(VALU_DEP_1)
	v_add_nc_u32_e32 v14, v10, v11
	ds_load_b64 v[10:11], v14 offset:8192
.LBB68_56:                              ;   Parent Loop BB68_40 Depth=1
                                        ;     Parent Loop BB68_42 Depth=2
                                        ; =>    This Inner Loop Header: Depth=3
	s_waitcnt lgkmcnt(0)
	v_add_f64 v[15:16], v[10:11], v[6:7]
	ds_cmpstore_rtn_b64 v[15:16], v14, v[15:16], v[10:11] offset:8192
	s_waitcnt lgkmcnt(0)
	v_cmp_eq_u64_e32 vcc_lo, v[15:16], v[10:11]
	v_dual_mov_b32 v10, v15 :: v_dual_mov_b32 v11, v16
	s_or_b32 s6, vcc_lo, s6
	s_delay_alu instid0(SALU_CYCLE_1)
	s_and_not1_b32 exec_lo, exec_lo, s6
	s_cbranch_execnz .LBB68_56
; %bb.57:                               ;   in Loop: Header=BB68_42 Depth=2
	s_or_b32 exec_lo, exec_lo, s6
	ds_load_b64 v[10:11], v14 offset:8200
	s_mov_b32 s6, 0
.LBB68_58:                              ;   Parent Loop BB68_40 Depth=1
                                        ;     Parent Loop BB68_42 Depth=2
                                        ; =>    This Inner Loop Header: Depth=3
	s_waitcnt lgkmcnt(0)
	v_add_f64 v[15:16], v[10:11], v[8:9]
	ds_cmpstore_rtn_b64 v[15:16], v14, v[15:16], v[10:11] offset:8200
	s_waitcnt lgkmcnt(0)
	v_cmp_eq_u64_e32 vcc_lo, v[15:16], v[10:11]
	v_dual_mov_b32 v10, v15 :: v_dual_mov_b32 v11, v16
	s_or_b32 s6, vcc_lo, s6
	s_delay_alu instid0(SALU_CYCLE_1)
	s_and_not1_b32 exec_lo, exec_lo, s6
	s_cbranch_execnz .LBB68_58
; %bb.59:                               ;   in Loop: Header=BB68_42 Depth=2
	s_or_b32 exec_lo, exec_lo, s6
	s_delay_alu instid0(SALU_CYCLE_1)
	s_and_not1_b32 s5, s5, exec_lo
	s_branch .LBB68_41
.LBB68_60:
	s_or_b32 exec_lo, exec_lo, s1
.LBB68_61:
	v_mbcnt_lo_u32_b32 v1, -1, 0
	v_lshl_add_u32 v3, v26, 2, 0
	v_cmp_eq_u32_e32 vcc_lo, 0x3ff, v0
	v_cmp_lt_u32_e64 s0, 31, v0
	v_cmp_lt_u32_e64 s1, 63, v0
	v_xor_b32_e32 v1, 63, v1
	v_cmp_lt_u32_e64 s2, 0x5f, v0
	v_cmp_lt_u32_e64 s3, 0x7f, v0
	;; [unrolled: 1-line block ×4, first 2 shown]
	v_lshrrev_b64 v[1:2], v1, -1
	v_cmp_lt_u32_e64 s6, 0xdf, v0
	v_cmp_lt_u32_e64 s7, 0xff, v0
	;; [unrolled: 1-line block ×25, first 2 shown]
	v_mov_b32_e32 v2, 0
	v_mov_b32_e32 v4, 0
	s_mov_b32 s36, 0
	s_waitcnt lgkmcnt(0)
	s_barrier
	buffer_gl0_inv
	s_branch .LBB68_63
.LBB68_62:                              ;   in Loop: Header=BB68_63 Depth=1
	s_or_b32 exec_lo, exec_lo, s31
	s_waitcnt lgkmcnt(0)
	s_barrier
	buffer_gl0_inv
	ds_load_b32 v5, v2 offset:41084
	v_add_co_u32 v23, s31, 0x400, v23
	s_delay_alu instid0(VALU_DEP_1) | instskip(SKIP_3) | instid1(SALU_CYCLE_1)
	s_xor_b32 s31, s31, -1
	v_add_nc_u32_e32 v25, 0x4000, v25
	v_add_nc_u32_e32 v24, 0x1000, v24
	s_and_b32 s31, exec_lo, s31
	s_or_b32 s36, s31, s36
	s_waitcnt lgkmcnt(0)
	v_add_nc_u32_e32 v4, v5, v4
	s_and_not1_b32 exec_lo, exec_lo, s36
	s_cbranch_execz .LBB68_129
.LBB68_63:                              ; =>This Inner Loop Header: Depth=1
	ds_load_b32 v5, v24
	ds_load_2addr_b64 v[6:9], v25 offset1:1
	s_waitcnt lgkmcnt(1)
	v_cmp_gt_i32_e64 s31, s33, v5
	s_waitcnt lgkmcnt(0)
	scratch_store_b128 off, v[6:9], off
	s_waitcnt_vscnt null, 0x0
	s_barrier
	buffer_gl0_inv
	s_bcnt1_i32_b32 s37, s31
	s_delay_alu instid0(SALU_CYCLE_1) | instskip(NEXT) | instid1(VALU_DEP_1)
	v_dual_mov_b32 v7, s37 :: v_dual_and_b32 v6, s31, v1
	v_bcnt_u32_b32 v6, v6, 0
	ds_store_b32 v3, v7 offset:40960
	s_waitcnt lgkmcnt(0)
	s_barrier
	buffer_gl0_inv
	s_and_saveexec_b32 s37, s0
	s_cbranch_execnz .LBB68_96
; %bb.64:                               ;   in Loop: Header=BB68_63 Depth=1
	s_or_b32 exec_lo, exec_lo, s37
	s_and_saveexec_b32 s37, s1
	s_cbranch_execnz .LBB68_97
.LBB68_65:                              ;   in Loop: Header=BB68_63 Depth=1
	s_or_b32 exec_lo, exec_lo, s37
	s_and_saveexec_b32 s37, s2
	s_cbranch_execnz .LBB68_98
.LBB68_66:                              ;   in Loop: Header=BB68_63 Depth=1
	s_or_b32 exec_lo, exec_lo, s37
	s_and_saveexec_b32 s37, s3
	s_cbranch_execnz .LBB68_99
.LBB68_67:                              ;   in Loop: Header=BB68_63 Depth=1
	s_or_b32 exec_lo, exec_lo, s37
	s_and_saveexec_b32 s37, s4
	s_cbranch_execnz .LBB68_100
.LBB68_68:                              ;   in Loop: Header=BB68_63 Depth=1
	s_or_b32 exec_lo, exec_lo, s37
	s_and_saveexec_b32 s37, s5
	s_cbranch_execnz .LBB68_101
.LBB68_69:                              ;   in Loop: Header=BB68_63 Depth=1
	s_or_b32 exec_lo, exec_lo, s37
	s_and_saveexec_b32 s37, s6
	s_cbranch_execnz .LBB68_102
.LBB68_70:                              ;   in Loop: Header=BB68_63 Depth=1
	s_or_b32 exec_lo, exec_lo, s37
	s_and_saveexec_b32 s37, s7
	s_cbranch_execnz .LBB68_103
.LBB68_71:                              ;   in Loop: Header=BB68_63 Depth=1
	s_or_b32 exec_lo, exec_lo, s37
	s_and_saveexec_b32 s37, s8
	s_cbranch_execnz .LBB68_104
.LBB68_72:                              ;   in Loop: Header=BB68_63 Depth=1
	s_or_b32 exec_lo, exec_lo, s37
	s_and_saveexec_b32 s37, s9
	s_cbranch_execnz .LBB68_105
.LBB68_73:                              ;   in Loop: Header=BB68_63 Depth=1
	s_or_b32 exec_lo, exec_lo, s37
	s_and_saveexec_b32 s37, s10
	s_cbranch_execnz .LBB68_106
.LBB68_74:                              ;   in Loop: Header=BB68_63 Depth=1
	s_or_b32 exec_lo, exec_lo, s37
	s_and_saveexec_b32 s37, s11
	s_cbranch_execnz .LBB68_107
.LBB68_75:                              ;   in Loop: Header=BB68_63 Depth=1
	s_or_b32 exec_lo, exec_lo, s37
	s_and_saveexec_b32 s37, s12
	s_cbranch_execnz .LBB68_108
.LBB68_76:                              ;   in Loop: Header=BB68_63 Depth=1
	s_or_b32 exec_lo, exec_lo, s37
	s_and_saveexec_b32 s37, s13
	s_cbranch_execnz .LBB68_109
.LBB68_77:                              ;   in Loop: Header=BB68_63 Depth=1
	s_or_b32 exec_lo, exec_lo, s37
	s_and_saveexec_b32 s37, s14
	s_cbranch_execnz .LBB68_110
.LBB68_78:                              ;   in Loop: Header=BB68_63 Depth=1
	s_or_b32 exec_lo, exec_lo, s37
	s_and_saveexec_b32 s37, s15
	s_cbranch_execnz .LBB68_111
.LBB68_79:                              ;   in Loop: Header=BB68_63 Depth=1
	s_or_b32 exec_lo, exec_lo, s37
	s_and_saveexec_b32 s37, s16
	s_cbranch_execnz .LBB68_112
.LBB68_80:                              ;   in Loop: Header=BB68_63 Depth=1
	s_or_b32 exec_lo, exec_lo, s37
	s_and_saveexec_b32 s37, s17
	s_cbranch_execnz .LBB68_113
.LBB68_81:                              ;   in Loop: Header=BB68_63 Depth=1
	s_or_b32 exec_lo, exec_lo, s37
	s_and_saveexec_b32 s37, s18
	s_cbranch_execnz .LBB68_114
.LBB68_82:                              ;   in Loop: Header=BB68_63 Depth=1
	s_or_b32 exec_lo, exec_lo, s37
	s_and_saveexec_b32 s37, s19
	s_cbranch_execnz .LBB68_115
.LBB68_83:                              ;   in Loop: Header=BB68_63 Depth=1
	s_or_b32 exec_lo, exec_lo, s37
	s_and_saveexec_b32 s37, s20
	s_cbranch_execnz .LBB68_116
.LBB68_84:                              ;   in Loop: Header=BB68_63 Depth=1
	s_or_b32 exec_lo, exec_lo, s37
	s_and_saveexec_b32 s37, s21
	s_cbranch_execnz .LBB68_117
.LBB68_85:                              ;   in Loop: Header=BB68_63 Depth=1
	s_or_b32 exec_lo, exec_lo, s37
	s_and_saveexec_b32 s37, s22
	s_cbranch_execnz .LBB68_118
.LBB68_86:                              ;   in Loop: Header=BB68_63 Depth=1
	s_or_b32 exec_lo, exec_lo, s37
	s_and_saveexec_b32 s37, s23
	s_cbranch_execnz .LBB68_119
.LBB68_87:                              ;   in Loop: Header=BB68_63 Depth=1
	s_or_b32 exec_lo, exec_lo, s37
	s_and_saveexec_b32 s37, s24
	s_cbranch_execnz .LBB68_120
.LBB68_88:                              ;   in Loop: Header=BB68_63 Depth=1
	s_or_b32 exec_lo, exec_lo, s37
	s_and_saveexec_b32 s37, s25
	s_cbranch_execnz .LBB68_121
.LBB68_89:                              ;   in Loop: Header=BB68_63 Depth=1
	s_or_b32 exec_lo, exec_lo, s37
	s_and_saveexec_b32 s37, s26
	s_cbranch_execnz .LBB68_122
.LBB68_90:                              ;   in Loop: Header=BB68_63 Depth=1
	s_or_b32 exec_lo, exec_lo, s37
	s_and_saveexec_b32 s37, s27
	s_cbranch_execnz .LBB68_123
.LBB68_91:                              ;   in Loop: Header=BB68_63 Depth=1
	s_or_b32 exec_lo, exec_lo, s37
	s_and_saveexec_b32 s37, s28
	s_cbranch_execnz .LBB68_124
.LBB68_92:                              ;   in Loop: Header=BB68_63 Depth=1
	s_or_b32 exec_lo, exec_lo, s37
	s_and_saveexec_b32 s37, s29
	s_cbranch_execnz .LBB68_125
.LBB68_93:                              ;   in Loop: Header=BB68_63 Depth=1
	s_or_b32 exec_lo, exec_lo, s37
	s_and_saveexec_b32 s37, s30
	s_cbranch_execnz .LBB68_126
.LBB68_94:                              ;   in Loop: Header=BB68_63 Depth=1
	s_or_b32 exec_lo, exec_lo, s37
	s_and_saveexec_b32 s37, s31
	s_cbranch_execnz .LBB68_127
.LBB68_95:                              ;   in Loop: Header=BB68_63 Depth=1
	s_or_b32 exec_lo, exec_lo, s37
	s_and_saveexec_b32 s31, vcc_lo
	s_cbranch_execz .LBB68_62
	s_branch .LBB68_128
.LBB68_96:                              ;   in Loop: Header=BB68_63 Depth=1
	ds_load_b32 v7, v2 offset:40960
	s_waitcnt lgkmcnt(0)
	v_add_nc_u32_e32 v6, v7, v6
	s_or_b32 exec_lo, exec_lo, s37
	s_and_saveexec_b32 s37, s1
	s_cbranch_execz .LBB68_65
.LBB68_97:                              ;   in Loop: Header=BB68_63 Depth=1
	ds_load_b32 v7, v2 offset:40964
	s_waitcnt lgkmcnt(0)
	v_add_nc_u32_e32 v6, v7, v6
	s_or_b32 exec_lo, exec_lo, s37
	s_and_saveexec_b32 s37, s2
	s_cbranch_execz .LBB68_66
.LBB68_98:                              ;   in Loop: Header=BB68_63 Depth=1
	ds_load_b32 v7, v2 offset:40968
	s_waitcnt lgkmcnt(0)
	v_add_nc_u32_e32 v6, v7, v6
	s_or_b32 exec_lo, exec_lo, s37
	s_and_saveexec_b32 s37, s3
	s_cbranch_execz .LBB68_67
.LBB68_99:                              ;   in Loop: Header=BB68_63 Depth=1
	ds_load_b32 v7, v2 offset:40972
	s_waitcnt lgkmcnt(0)
	v_add_nc_u32_e32 v6, v7, v6
	s_or_b32 exec_lo, exec_lo, s37
	s_and_saveexec_b32 s37, s4
	s_cbranch_execz .LBB68_68
.LBB68_100:                             ;   in Loop: Header=BB68_63 Depth=1
	ds_load_b32 v7, v2 offset:40976
	s_waitcnt lgkmcnt(0)
	v_add_nc_u32_e32 v6, v7, v6
	s_or_b32 exec_lo, exec_lo, s37
	s_and_saveexec_b32 s37, s5
	s_cbranch_execz .LBB68_69
.LBB68_101:                             ;   in Loop: Header=BB68_63 Depth=1
	ds_load_b32 v7, v2 offset:40980
	s_waitcnt lgkmcnt(0)
	v_add_nc_u32_e32 v6, v7, v6
	s_or_b32 exec_lo, exec_lo, s37
	s_and_saveexec_b32 s37, s6
	s_cbranch_execz .LBB68_70
.LBB68_102:                             ;   in Loop: Header=BB68_63 Depth=1
	ds_load_b32 v7, v2 offset:40984
	s_waitcnt lgkmcnt(0)
	v_add_nc_u32_e32 v6, v7, v6
	s_or_b32 exec_lo, exec_lo, s37
	s_and_saveexec_b32 s37, s7
	s_cbranch_execz .LBB68_71
.LBB68_103:                             ;   in Loop: Header=BB68_63 Depth=1
	ds_load_b32 v7, v2 offset:40988
	s_waitcnt lgkmcnt(0)
	v_add_nc_u32_e32 v6, v7, v6
	s_or_b32 exec_lo, exec_lo, s37
	s_and_saveexec_b32 s37, s8
	s_cbranch_execz .LBB68_72
.LBB68_104:                             ;   in Loop: Header=BB68_63 Depth=1
	ds_load_b32 v7, v2 offset:40992
	s_waitcnt lgkmcnt(0)
	v_add_nc_u32_e32 v6, v7, v6
	s_or_b32 exec_lo, exec_lo, s37
	s_and_saveexec_b32 s37, s9
	s_cbranch_execz .LBB68_73
.LBB68_105:                             ;   in Loop: Header=BB68_63 Depth=1
	ds_load_b32 v7, v2 offset:40996
	s_waitcnt lgkmcnt(0)
	v_add_nc_u32_e32 v6, v7, v6
	s_or_b32 exec_lo, exec_lo, s37
	s_and_saveexec_b32 s37, s10
	s_cbranch_execz .LBB68_74
.LBB68_106:                             ;   in Loop: Header=BB68_63 Depth=1
	ds_load_b32 v7, v2 offset:41000
	s_waitcnt lgkmcnt(0)
	v_add_nc_u32_e32 v6, v7, v6
	s_or_b32 exec_lo, exec_lo, s37
	s_and_saveexec_b32 s37, s11
	s_cbranch_execz .LBB68_75
.LBB68_107:                             ;   in Loop: Header=BB68_63 Depth=1
	ds_load_b32 v7, v2 offset:41004
	s_waitcnt lgkmcnt(0)
	v_add_nc_u32_e32 v6, v7, v6
	s_or_b32 exec_lo, exec_lo, s37
	s_and_saveexec_b32 s37, s12
	s_cbranch_execz .LBB68_76
.LBB68_108:                             ;   in Loop: Header=BB68_63 Depth=1
	ds_load_b32 v7, v2 offset:41008
	s_waitcnt lgkmcnt(0)
	v_add_nc_u32_e32 v6, v7, v6
	s_or_b32 exec_lo, exec_lo, s37
	s_and_saveexec_b32 s37, s13
	s_cbranch_execz .LBB68_77
.LBB68_109:                             ;   in Loop: Header=BB68_63 Depth=1
	ds_load_b32 v7, v2 offset:41012
	s_waitcnt lgkmcnt(0)
	v_add_nc_u32_e32 v6, v7, v6
	s_or_b32 exec_lo, exec_lo, s37
	s_and_saveexec_b32 s37, s14
	s_cbranch_execz .LBB68_78
.LBB68_110:                             ;   in Loop: Header=BB68_63 Depth=1
	ds_load_b32 v7, v2 offset:41016
	s_waitcnt lgkmcnt(0)
	v_add_nc_u32_e32 v6, v7, v6
	s_or_b32 exec_lo, exec_lo, s37
	s_and_saveexec_b32 s37, s15
	s_cbranch_execz .LBB68_79
.LBB68_111:                             ;   in Loop: Header=BB68_63 Depth=1
	ds_load_b32 v7, v2 offset:41020
	s_waitcnt lgkmcnt(0)
	v_add_nc_u32_e32 v6, v7, v6
	s_or_b32 exec_lo, exec_lo, s37
	s_and_saveexec_b32 s37, s16
	s_cbranch_execz .LBB68_80
.LBB68_112:                             ;   in Loop: Header=BB68_63 Depth=1
	ds_load_b32 v7, v2 offset:41024
	s_waitcnt lgkmcnt(0)
	v_add_nc_u32_e32 v6, v7, v6
	s_or_b32 exec_lo, exec_lo, s37
	s_and_saveexec_b32 s37, s17
	s_cbranch_execz .LBB68_81
.LBB68_113:                             ;   in Loop: Header=BB68_63 Depth=1
	ds_load_b32 v7, v2 offset:41028
	s_waitcnt lgkmcnt(0)
	v_add_nc_u32_e32 v6, v7, v6
	s_or_b32 exec_lo, exec_lo, s37
	s_and_saveexec_b32 s37, s18
	s_cbranch_execz .LBB68_82
.LBB68_114:                             ;   in Loop: Header=BB68_63 Depth=1
	ds_load_b32 v7, v2 offset:41032
	s_waitcnt lgkmcnt(0)
	v_add_nc_u32_e32 v6, v7, v6
	s_or_b32 exec_lo, exec_lo, s37
	s_and_saveexec_b32 s37, s19
	s_cbranch_execz .LBB68_83
.LBB68_115:                             ;   in Loop: Header=BB68_63 Depth=1
	ds_load_b32 v7, v2 offset:41036
	s_waitcnt lgkmcnt(0)
	v_add_nc_u32_e32 v6, v7, v6
	s_or_b32 exec_lo, exec_lo, s37
	s_and_saveexec_b32 s37, s20
	s_cbranch_execz .LBB68_84
.LBB68_116:                             ;   in Loop: Header=BB68_63 Depth=1
	ds_load_b32 v7, v2 offset:41040
	s_waitcnt lgkmcnt(0)
	v_add_nc_u32_e32 v6, v7, v6
	s_or_b32 exec_lo, exec_lo, s37
	s_and_saveexec_b32 s37, s21
	s_cbranch_execz .LBB68_85
.LBB68_117:                             ;   in Loop: Header=BB68_63 Depth=1
	ds_load_b32 v7, v2 offset:41044
	s_waitcnt lgkmcnt(0)
	v_add_nc_u32_e32 v6, v7, v6
	s_or_b32 exec_lo, exec_lo, s37
	s_and_saveexec_b32 s37, s22
	s_cbranch_execz .LBB68_86
.LBB68_118:                             ;   in Loop: Header=BB68_63 Depth=1
	ds_load_b32 v7, v2 offset:41048
	s_waitcnt lgkmcnt(0)
	v_add_nc_u32_e32 v6, v7, v6
	s_or_b32 exec_lo, exec_lo, s37
	s_and_saveexec_b32 s37, s23
	s_cbranch_execz .LBB68_87
.LBB68_119:                             ;   in Loop: Header=BB68_63 Depth=1
	ds_load_b32 v7, v2 offset:41052
	s_waitcnt lgkmcnt(0)
	v_add_nc_u32_e32 v6, v7, v6
	s_or_b32 exec_lo, exec_lo, s37
	s_and_saveexec_b32 s37, s24
	s_cbranch_execz .LBB68_88
.LBB68_120:                             ;   in Loop: Header=BB68_63 Depth=1
	ds_load_b32 v7, v2 offset:41056
	s_waitcnt lgkmcnt(0)
	v_add_nc_u32_e32 v6, v7, v6
	s_or_b32 exec_lo, exec_lo, s37
	s_and_saveexec_b32 s37, s25
	s_cbranch_execz .LBB68_89
.LBB68_121:                             ;   in Loop: Header=BB68_63 Depth=1
	ds_load_b32 v7, v2 offset:41060
	s_waitcnt lgkmcnt(0)
	v_add_nc_u32_e32 v6, v7, v6
	s_or_b32 exec_lo, exec_lo, s37
	s_and_saveexec_b32 s37, s26
	s_cbranch_execz .LBB68_90
.LBB68_122:                             ;   in Loop: Header=BB68_63 Depth=1
	ds_load_b32 v7, v2 offset:41064
	s_waitcnt lgkmcnt(0)
	v_add_nc_u32_e32 v6, v7, v6
	s_or_b32 exec_lo, exec_lo, s37
	s_and_saveexec_b32 s37, s27
	s_cbranch_execz .LBB68_91
.LBB68_123:                             ;   in Loop: Header=BB68_63 Depth=1
	ds_load_b32 v7, v2 offset:41068
	s_waitcnt lgkmcnt(0)
	v_add_nc_u32_e32 v6, v7, v6
	s_or_b32 exec_lo, exec_lo, s37
	s_and_saveexec_b32 s37, s28
	s_cbranch_execz .LBB68_92
.LBB68_124:                             ;   in Loop: Header=BB68_63 Depth=1
	ds_load_b32 v7, v2 offset:41072
	s_waitcnt lgkmcnt(0)
	v_add_nc_u32_e32 v6, v7, v6
	s_or_b32 exec_lo, exec_lo, s37
	s_and_saveexec_b32 s37, s29
	s_cbranch_execz .LBB68_93
.LBB68_125:                             ;   in Loop: Header=BB68_63 Depth=1
	ds_load_b32 v7, v2 offset:41076
	s_waitcnt lgkmcnt(0)
	v_add_nc_u32_e32 v6, v7, v6
	s_or_b32 exec_lo, exec_lo, s37
	s_and_saveexec_b32 s37, s30
	s_cbranch_execz .LBB68_94
.LBB68_126:                             ;   in Loop: Header=BB68_63 Depth=1
	ds_load_b32 v7, v2 offset:41080
	s_waitcnt lgkmcnt(0)
	v_add_nc_u32_e32 v6, v7, v6
	s_or_b32 exec_lo, exec_lo, s37
	s_and_saveexec_b32 s37, s31
	s_cbranch_execz .LBB68_95
.LBB68_127:                             ;   in Loop: Header=BB68_63 Depth=1
	scratch_load_b128 v[7:10], off, off
	v_add3_u32 v11, v4, -1, v6
	s_delay_alu instid0(VALU_DEP_1) | instskip(SKIP_1) | instid1(VALU_DEP_2)
	v_lshlrev_b32_e32 v12, 4, v11
	v_lshl_add_u32 v11, v11, 2, 0
	v_add3_u32 v12, 0, v12, 0x2000
	ds_store_b32 v11, v5
	s_waitcnt vmcnt(0)
	ds_store_2addr_b64 v12, v[7:8], v[9:10] offset1:1
	s_or_b32 exec_lo, exec_lo, s37
	s_and_saveexec_b32 s31, vcc_lo
	s_cbranch_execz .LBB68_62
.LBB68_128:                             ;   in Loop: Header=BB68_63 Depth=1
	ds_store_b32 v2, v6 offset:41084
	s_branch .LBB68_62
.LBB68_129:
	s_or_b32 exec_lo, exec_lo, s36
	s_ashr_i32 s49, s48, 31
	s_mov_b32 s3, exec_lo
	s_lshl_b64 s[0:1], s[48:49], 2
	s_delay_alu instid0(SALU_CYCLE_1) | instskip(SKIP_4) | instid1(SALU_CYCLE_1)
	s_add_u32 s0, s42, s0
	s_addc_u32 s1, s43, s1
	s_load_b64 s[0:1], s[0:1], 0x0
	s_waitcnt lgkmcnt(0)
	s_sub_i32 s2, s1, s0
	v_cmpx_gt_i32_e64 s2, v0
	s_cbranch_execz .LBB68_139
; %bb.130:
	s_sub_i32 s3, s0, s46
	s_sub_i32 s0, s0, s1
	s_and_b32 s1, s2, 7
	s_cmp_lt_u32 s0, -7
	s_mov_b32 s7, 0
	s_cselect_b32 s4, -1, 0
	s_and_b32 s5, s2, -8
	s_cmp_lg_u32 s1, 0
	s_cselect_b32 s6, -1, 0
	s_branch .LBB68_132
.LBB68_131:                             ;   in Loop: Header=BB68_132 Depth=1
	s_waitcnt lgkmcnt(0)
	v_mul_lo_u32 v3, v0, 12
	v_add_nc_u32_e32 v0, 0x400, v0
	s_delay_alu instid0(VALU_DEP_1) | instskip(NEXT) | instid1(VALU_DEP_3)
	v_cmp_le_i32_e32 vcc_lo, s2, v0
	v_add3_u32 v2, v2, v3, 0x2000
	s_or_b32 s7, vcc_lo, s7
	ds_load_2addr_b64 v[3:6], v2 offset1:1
	v_ashrrev_i32_e32 v2, 31, v1
	s_delay_alu instid0(VALU_DEP_1) | instskip(NEXT) | instid1(VALU_DEP_1)
	v_lshlrev_b64 v[1:2], 4, v[1:2]
	v_add_co_u32 v1, s0, s34, v1
	s_delay_alu instid0(VALU_DEP_1)
	v_add_co_ci_u32_e64 v2, s0, s35, v2, s0
	s_waitcnt lgkmcnt(0)
	global_store_b128 v[1:2], v[3:6], off
	s_and_not1_b32 exec_lo, exec_lo, s7
	s_cbranch_execz .LBB68_139
.LBB68_132:                             ; =>This Loop Header: Depth=1
                                        ;     Child Loop BB68_134 Depth 2
                                        ;     Child Loop BB68_138 Depth 2
	v_lshl_add_u32 v2, v0, 2, 0
	v_mov_b32_e32 v1, s3
	s_and_not1_b32 vcc_lo, exec_lo, s4
	s_mov_b32 s0, 0
	ds_load_b32 v3, v2
	s_cbranch_vccnz .LBB68_136
; %bb.133:                              ;   in Loop: Header=BB68_132 Depth=1
	v_mov_b32_e32 v1, s3
	s_mov_b32 s8, 0
	s_set_inst_prefetch_distance 0x1
	.p2align	6
.LBB68_134:                             ;   Parent Loop BB68_132 Depth=1
                                        ; =>  This Inner Loop Header: Depth=2
	v_mov_b32_e32 v10, s8
	s_add_i32 s0, s0, 8
	s_add_i32 s8, s8, 32
	s_cmp_eq_u32 s5, s0
	ds_load_2addr_b32 v[4:5], v10 offset1:1
	ds_load_2addr_b32 v[6:7], v10 offset0:2 offset1:3
	ds_load_2addr_b32 v[8:9], v10 offset0:4 offset1:5
	;; [unrolled: 1-line block ×3, first 2 shown]
	s_waitcnt lgkmcnt(3)
	v_cmp_gt_i32_e32 vcc_lo, v3, v4
	v_cndmask_b32_e64 v4, 0, 1, vcc_lo
	s_waitcnt lgkmcnt(2)
	v_cmp_gt_i32_e32 vcc_lo, v3, v6
	v_cndmask_b32_e64 v6, 0, 1, vcc_lo
	v_cmp_gt_i32_e32 vcc_lo, v3, v5
	v_add_co_ci_u32_e32 v1, vcc_lo, v1, v4, vcc_lo
	s_waitcnt lgkmcnt(1)
	v_cmp_gt_i32_e32 vcc_lo, v3, v8
	v_cndmask_b32_e64 v4, 0, 1, vcc_lo
	v_cmp_gt_i32_e32 vcc_lo, v3, v7
	v_add_co_ci_u32_e32 v1, vcc_lo, v1, v6, vcc_lo
	;; [unrolled: 5-line block ×3, first 2 shown]
	v_cmp_gt_i32_e32 vcc_lo, v3, v11
	s_delay_alu instid0(VALU_DEP_2)
	v_add_co_ci_u32_e32 v1, vcc_lo, v1, v5, vcc_lo
	s_cbranch_scc0 .LBB68_134
; %bb.135:                              ;   in Loop: Header=BB68_132 Depth=1
	s_set_inst_prefetch_distance 0x2
	s_mov_b32 s0, s5
.LBB68_136:                             ;   in Loop: Header=BB68_132 Depth=1
	s_and_not1_b32 vcc_lo, exec_lo, s6
	s_cbranch_vccnz .LBB68_131
; %bb.137:                              ;   in Loop: Header=BB68_132 Depth=1
	s_lshl_b32 s0, s0, 2
	s_mov_b32 s8, s1
	s_add_i32 s0, s0, 0
.LBB68_138:                             ;   Parent Loop BB68_132 Depth=1
                                        ; =>  This Inner Loop Header: Depth=2
	s_delay_alu instid0(SALU_CYCLE_1)
	v_mov_b32_e32 v4, s0
	s_add_i32 s8, s8, -1
	s_add_i32 s0, s0, 4
	s_cmp_lg_u32 s8, 0
	ds_load_b32 v4, v4
	s_waitcnt lgkmcnt(0)
	v_cmp_gt_i32_e32 vcc_lo, v3, v4
	v_add_co_ci_u32_e32 v1, vcc_lo, 0, v1, vcc_lo
	s_cbranch_scc1 .LBB68_138
	s_branch .LBB68_131
.LBB68_139:
	s_nop 0
	s_sendmsg sendmsg(MSG_DEALLOC_VGPRS)
	s_endpgm
	.section	.rodata,"a",@progbits
	.p2align	6, 0x0
	.amdhsa_kernel _ZN9rocsparseL41csrgemm_numeric_fill_block_per_row_kernelILj1024ELj32ELj2048ELj137ELj32Eii21rocsparse_complex_numIdEEEvT5_PKS3_S5_NS_24const_host_device_scalarIT6_EEPKT4_S5_PKS7_SB_S5_SD_S8_SB_S5_SD_SB_S5_PS7_21rocsparse_index_base_SF_SF_SF_bbb
		.amdhsa_group_segment_fixed_size 0
		.amdhsa_private_segment_fixed_size 40
		.amdhsa_kernarg_size 172
		.amdhsa_user_sgpr_count 15
		.amdhsa_user_sgpr_dispatch_ptr 0
		.amdhsa_user_sgpr_queue_ptr 0
		.amdhsa_user_sgpr_kernarg_segment_ptr 1
		.amdhsa_user_sgpr_dispatch_id 0
		.amdhsa_user_sgpr_private_segment_size 0
		.amdhsa_wavefront_size32 1
		.amdhsa_uses_dynamic_stack 0
		.amdhsa_enable_private_segment 1
		.amdhsa_system_sgpr_workgroup_id_x 1
		.amdhsa_system_sgpr_workgroup_id_y 0
		.amdhsa_system_sgpr_workgroup_id_z 0
		.amdhsa_system_sgpr_workgroup_info 0
		.amdhsa_system_vgpr_workitem_id 0
		.amdhsa_next_free_vgpr 32
		.amdhsa_next_free_sgpr 50
		.amdhsa_reserve_vcc 1
		.amdhsa_float_round_mode_32 0
		.amdhsa_float_round_mode_16_64 0
		.amdhsa_float_denorm_mode_32 3
		.amdhsa_float_denorm_mode_16_64 3
		.amdhsa_dx10_clamp 1
		.amdhsa_ieee_mode 1
		.amdhsa_fp16_overflow 0
		.amdhsa_workgroup_processor_mode 1
		.amdhsa_memory_ordered 1
		.amdhsa_forward_progress 0
		.amdhsa_shared_vgpr_count 0
		.amdhsa_exception_fp_ieee_invalid_op 0
		.amdhsa_exception_fp_denorm_src 0
		.amdhsa_exception_fp_ieee_div_zero 0
		.amdhsa_exception_fp_ieee_overflow 0
		.amdhsa_exception_fp_ieee_underflow 0
		.amdhsa_exception_fp_ieee_inexact 0
		.amdhsa_exception_int_div_zero 0
	.end_amdhsa_kernel
	.section	.text._ZN9rocsparseL41csrgemm_numeric_fill_block_per_row_kernelILj1024ELj32ELj2048ELj137ELj32Eii21rocsparse_complex_numIdEEEvT5_PKS3_S5_NS_24const_host_device_scalarIT6_EEPKT4_S5_PKS7_SB_S5_SD_S8_SB_S5_SD_SB_S5_PS7_21rocsparse_index_base_SF_SF_SF_bbb,"axG",@progbits,_ZN9rocsparseL41csrgemm_numeric_fill_block_per_row_kernelILj1024ELj32ELj2048ELj137ELj32Eii21rocsparse_complex_numIdEEEvT5_PKS3_S5_NS_24const_host_device_scalarIT6_EEPKT4_S5_PKS7_SB_S5_SD_S8_SB_S5_SD_SB_S5_PS7_21rocsparse_index_base_SF_SF_SF_bbb,comdat
.Lfunc_end68:
	.size	_ZN9rocsparseL41csrgemm_numeric_fill_block_per_row_kernelILj1024ELj32ELj2048ELj137ELj32Eii21rocsparse_complex_numIdEEEvT5_PKS3_S5_NS_24const_host_device_scalarIT6_EEPKT4_S5_PKS7_SB_S5_SD_S8_SB_S5_SD_SB_S5_PS7_21rocsparse_index_base_SF_SF_SF_bbb, .Lfunc_end68-_ZN9rocsparseL41csrgemm_numeric_fill_block_per_row_kernelILj1024ELj32ELj2048ELj137ELj32Eii21rocsparse_complex_numIdEEEvT5_PKS3_S5_NS_24const_host_device_scalarIT6_EEPKT4_S5_PKS7_SB_S5_SD_S8_SB_S5_SD_SB_S5_PS7_21rocsparse_index_base_SF_SF_SF_bbb
                                        ; -- End function
	.section	.AMDGPU.csdata,"",@progbits
; Kernel info:
; codeLenInByte = 4888
; NumSgprs: 52
; NumVgprs: 32
; ScratchSize: 40
; MemoryBound: 0
; FloatMode: 240
; IeeeMode: 1
; LDSByteSize: 0 bytes/workgroup (compile time only)
; SGPRBlocks: 6
; VGPRBlocks: 3
; NumSGPRsForWavesPerEU: 52
; NumVGPRsForWavesPerEU: 32
; Occupancy: 16
; WaveLimiterHint : 1
; COMPUTE_PGM_RSRC2:SCRATCH_EN: 1
; COMPUTE_PGM_RSRC2:USER_SGPR: 15
; COMPUTE_PGM_RSRC2:TRAP_HANDLER: 0
; COMPUTE_PGM_RSRC2:TGID_X_EN: 1
; COMPUTE_PGM_RSRC2:TGID_Y_EN: 0
; COMPUTE_PGM_RSRC2:TGID_Z_EN: 0
; COMPUTE_PGM_RSRC2:TIDIG_COMP_CNT: 0
	.section	.text._ZN9rocsparseL41csrgemm_numeric_fill_block_per_row_kernelILj1024ELj32ELj2048ELj137ELj64Eii21rocsparse_complex_numIdEEEvT5_PKS3_S5_NS_24const_host_device_scalarIT6_EEPKT4_S5_PKS7_SB_S5_SD_S8_SB_S5_SD_SB_S5_PS7_21rocsparse_index_base_SF_SF_SF_bbb,"axG",@progbits,_ZN9rocsparseL41csrgemm_numeric_fill_block_per_row_kernelILj1024ELj32ELj2048ELj137ELj64Eii21rocsparse_complex_numIdEEEvT5_PKS3_S5_NS_24const_host_device_scalarIT6_EEPKT4_S5_PKS7_SB_S5_SD_S8_SB_S5_SD_SB_S5_PS7_21rocsparse_index_base_SF_SF_SF_bbb,comdat
	.globl	_ZN9rocsparseL41csrgemm_numeric_fill_block_per_row_kernelILj1024ELj32ELj2048ELj137ELj64Eii21rocsparse_complex_numIdEEEvT5_PKS3_S5_NS_24const_host_device_scalarIT6_EEPKT4_S5_PKS7_SB_S5_SD_S8_SB_S5_SD_SB_S5_PS7_21rocsparse_index_base_SF_SF_SF_bbb ; -- Begin function _ZN9rocsparseL41csrgemm_numeric_fill_block_per_row_kernelILj1024ELj32ELj2048ELj137ELj64Eii21rocsparse_complex_numIdEEEvT5_PKS3_S5_NS_24const_host_device_scalarIT6_EEPKT4_S5_PKS7_SB_S5_SD_S8_SB_S5_SD_SB_S5_PS7_21rocsparse_index_base_SF_SF_SF_bbb
	.p2align	8
	.type	_ZN9rocsparseL41csrgemm_numeric_fill_block_per_row_kernelILj1024ELj32ELj2048ELj137ELj64Eii21rocsparse_complex_numIdEEEvT5_PKS3_S5_NS_24const_host_device_scalarIT6_EEPKT4_S5_PKS7_SB_S5_SD_S8_SB_S5_SD_SB_S5_PS7_21rocsparse_index_base_SF_SF_SF_bbb,@function
_ZN9rocsparseL41csrgemm_numeric_fill_block_per_row_kernelILj1024ELj32ELj2048ELj137ELj64Eii21rocsparse_complex_numIdEEEvT5_PKS3_S5_NS_24const_host_device_scalarIT6_EEPKT4_S5_PKS7_SB_S5_SD_S8_SB_S5_SD_SB_S5_PS7_21rocsparse_index_base_SF_SF_SF_bbb: ; @_ZN9rocsparseL41csrgemm_numeric_fill_block_per_row_kernelILj1024ELj32ELj2048ELj137ELj64Eii21rocsparse_complex_numIdEEEvT5_PKS3_S5_NS_24const_host_device_scalarIT6_EEPKT4_S5_PKS7_SB_S5_SD_S8_SB_S5_SD_SB_S5_PS7_21rocsparse_index_base_SF_SF_SF_bbb
; %bb.0:
	s_clause 0x3
	s_load_b32 s14, s[0:1], 0xa8
	s_load_b128 s[4:7], s[0:1], 0x18
	s_load_b128 s[36:39], s[0:1], 0x58
	;; [unrolled: 1-line block ×3, first 2 shown]
	v_mov_b32_e32 v1, 0
	v_mov_b32_e32 v2, 0
	s_waitcnt lgkmcnt(0)
	s_bitcmp1_b32 s14, 0
	v_mov_b32_e32 v3, s4
	s_cselect_b32 s12, -1, 0
	s_bitcmp1_b32 s14, 16
	v_dual_mov_b32 v6, v2 :: v_dual_mov_b32 v5, v1
	s_cselect_b32 s2, -1, 0
	v_mov_b32_e32 v4, s5
	s_xor_b32 s13, s2, -1
	v_dual_mov_b32 v9, s36 :: v_dual_mov_b32 v10, s37
	v_cndmask_b32_e64 v7, 0, 1, s13
	s_bitcmp0_b32 s14, 0
	s_clause 0x1
	scratch_store_b64 off, v[3:4], off offset:16
	scratch_store_b64 off, v[9:10], off offset:24
	v_cmp_ne_u32_e32 vcc_lo, 1, v7
	v_dual_mov_b32 v8, v2 :: v_dual_mov_b32 v7, v1
	s_cbranch_scc1 .LBB69_3
; %bb.1:
	s_mov_b64 s[8:9], src_private_base
	s_and_b32 s3, s2, exec_lo
	s_cselect_b32 s3, s9, s5
	s_delay_alu instid0(SALU_CYCLE_1) | instskip(SKIP_2) | instid1(VALU_DEP_2)
	v_dual_mov_b32 v3, 16 :: v_dual_mov_b32 v4, s3
	v_dual_mov_b32 v8, s7 :: v_dual_mov_b32 v7, s6
	s_and_b32 vcc_lo, exec_lo, vcc_lo
	v_cndmask_b32_e64 v3, s4, v3, s2
	flat_load_b64 v[5:6], v[3:4]
	s_cbranch_vccnz .LBB69_3
; %bb.2:
	v_dual_mov_b32 v3, s4 :: v_dual_mov_b32 v4, s5
	flat_load_b64 v[7:8], v[3:4] offset:8
.LBB69_3:
	s_clause 0x4
	s_load_b64 s[34:35], s[0:1], 0x90
	s_load_b256 s[16:23], s[0:1], 0x68
	s_load_b128 s[28:31], s[0:1], 0x48
	s_load_b128 s[40:43], s[0:1], 0x8
	s_load_b256 s[4:11], s[0:1], 0x28
	s_bitcmp1_b32 s14, 8
	v_dual_mov_b32 v4, v2 :: v_dual_mov_b32 v3, v1
	s_cselect_b32 s3, -1, 0
	s_bfe_u32 s14, s14, 0x10008
	s_delay_alu instid0(SALU_CYCLE_1)
	s_cmp_eq_u32 s14, 0
	s_cbranch_scc1 .LBB69_6
; %bb.4:
	s_mov_b64 s[44:45], src_private_base
	s_and_b32 s14, s2, exec_lo
	s_cselect_b32 s14, s45, s37
	s_delay_alu instid0(SALU_CYCLE_1) | instskip(SKIP_1) | instid1(VALU_DEP_1)
	v_dual_mov_b32 v1, 24 :: v_dual_mov_b32 v2, s14
	s_and_not1_b32 vcc_lo, exec_lo, s13
	v_cndmask_b32_e64 v1, s36, v1, s2
	flat_load_b64 v[3:4], v[1:2]
	v_dual_mov_b32 v1, s38 :: v_dual_mov_b32 v2, s39
	s_cbranch_vccnz .LBB69_6
; %bb.5:
	v_dual_mov_b32 v1, s36 :: v_dual_mov_b32 v2, s37
	flat_load_b64 v[1:2], v[1:2] offset:8
.LBB69_6:
	s_load_b32 s33, s[0:1], 0x0
	s_mov_b32 s0, 0
	v_or_b32_e32 v23, 0xfffffc00, v0
	s_mov_b32 s1, s0
	s_delay_alu instid0(SALU_CYCLE_1) | instskip(SKIP_3) | instid1(VALU_DEP_2)
	v_dual_mov_b32 v10, s1 :: v_dual_lshlrev_b32 v11, 4, v0
	v_lshl_add_u32 v24, v0, 2, 0
	s_mov_b32 s36, s0
	s_mov_b32 s37, s0
	v_add3_u32 v25, v11, 0, 0x2000
	v_dual_mov_b32 v11, s36 :: v_dual_mov_b32 v14, v23
	v_dual_mov_b32 v9, s0 :: v_dual_mov_b32 v12, s37
	s_delay_alu instid0(VALU_DEP_3)
	v_dual_mov_b32 v13, v24 :: v_dual_mov_b32 v16, v25
	s_waitcnt lgkmcnt(0)
	v_mov_b32_e32 v15, s33
.LBB69_7:                               ; =>This Inner Loop Header: Depth=1
	v_add_co_u32 v14, s1, 0x400, v14
	s_delay_alu instid0(VALU_DEP_1)
	s_xor_b32 s1, s1, -1
	ds_store_b32 v13, v15
	ds_store_2addr_b64 v16, v[9:10], v[11:12] offset1:1
	v_add_nc_u32_e32 v16, 0x4000, v16
	v_add_nc_u32_e32 v13, 0x1000, v13
	s_and_b32 s1, exec_lo, s1
	s_delay_alu instid0(SALU_CYCLE_1) | instskip(NEXT) | instid1(SALU_CYCLE_1)
	s_or_b32 s0, s1, s0
	s_and_not1_b32 exec_lo, exec_lo, s0
	s_cbranch_execnz .LBB69_7
; %bb.8:
	s_or_b32 exec_lo, exec_lo, s0
	s_waitcnt vmcnt(0) lgkmcnt(0)
	s_waitcnt_vscnt null, 0x0
	s_barrier
	buffer_gl0_inv
	s_load_b32 s0, s[40:41], 0x0
	s_mov_b32 s1, 0
	s_waitcnt lgkmcnt(0)
	s_add_i32 s0, s0, s15
	s_delay_alu instid0(SALU_CYCLE_1) | instskip(NEXT) | instid1(SALU_CYCLE_1)
	s_lshl_b64 s[0:1], s[0:1], 2
	s_add_u32 s0, s42, s0
	s_addc_u32 s1, s43, s1
	s_and_b32 vcc_lo, exec_lo, s12
	s_load_b32 s36, s[0:1], 0x0
	s_cbranch_vccz .LBB69_36
; %bb.9:
	s_waitcnt lgkmcnt(0)
	s_ashr_i32 s37, s36, 31
	v_lshrrev_b32_e32 v9, 5, v0
	s_lshl_b64 s[0:1], s[36:37], 2
	s_delay_alu instid0(SALU_CYCLE_1) | instskip(SKIP_1) | instid1(VALU_DEP_1)
	s_add_u32 s0, s4, s0
	s_addc_u32 s1, s5, s1
	v_subrev_nc_u32_e32 v9, s24, v9
	s_load_b64 s[0:1], s[0:1], 0x0
	s_waitcnt lgkmcnt(0)
	s_delay_alu instid0(VALU_DEP_1) | instskip(SKIP_2) | instid1(VALU_DEP_1)
	v_add_nc_u32_e32 v9, s0, v9
	s_sub_i32 s0, s1, s24
	s_mov_b32 s1, exec_lo
	v_cmpx_gt_i32_e64 s0, v9
	s_cbranch_execz .LBB69_35
; %bb.10:
	v_and_b32_e32 v10, 31, v0
	s_mov_b32 s2, 0
	s_delay_alu instid0(VALU_DEP_1)
	v_subrev_nc_u32_e32 v26, s25, v10
	s_branch .LBB69_12
.LBB69_11:                              ;   in Loop: Header=BB69_12 Depth=1
	s_or_b32 exec_lo, exec_lo, s4
	v_add_nc_u32_e32 v9, 32, v9
	s_delay_alu instid0(VALU_DEP_1) | instskip(SKIP_1) | instid1(SALU_CYCLE_1)
	v_cmp_le_i32_e32 vcc_lo, s0, v9
	s_or_b32 s2, vcc_lo, s2
	s_and_not1_b32 exec_lo, exec_lo, s2
	s_cbranch_execz .LBB69_35
.LBB69_12:                              ; =>This Loop Header: Depth=1
                                        ;     Child Loop BB69_15 Depth 2
                                        ;       Child Loop BB69_17 Depth 3
                                        ;         Child Loop BB69_23 Depth 4
                                        ;         Child Loop BB69_25 Depth 4
	;; [unrolled: 1-line block ×4, first 2 shown]
	v_ashrrev_i32_e32 v10, 31, v9
	s_mov_b32 s4, exec_lo
	s_delay_alu instid0(VALU_DEP_1) | instskip(NEXT) | instid1(VALU_DEP_1)
	v_lshlrev_b64 v[11:12], 2, v[9:10]
	v_add_co_u32 v11, vcc_lo, s6, v11
	s_delay_alu instid0(VALU_DEP_2) | instskip(SKIP_3) | instid1(VALU_DEP_1)
	v_add_co_ci_u32_e32 v12, vcc_lo, s7, v12, vcc_lo
	global_load_b32 v11, v[11:12], off
	s_waitcnt vmcnt(0)
	v_subrev_nc_u32_e32 v11, s24, v11
	v_ashrrev_i32_e32 v12, 31, v11
	s_delay_alu instid0(VALU_DEP_1) | instskip(NEXT) | instid1(VALU_DEP_1)
	v_lshlrev_b64 v[11:12], 2, v[11:12]
	v_add_co_u32 v11, vcc_lo, s10, v11
	s_delay_alu instid0(VALU_DEP_2) | instskip(SKIP_4) | instid1(VALU_DEP_1)
	v_add_co_ci_u32_e32 v12, vcc_lo, s11, v12, vcc_lo
	global_load_b64 v[11:12], v[11:12], off
	s_waitcnt vmcnt(0)
	v_subrev_nc_u32_e32 v27, s25, v12
	v_add_nc_u32_e32 v11, v11, v26
	v_cmpx_lt_i32_e64 v11, v27
	s_cbranch_execz .LBB69_11
; %bb.13:                               ;   in Loop: Header=BB69_12 Depth=1
	v_lshlrev_b64 v[12:13], 4, v[9:10]
	s_mov_b32 s5, 0
	s_delay_alu instid0(VALU_DEP_1) | instskip(NEXT) | instid1(VALU_DEP_2)
	v_add_co_u32 v12, vcc_lo, s8, v12
	v_add_co_ci_u32_e32 v13, vcc_lo, s9, v13, vcc_lo
	global_load_b128 v[15:18], v[12:13], off
	s_waitcnt vmcnt(0)
	v_mul_f64 v[12:13], v[17:18], -v[7:8]
	v_mul_f64 v[17:18], v[5:6], v[17:18]
	s_delay_alu instid0(VALU_DEP_2) | instskip(NEXT) | instid1(VALU_DEP_2)
	v_fma_f64 v[13:14], v[5:6], v[15:16], v[12:13]
	v_fma_f64 v[15:16], v[7:8], v[15:16], v[17:18]
	s_branch .LBB69_15
.LBB69_14:                              ;   in Loop: Header=BB69_15 Depth=2
	s_or_b32 exec_lo, exec_lo, s12
	v_add_nc_u32_e32 v11, 32, v11
	s_delay_alu instid0(VALU_DEP_1) | instskip(SKIP_1) | instid1(SALU_CYCLE_1)
	v_cmp_ge_i32_e32 vcc_lo, v11, v27
	s_or_b32 s5, vcc_lo, s5
	s_and_not1_b32 exec_lo, exec_lo, s5
	s_cbranch_execz .LBB69_11
.LBB69_15:                              ;   Parent Loop BB69_12 Depth=1
                                        ; =>  This Loop Header: Depth=2
                                        ;       Child Loop BB69_17 Depth 3
                                        ;         Child Loop BB69_23 Depth 4
                                        ;         Child Loop BB69_25 Depth 4
	;; [unrolled: 1-line block ×4, first 2 shown]
	v_ashrrev_i32_e32 v12, 31, v11
	s_mov_b32 s12, 0
	s_delay_alu instid0(VALU_DEP_1) | instskip(NEXT) | instid1(VALU_DEP_1)
	v_lshlrev_b64 v[17:18], 4, v[11:12]
	v_add_co_u32 v17, vcc_lo, s30, v17
	s_delay_alu instid0(VALU_DEP_2) | instskip(SKIP_2) | instid1(VALU_DEP_1)
	v_add_co_ci_u32_e32 v18, vcc_lo, s31, v18, vcc_lo
	global_load_b128 v[19:22], v[17:18], off
	v_lshlrev_b64 v[17:18], 2, v[11:12]
	v_add_co_u32 v17, vcc_lo, s28, v17
	s_delay_alu instid0(VALU_DEP_2)
	v_add_co_ci_u32_e32 v18, vcc_lo, s29, v18, vcc_lo
	global_load_b32 v10, v[17:18], off
	s_waitcnt vmcnt(1)
	v_mul_f64 v[17:18], v[21:22], -v[15:16]
	v_mul_f64 v[21:22], v[13:14], v[21:22]
	s_waitcnt vmcnt(0)
	v_subrev_nc_u32_e32 v10, s25, v10
	s_delay_alu instid0(VALU_DEP_1) | instskip(NEXT) | instid1(VALU_DEP_1)
	v_mul_lo_u32 v12, 0x89, v10
	v_and_b32_e32 v12, 0x7ff, v12
	v_fma_f64 v[17:18], v[13:14], v[19:20], v[17:18]
	v_fma_f64 v[19:20], v[15:16], v[19:20], v[21:22]
	s_branch .LBB69_17
.LBB69_16:                              ;   in Loop: Header=BB69_17 Depth=3
	s_or_b32 exec_lo, exec_lo, s13
	s_xor_b32 s13, s14, -1
	s_delay_alu instid0(SALU_CYCLE_1) | instskip(NEXT) | instid1(SALU_CYCLE_1)
	s_and_b32 s13, exec_lo, s13
	s_or_b32 s12, s13, s12
	s_delay_alu instid0(SALU_CYCLE_1)
	s_and_not1_b32 exec_lo, exec_lo, s12
	s_cbranch_execz .LBB69_14
.LBB69_17:                              ;   Parent Loop BB69_12 Depth=1
                                        ;     Parent Loop BB69_15 Depth=2
                                        ; =>    This Loop Header: Depth=3
                                        ;         Child Loop BB69_23 Depth 4
                                        ;         Child Loop BB69_25 Depth 4
	;; [unrolled: 1-line block ×4, first 2 shown]
	s_delay_alu instid0(VALU_DEP_3)
	v_lshl_add_u32 v21, v12, 2, 0
	s_mov_b32 s13, exec_lo
                                        ; implicit-def: $sgpr14
	ds_load_b32 v22, v21
	s_waitcnt lgkmcnt(0)
	v_cmpx_ne_u32_e64 v22, v10
	s_xor_b32 s13, exec_lo, s13
	s_cbranch_execz .LBB69_29
; %bb.18:                               ;   in Loop: Header=BB69_17 Depth=3
	s_mov_b32 s15, exec_lo
                                        ; implicit-def: $sgpr14
	v_cmpx_ne_u32_e64 s33, v22
	s_xor_b32 s15, exec_lo, s15
; %bb.19:                               ;   in Loop: Header=BB69_17 Depth=3
	v_add_nc_u32_e32 v12, 1, v12
	s_mov_b32 s14, -1
                                        ; implicit-def: $vgpr21
	s_delay_alu instid0(VALU_DEP_1)
	v_and_b32_e32 v12, 0x7ff, v12
; %bb.20:                               ;   in Loop: Header=BB69_17 Depth=3
	s_and_not1_saveexec_b32 s15, s15
	s_cbranch_execz .LBB69_28
; %bb.21:                               ;   in Loop: Header=BB69_17 Depth=3
	v_mov_b32_e32 v22, s33
	s_mov_b32 s38, -1
	s_mov_b32 s37, exec_lo
	ds_cmpstore_rtn_b32 v22, v21, v10, v22
	s_waitcnt lgkmcnt(0)
	v_cmpx_eq_u32_e64 s33, v22
	s_cbranch_execz .LBB69_27
; %bb.22:                               ;   in Loop: Header=BB69_17 Depth=3
	v_mul_lo_u32 v22, v12, 12
	s_mov_b32 s38, 0
	s_delay_alu instid0(VALU_DEP_1)
	v_add_nc_u32_e32 v28, v21, v22
	ds_load_b64 v[21:22], v28 offset:8192
.LBB69_23:                              ;   Parent Loop BB69_12 Depth=1
                                        ;     Parent Loop BB69_15 Depth=2
                                        ;       Parent Loop BB69_17 Depth=3
                                        ; =>      This Inner Loop Header: Depth=4
	s_waitcnt lgkmcnt(0)
	v_add_f64 v[29:30], v[21:22], v[17:18]
	ds_cmpstore_rtn_b64 v[29:30], v28, v[29:30], v[21:22] offset:8192
	s_waitcnt lgkmcnt(0)
	v_cmp_eq_u64_e32 vcc_lo, v[29:30], v[21:22]
	v_dual_mov_b32 v21, v29 :: v_dual_mov_b32 v22, v30
	s_or_b32 s38, vcc_lo, s38
	s_delay_alu instid0(SALU_CYCLE_1)
	s_and_not1_b32 exec_lo, exec_lo, s38
	s_cbranch_execnz .LBB69_23
; %bb.24:                               ;   in Loop: Header=BB69_17 Depth=3
	s_or_b32 exec_lo, exec_lo, s38
	ds_load_b64 v[21:22], v28 offset:8200
	s_mov_b32 s38, 0
.LBB69_25:                              ;   Parent Loop BB69_12 Depth=1
                                        ;     Parent Loop BB69_15 Depth=2
                                        ;       Parent Loop BB69_17 Depth=3
                                        ; =>      This Inner Loop Header: Depth=4
	s_waitcnt lgkmcnt(0)
	v_add_f64 v[29:30], v[21:22], v[19:20]
	ds_cmpstore_rtn_b64 v[29:30], v28, v[29:30], v[21:22] offset:8200
	s_waitcnt lgkmcnt(0)
	v_cmp_eq_u64_e32 vcc_lo, v[29:30], v[21:22]
	v_dual_mov_b32 v21, v29 :: v_dual_mov_b32 v22, v30
	s_or_b32 s38, vcc_lo, s38
	s_delay_alu instid0(SALU_CYCLE_1)
	s_and_not1_b32 exec_lo, exec_lo, s38
	s_cbranch_execnz .LBB69_25
; %bb.26:                               ;   in Loop: Header=BB69_17 Depth=3
	s_or_b32 exec_lo, exec_lo, s38
	s_delay_alu instid0(SALU_CYCLE_1)
	s_xor_b32 s38, exec_lo, -1
.LBB69_27:                              ;   in Loop: Header=BB69_17 Depth=3
	s_or_b32 exec_lo, exec_lo, s37
	s_delay_alu instid0(SALU_CYCLE_1) | instskip(SKIP_1) | instid1(SALU_CYCLE_1)
	s_and_not1_b32 s14, s14, exec_lo
	s_and_b32 s37, s38, exec_lo
	s_or_b32 s14, s14, s37
.LBB69_28:                              ;   in Loop: Header=BB69_17 Depth=3
	s_or_b32 exec_lo, exec_lo, s15
	s_delay_alu instid0(SALU_CYCLE_1)
	s_and_b32 s14, s14, exec_lo
                                        ; implicit-def: $vgpr21
.LBB69_29:                              ;   in Loop: Header=BB69_17 Depth=3
	s_and_not1_saveexec_b32 s13, s13
	s_cbranch_execz .LBB69_16
; %bb.30:                               ;   in Loop: Header=BB69_17 Depth=3
	v_mul_lo_u32 v22, v12, 12
	s_mov_b32 s15, 0
	s_delay_alu instid0(VALU_DEP_1)
	v_add_nc_u32_e32 v28, v21, v22
	ds_load_b64 v[21:22], v28 offset:8192
.LBB69_31:                              ;   Parent Loop BB69_12 Depth=1
                                        ;     Parent Loop BB69_15 Depth=2
                                        ;       Parent Loop BB69_17 Depth=3
                                        ; =>      This Inner Loop Header: Depth=4
	s_waitcnt lgkmcnt(0)
	v_add_f64 v[29:30], v[21:22], v[17:18]
	ds_cmpstore_rtn_b64 v[29:30], v28, v[29:30], v[21:22] offset:8192
	s_waitcnt lgkmcnt(0)
	v_cmp_eq_u64_e32 vcc_lo, v[29:30], v[21:22]
	v_dual_mov_b32 v21, v29 :: v_dual_mov_b32 v22, v30
	s_or_b32 s15, vcc_lo, s15
	s_delay_alu instid0(SALU_CYCLE_1)
	s_and_not1_b32 exec_lo, exec_lo, s15
	s_cbranch_execnz .LBB69_31
; %bb.32:                               ;   in Loop: Header=BB69_17 Depth=3
	s_or_b32 exec_lo, exec_lo, s15
	ds_load_b64 v[21:22], v28 offset:8200
	s_mov_b32 s15, 0
.LBB69_33:                              ;   Parent Loop BB69_12 Depth=1
                                        ;     Parent Loop BB69_15 Depth=2
                                        ;       Parent Loop BB69_17 Depth=3
                                        ; =>      This Inner Loop Header: Depth=4
	s_waitcnt lgkmcnt(0)
	v_add_f64 v[29:30], v[21:22], v[19:20]
	ds_cmpstore_rtn_b64 v[29:30], v28, v[29:30], v[21:22] offset:8200
	s_waitcnt lgkmcnt(0)
	v_cmp_eq_u64_e32 vcc_lo, v[29:30], v[21:22]
	v_dual_mov_b32 v21, v29 :: v_dual_mov_b32 v22, v30
	s_or_b32 s15, vcc_lo, s15
	s_delay_alu instid0(SALU_CYCLE_1)
	s_and_not1_b32 exec_lo, exec_lo, s15
	s_cbranch_execnz .LBB69_33
; %bb.34:                               ;   in Loop: Header=BB69_17 Depth=3
	s_or_b32 exec_lo, exec_lo, s15
	s_delay_alu instid0(SALU_CYCLE_1)
	s_and_not1_b32 s14, s14, exec_lo
	s_branch .LBB69_16
.LBB69_35:
	s_or_b32 exec_lo, exec_lo, s1
.LBB69_36:
	s_delay_alu instid0(SALU_CYCLE_1)
	s_and_not1_b32 vcc_lo, exec_lo, s3
	s_cbranch_vccnz .LBB69_61
; %bb.37:
	s_waitcnt lgkmcnt(0)
	s_ashr_i32 s37, s36, 31
	v_subrev_nc_u32_e32 v5, s27, v0
	s_lshl_b64 s[0:1], s[36:37], 2
	s_delay_alu instid0(SALU_CYCLE_1)
	s_add_u32 s0, s16, s0
	s_addc_u32 s1, s17, s1
	s_load_b64 s[0:1], s[0:1], 0x0
	s_waitcnt lgkmcnt(0)
	v_add_nc_u32_e32 v5, s0, v5
	s_sub_i32 s0, s1, s27
	s_mov_b32 s1, exec_lo
	s_delay_alu instid0(VALU_DEP_1)
	v_cmpx_gt_i32_e64 s0, v5
	s_cbranch_execz .LBB69_60
; %bb.38:
	s_mov_b32 s2, 0
	s_branch .LBB69_40
.LBB69_39:                              ;   in Loop: Header=BB69_40 Depth=1
	s_or_b32 exec_lo, exec_lo, s3
	v_add_nc_u32_e32 v5, 0x400, v5
	s_delay_alu instid0(VALU_DEP_1) | instskip(SKIP_1) | instid1(SALU_CYCLE_1)
	v_cmp_le_i32_e32 vcc_lo, s0, v5
	s_or_b32 s2, vcc_lo, s2
	s_and_not1_b32 exec_lo, exec_lo, s2
	s_cbranch_execz .LBB69_60
.LBB69_40:                              ; =>This Loop Header: Depth=1
                                        ;     Child Loop BB69_42 Depth 2
                                        ;       Child Loop BB69_48 Depth 3
                                        ;       Child Loop BB69_50 Depth 3
	;; [unrolled: 1-line block ×4, first 2 shown]
	v_ashrrev_i32_e32 v6, 31, v5
	s_mov_b32 s3, 0
	s_delay_alu instid0(VALU_DEP_1) | instskip(NEXT) | instid1(VALU_DEP_1)
	v_lshlrev_b64 v[7:8], 4, v[5:6]
	v_add_co_u32 v7, vcc_lo, s20, v7
	s_delay_alu instid0(VALU_DEP_2) | instskip(SKIP_2) | instid1(VALU_DEP_1)
	v_add_co_ci_u32_e32 v8, vcc_lo, s21, v8, vcc_lo
	global_load_b128 v[8:11], v[7:8], off
	v_lshlrev_b64 v[6:7], 2, v[5:6]
	v_add_co_u32 v6, vcc_lo, s18, v6
	s_delay_alu instid0(VALU_DEP_2)
	v_add_co_ci_u32_e32 v7, vcc_lo, s19, v7, vcc_lo
	global_load_b32 v12, v[6:7], off
	s_waitcnt vmcnt(1)
	v_mul_f64 v[6:7], v[10:11], -v[1:2]
	v_mul_f64 v[10:11], v[3:4], v[10:11]
	s_waitcnt vmcnt(0)
	v_subrev_nc_u32_e32 v12, s27, v12
	s_delay_alu instid0(VALU_DEP_3) | instskip(NEXT) | instid1(VALU_DEP_3)
	v_fma_f64 v[6:7], v[3:4], v[8:9], v[6:7]
	v_fma_f64 v[8:9], v[1:2], v[8:9], v[10:11]
	s_delay_alu instid0(VALU_DEP_3) | instskip(NEXT) | instid1(VALU_DEP_1)
	v_mul_lo_u32 v10, 0x89, v12
	v_and_b32_e32 v13, 0x7ff, v10
	s_branch .LBB69_42
.LBB69_41:                              ;   in Loop: Header=BB69_42 Depth=2
	s_or_b32 exec_lo, exec_lo, s4
	s_xor_b32 s4, s5, -1
	s_delay_alu instid0(SALU_CYCLE_1) | instskip(NEXT) | instid1(SALU_CYCLE_1)
	s_and_b32 s4, exec_lo, s4
	s_or_b32 s3, s4, s3
	s_delay_alu instid0(SALU_CYCLE_1)
	s_and_not1_b32 exec_lo, exec_lo, s3
	s_cbranch_execz .LBB69_39
.LBB69_42:                              ;   Parent Loop BB69_40 Depth=1
                                        ; =>  This Loop Header: Depth=2
                                        ;       Child Loop BB69_48 Depth 3
                                        ;       Child Loop BB69_50 Depth 3
	;; [unrolled: 1-line block ×4, first 2 shown]
	s_delay_alu instid0(VALU_DEP_1)
	v_lshl_add_u32 v10, v13, 2, 0
	s_mov_b32 s4, exec_lo
                                        ; implicit-def: $sgpr5
	ds_load_b32 v11, v10
	s_waitcnt lgkmcnt(0)
	v_cmpx_ne_u32_e64 v11, v12
	s_xor_b32 s4, exec_lo, s4
	s_cbranch_execz .LBB69_54
; %bb.43:                               ;   in Loop: Header=BB69_42 Depth=2
	s_mov_b32 s6, exec_lo
                                        ; implicit-def: $sgpr5
	v_cmpx_ne_u32_e64 s33, v11
	s_xor_b32 s6, exec_lo, s6
; %bb.44:                               ;   in Loop: Header=BB69_42 Depth=2
	v_add_nc_u32_e32 v10, 1, v13
	s_mov_b32 s5, -1
	s_delay_alu instid0(VALU_DEP_1)
	v_and_b32_e32 v13, 0x7ff, v10
                                        ; implicit-def: $vgpr10
; %bb.45:                               ;   in Loop: Header=BB69_42 Depth=2
	s_and_not1_saveexec_b32 s6, s6
	s_cbranch_execz .LBB69_53
; %bb.46:                               ;   in Loop: Header=BB69_42 Depth=2
	v_mov_b32_e32 v11, s33
	s_mov_b32 s8, -1
	s_mov_b32 s7, exec_lo
	ds_cmpstore_rtn_b32 v11, v10, v12, v11
	s_waitcnt lgkmcnt(0)
	v_cmpx_eq_u32_e64 s33, v11
	s_cbranch_execz .LBB69_52
; %bb.47:                               ;   in Loop: Header=BB69_42 Depth=2
	v_mul_lo_u32 v11, v13, 12
	s_mov_b32 s8, 0
	s_delay_alu instid0(VALU_DEP_1)
	v_add_nc_u32_e32 v14, v10, v11
	ds_load_b64 v[10:11], v14 offset:8192
.LBB69_48:                              ;   Parent Loop BB69_40 Depth=1
                                        ;     Parent Loop BB69_42 Depth=2
                                        ; =>    This Inner Loop Header: Depth=3
	s_waitcnt lgkmcnt(0)
	v_add_f64 v[15:16], v[10:11], v[6:7]
	ds_cmpstore_rtn_b64 v[15:16], v14, v[15:16], v[10:11] offset:8192
	s_waitcnt lgkmcnt(0)
	v_cmp_eq_u64_e32 vcc_lo, v[15:16], v[10:11]
	v_dual_mov_b32 v10, v15 :: v_dual_mov_b32 v11, v16
	s_or_b32 s8, vcc_lo, s8
	s_delay_alu instid0(SALU_CYCLE_1)
	s_and_not1_b32 exec_lo, exec_lo, s8
	s_cbranch_execnz .LBB69_48
; %bb.49:                               ;   in Loop: Header=BB69_42 Depth=2
	s_or_b32 exec_lo, exec_lo, s8
	ds_load_b64 v[10:11], v14 offset:8200
	s_mov_b32 s8, 0
.LBB69_50:                              ;   Parent Loop BB69_40 Depth=1
                                        ;     Parent Loop BB69_42 Depth=2
                                        ; =>    This Inner Loop Header: Depth=3
	s_waitcnt lgkmcnt(0)
	v_add_f64 v[15:16], v[10:11], v[8:9]
	ds_cmpstore_rtn_b64 v[15:16], v14, v[15:16], v[10:11] offset:8200
	s_waitcnt lgkmcnt(0)
	v_cmp_eq_u64_e32 vcc_lo, v[15:16], v[10:11]
	v_dual_mov_b32 v10, v15 :: v_dual_mov_b32 v11, v16
	s_or_b32 s8, vcc_lo, s8
	s_delay_alu instid0(SALU_CYCLE_1)
	s_and_not1_b32 exec_lo, exec_lo, s8
	s_cbranch_execnz .LBB69_50
; %bb.51:                               ;   in Loop: Header=BB69_42 Depth=2
	s_or_b32 exec_lo, exec_lo, s8
	s_delay_alu instid0(SALU_CYCLE_1)
	s_xor_b32 s8, exec_lo, -1
.LBB69_52:                              ;   in Loop: Header=BB69_42 Depth=2
	s_or_b32 exec_lo, exec_lo, s7
	s_delay_alu instid0(SALU_CYCLE_1) | instskip(SKIP_1) | instid1(SALU_CYCLE_1)
	s_and_not1_b32 s5, s5, exec_lo
	s_and_b32 s7, s8, exec_lo
	s_or_b32 s5, s5, s7
.LBB69_53:                              ;   in Loop: Header=BB69_42 Depth=2
	s_or_b32 exec_lo, exec_lo, s6
	s_delay_alu instid0(SALU_CYCLE_1)
	s_and_b32 s5, s5, exec_lo
                                        ; implicit-def: $vgpr10
.LBB69_54:                              ;   in Loop: Header=BB69_42 Depth=2
	s_and_not1_saveexec_b32 s4, s4
	s_cbranch_execz .LBB69_41
; %bb.55:                               ;   in Loop: Header=BB69_42 Depth=2
	v_mul_lo_u32 v11, v13, 12
	s_mov_b32 s6, 0
	s_delay_alu instid0(VALU_DEP_1)
	v_add_nc_u32_e32 v14, v10, v11
	ds_load_b64 v[10:11], v14 offset:8192
.LBB69_56:                              ;   Parent Loop BB69_40 Depth=1
                                        ;     Parent Loop BB69_42 Depth=2
                                        ; =>    This Inner Loop Header: Depth=3
	s_waitcnt lgkmcnt(0)
	v_add_f64 v[15:16], v[10:11], v[6:7]
	ds_cmpstore_rtn_b64 v[15:16], v14, v[15:16], v[10:11] offset:8192
	s_waitcnt lgkmcnt(0)
	v_cmp_eq_u64_e32 vcc_lo, v[15:16], v[10:11]
	v_dual_mov_b32 v10, v15 :: v_dual_mov_b32 v11, v16
	s_or_b32 s6, vcc_lo, s6
	s_delay_alu instid0(SALU_CYCLE_1)
	s_and_not1_b32 exec_lo, exec_lo, s6
	s_cbranch_execnz .LBB69_56
; %bb.57:                               ;   in Loop: Header=BB69_42 Depth=2
	s_or_b32 exec_lo, exec_lo, s6
	ds_load_b64 v[10:11], v14 offset:8200
	s_mov_b32 s6, 0
.LBB69_58:                              ;   Parent Loop BB69_40 Depth=1
                                        ;     Parent Loop BB69_42 Depth=2
                                        ; =>    This Inner Loop Header: Depth=3
	s_waitcnt lgkmcnt(0)
	v_add_f64 v[15:16], v[10:11], v[8:9]
	ds_cmpstore_rtn_b64 v[15:16], v14, v[15:16], v[10:11] offset:8200
	s_waitcnt lgkmcnt(0)
	v_cmp_eq_u64_e32 vcc_lo, v[15:16], v[10:11]
	v_dual_mov_b32 v10, v15 :: v_dual_mov_b32 v11, v16
	s_or_b32 s6, vcc_lo, s6
	s_delay_alu instid0(SALU_CYCLE_1)
	s_and_not1_b32 exec_lo, exec_lo, s6
	s_cbranch_execnz .LBB69_58
; %bb.59:                               ;   in Loop: Header=BB69_42 Depth=2
	s_or_b32 exec_lo, exec_lo, s6
	s_delay_alu instid0(SALU_CYCLE_1)
	s_and_not1_b32 s5, s5, exec_lo
	s_branch .LBB69_41
.LBB69_60:
	s_or_b32 exec_lo, exec_lo, s1
.LBB69_61:
	v_mbcnt_lo_u32_b32 v1, -1, 0
	v_lshrrev_b32_e32 v2, 4, v0
	v_cmp_eq_u32_e32 vcc_lo, 0x3ff, v0
	v_cmp_lt_u32_e64 s0, 63, v0
	v_cmp_lt_u32_e64 s1, 0x7f, v0
	v_xor_b32_e32 v1, 63, v1
	v_dual_mov_b32 v4, 0 :: v_dual_and_b32 v3, 60, v2
	v_cmp_lt_u32_e64 s2, 0xbf, v0
	v_cmp_lt_u32_e64 s3, 0xff, v0
	s_delay_alu instid0(VALU_DEP_4) | instskip(NEXT) | instid1(VALU_DEP_4)
	v_lshrrev_b64 v[1:2], v1, -1
	v_dual_mov_b32 v3, 0 :: v_dual_add_nc_u32 v2, 0, v3
	v_cmp_lt_u32_e64 s4, 0x13f, v0
	v_cmp_lt_u32_e64 s5, 0x17f, v0
	;; [unrolled: 1-line block ×11, first 2 shown]
	s_mov_b32 s16, 0
	s_waitcnt lgkmcnt(0)
	s_barrier
	buffer_gl0_inv
	s_branch .LBB69_63
.LBB69_62:                              ;   in Loop: Header=BB69_63 Depth=1
	s_or_b32 exec_lo, exec_lo, s15
	s_waitcnt lgkmcnt(0)
	s_barrier
	buffer_gl0_inv
	ds_load_b32 v5, v3 offset:41020
	v_add_co_u32 v23, s15, 0x400, v23
	s_delay_alu instid0(VALU_DEP_1) | instskip(SKIP_3) | instid1(SALU_CYCLE_1)
	s_xor_b32 s15, s15, -1
	v_add_nc_u32_e32 v25, 0x4000, v25
	v_add_nc_u32_e32 v24, 0x1000, v24
	s_and_b32 s15, exec_lo, s15
	s_or_b32 s16, s15, s16
	s_waitcnt lgkmcnt(0)
	v_add_nc_u32_e32 v4, v5, v4
	s_and_not1_b32 exec_lo, exec_lo, s16
	s_cbranch_execz .LBB69_97
.LBB69_63:                              ; =>This Inner Loop Header: Depth=1
	ds_load_b32 v5, v24
	ds_load_2addr_b64 v[6:9], v25 offset1:1
	s_waitcnt lgkmcnt(1)
	v_cmp_gt_i32_e64 s15, s33, v5
	s_waitcnt lgkmcnt(0)
	scratch_store_b128 off, v[6:9], off
	s_waitcnt_vscnt null, 0x0
	s_barrier
	buffer_gl0_inv
	s_bcnt1_i32_b32 s17, s15
	s_delay_alu instid0(SALU_CYCLE_1) | instskip(NEXT) | instid1(VALU_DEP_1)
	v_dual_mov_b32 v7, s17 :: v_dual_and_b32 v6, s15, v1
	v_bcnt_u32_b32 v6, v6, 0
	ds_store_b32 v2, v7 offset:40960
	s_waitcnt lgkmcnt(0)
	s_barrier
	buffer_gl0_inv
	s_and_saveexec_b32 s17, s0
	s_cbranch_execnz .LBB69_80
; %bb.64:                               ;   in Loop: Header=BB69_63 Depth=1
	s_or_b32 exec_lo, exec_lo, s17
	s_and_saveexec_b32 s17, s1
	s_cbranch_execnz .LBB69_81
.LBB69_65:                              ;   in Loop: Header=BB69_63 Depth=1
	s_or_b32 exec_lo, exec_lo, s17
	s_and_saveexec_b32 s17, s2
	s_cbranch_execnz .LBB69_82
.LBB69_66:                              ;   in Loop: Header=BB69_63 Depth=1
	s_or_b32 exec_lo, exec_lo, s17
	s_and_saveexec_b32 s17, s3
	s_cbranch_execnz .LBB69_83
.LBB69_67:                              ;   in Loop: Header=BB69_63 Depth=1
	s_or_b32 exec_lo, exec_lo, s17
	s_and_saveexec_b32 s17, s4
	s_cbranch_execnz .LBB69_84
.LBB69_68:                              ;   in Loop: Header=BB69_63 Depth=1
	s_or_b32 exec_lo, exec_lo, s17
	s_and_saveexec_b32 s17, s5
	s_cbranch_execnz .LBB69_85
.LBB69_69:                              ;   in Loop: Header=BB69_63 Depth=1
	s_or_b32 exec_lo, exec_lo, s17
	s_and_saveexec_b32 s17, s6
	s_cbranch_execnz .LBB69_86
.LBB69_70:                              ;   in Loop: Header=BB69_63 Depth=1
	s_or_b32 exec_lo, exec_lo, s17
	s_and_saveexec_b32 s17, s7
	s_cbranch_execnz .LBB69_87
.LBB69_71:                              ;   in Loop: Header=BB69_63 Depth=1
	s_or_b32 exec_lo, exec_lo, s17
	s_and_saveexec_b32 s17, s8
	s_cbranch_execnz .LBB69_88
.LBB69_72:                              ;   in Loop: Header=BB69_63 Depth=1
	s_or_b32 exec_lo, exec_lo, s17
	s_and_saveexec_b32 s17, s9
	s_cbranch_execnz .LBB69_89
.LBB69_73:                              ;   in Loop: Header=BB69_63 Depth=1
	s_or_b32 exec_lo, exec_lo, s17
	s_and_saveexec_b32 s17, s10
	s_cbranch_execnz .LBB69_90
.LBB69_74:                              ;   in Loop: Header=BB69_63 Depth=1
	s_or_b32 exec_lo, exec_lo, s17
	s_and_saveexec_b32 s17, s11
	s_cbranch_execnz .LBB69_91
.LBB69_75:                              ;   in Loop: Header=BB69_63 Depth=1
	s_or_b32 exec_lo, exec_lo, s17
	s_and_saveexec_b32 s17, s12
	s_cbranch_execnz .LBB69_92
.LBB69_76:                              ;   in Loop: Header=BB69_63 Depth=1
	s_or_b32 exec_lo, exec_lo, s17
	s_and_saveexec_b32 s17, s13
	s_cbranch_execnz .LBB69_93
.LBB69_77:                              ;   in Loop: Header=BB69_63 Depth=1
	s_or_b32 exec_lo, exec_lo, s17
	s_and_saveexec_b32 s17, s14
	s_cbranch_execnz .LBB69_94
.LBB69_78:                              ;   in Loop: Header=BB69_63 Depth=1
	s_or_b32 exec_lo, exec_lo, s17
	s_and_saveexec_b32 s17, s15
	s_cbranch_execnz .LBB69_95
.LBB69_79:                              ;   in Loop: Header=BB69_63 Depth=1
	s_or_b32 exec_lo, exec_lo, s17
	s_and_saveexec_b32 s15, vcc_lo
	s_cbranch_execz .LBB69_62
	s_branch .LBB69_96
.LBB69_80:                              ;   in Loop: Header=BB69_63 Depth=1
	ds_load_b32 v7, v3 offset:40960
	s_waitcnt lgkmcnt(0)
	v_add_nc_u32_e32 v6, v7, v6
	s_or_b32 exec_lo, exec_lo, s17
	s_and_saveexec_b32 s17, s1
	s_cbranch_execz .LBB69_65
.LBB69_81:                              ;   in Loop: Header=BB69_63 Depth=1
	ds_load_b32 v7, v3 offset:40964
	s_waitcnt lgkmcnt(0)
	v_add_nc_u32_e32 v6, v7, v6
	s_or_b32 exec_lo, exec_lo, s17
	s_and_saveexec_b32 s17, s2
	s_cbranch_execz .LBB69_66
.LBB69_82:                              ;   in Loop: Header=BB69_63 Depth=1
	ds_load_b32 v7, v3 offset:40968
	s_waitcnt lgkmcnt(0)
	v_add_nc_u32_e32 v6, v7, v6
	s_or_b32 exec_lo, exec_lo, s17
	s_and_saveexec_b32 s17, s3
	s_cbranch_execz .LBB69_67
.LBB69_83:                              ;   in Loop: Header=BB69_63 Depth=1
	ds_load_b32 v7, v3 offset:40972
	s_waitcnt lgkmcnt(0)
	v_add_nc_u32_e32 v6, v7, v6
	s_or_b32 exec_lo, exec_lo, s17
	s_and_saveexec_b32 s17, s4
	s_cbranch_execz .LBB69_68
.LBB69_84:                              ;   in Loop: Header=BB69_63 Depth=1
	ds_load_b32 v7, v3 offset:40976
	s_waitcnt lgkmcnt(0)
	v_add_nc_u32_e32 v6, v7, v6
	s_or_b32 exec_lo, exec_lo, s17
	s_and_saveexec_b32 s17, s5
	s_cbranch_execz .LBB69_69
.LBB69_85:                              ;   in Loop: Header=BB69_63 Depth=1
	ds_load_b32 v7, v3 offset:40980
	s_waitcnt lgkmcnt(0)
	v_add_nc_u32_e32 v6, v7, v6
	s_or_b32 exec_lo, exec_lo, s17
	s_and_saveexec_b32 s17, s6
	s_cbranch_execz .LBB69_70
.LBB69_86:                              ;   in Loop: Header=BB69_63 Depth=1
	ds_load_b32 v7, v3 offset:40984
	s_waitcnt lgkmcnt(0)
	v_add_nc_u32_e32 v6, v7, v6
	s_or_b32 exec_lo, exec_lo, s17
	s_and_saveexec_b32 s17, s7
	s_cbranch_execz .LBB69_71
.LBB69_87:                              ;   in Loop: Header=BB69_63 Depth=1
	ds_load_b32 v7, v3 offset:40988
	s_waitcnt lgkmcnt(0)
	v_add_nc_u32_e32 v6, v7, v6
	s_or_b32 exec_lo, exec_lo, s17
	s_and_saveexec_b32 s17, s8
	s_cbranch_execz .LBB69_72
.LBB69_88:                              ;   in Loop: Header=BB69_63 Depth=1
	ds_load_b32 v7, v3 offset:40992
	s_waitcnt lgkmcnt(0)
	v_add_nc_u32_e32 v6, v7, v6
	s_or_b32 exec_lo, exec_lo, s17
	s_and_saveexec_b32 s17, s9
	s_cbranch_execz .LBB69_73
.LBB69_89:                              ;   in Loop: Header=BB69_63 Depth=1
	ds_load_b32 v7, v3 offset:40996
	s_waitcnt lgkmcnt(0)
	v_add_nc_u32_e32 v6, v7, v6
	s_or_b32 exec_lo, exec_lo, s17
	s_and_saveexec_b32 s17, s10
	s_cbranch_execz .LBB69_74
.LBB69_90:                              ;   in Loop: Header=BB69_63 Depth=1
	ds_load_b32 v7, v3 offset:41000
	s_waitcnt lgkmcnt(0)
	v_add_nc_u32_e32 v6, v7, v6
	s_or_b32 exec_lo, exec_lo, s17
	s_and_saveexec_b32 s17, s11
	s_cbranch_execz .LBB69_75
.LBB69_91:                              ;   in Loop: Header=BB69_63 Depth=1
	ds_load_b32 v7, v3 offset:41004
	s_waitcnt lgkmcnt(0)
	v_add_nc_u32_e32 v6, v7, v6
	s_or_b32 exec_lo, exec_lo, s17
	s_and_saveexec_b32 s17, s12
	s_cbranch_execz .LBB69_76
.LBB69_92:                              ;   in Loop: Header=BB69_63 Depth=1
	ds_load_b32 v7, v3 offset:41008
	s_waitcnt lgkmcnt(0)
	v_add_nc_u32_e32 v6, v7, v6
	s_or_b32 exec_lo, exec_lo, s17
	s_and_saveexec_b32 s17, s13
	s_cbranch_execz .LBB69_77
.LBB69_93:                              ;   in Loop: Header=BB69_63 Depth=1
	ds_load_b32 v7, v3 offset:41012
	s_waitcnt lgkmcnt(0)
	v_add_nc_u32_e32 v6, v7, v6
	s_or_b32 exec_lo, exec_lo, s17
	s_and_saveexec_b32 s17, s14
	s_cbranch_execz .LBB69_78
.LBB69_94:                              ;   in Loop: Header=BB69_63 Depth=1
	ds_load_b32 v7, v3 offset:41016
	s_waitcnt lgkmcnt(0)
	v_add_nc_u32_e32 v6, v7, v6
	s_or_b32 exec_lo, exec_lo, s17
	s_and_saveexec_b32 s17, s15
	s_cbranch_execz .LBB69_79
.LBB69_95:                              ;   in Loop: Header=BB69_63 Depth=1
	scratch_load_b128 v[7:10], off, off
	v_add3_u32 v11, v4, -1, v6
	s_delay_alu instid0(VALU_DEP_1) | instskip(SKIP_1) | instid1(VALU_DEP_2)
	v_lshlrev_b32_e32 v12, 4, v11
	v_lshl_add_u32 v11, v11, 2, 0
	v_add3_u32 v12, 0, v12, 0x2000
	ds_store_b32 v11, v5
	s_waitcnt vmcnt(0)
	ds_store_2addr_b64 v12, v[7:8], v[9:10] offset1:1
	s_or_b32 exec_lo, exec_lo, s17
	s_and_saveexec_b32 s15, vcc_lo
	s_cbranch_execz .LBB69_62
.LBB69_96:                              ;   in Loop: Header=BB69_63 Depth=1
	ds_store_b32 v3, v6 offset:41020
	s_branch .LBB69_62
.LBB69_97:
	s_or_b32 exec_lo, exec_lo, s16
	s_ashr_i32 s37, s36, 31
	s_mov_b32 s3, exec_lo
	s_lshl_b64 s[0:1], s[36:37], 2
	s_delay_alu instid0(SALU_CYCLE_1) | instskip(SKIP_4) | instid1(SALU_CYCLE_1)
	s_add_u32 s0, s22, s0
	s_addc_u32 s1, s23, s1
	s_load_b64 s[0:1], s[0:1], 0x0
	s_waitcnt lgkmcnt(0)
	s_sub_i32 s2, s1, s0
	v_cmpx_gt_i32_e64 s2, v0
	s_cbranch_execz .LBB69_107
; %bb.98:
	s_sub_i32 s3, s0, s26
	s_sub_i32 s0, s0, s1
	s_and_b32 s1, s2, 7
	s_cmp_lt_u32 s0, -7
	s_mov_b32 s7, 0
	s_cselect_b32 s4, -1, 0
	s_and_b32 s5, s2, -8
	s_cmp_lg_u32 s1, 0
	s_cselect_b32 s6, -1, 0
	s_branch .LBB69_100
.LBB69_99:                              ;   in Loop: Header=BB69_100 Depth=1
	s_waitcnt lgkmcnt(0)
	v_mul_lo_u32 v3, v0, 12
	v_add_nc_u32_e32 v0, 0x400, v0
	s_delay_alu instid0(VALU_DEP_1) | instskip(NEXT) | instid1(VALU_DEP_3)
	v_cmp_le_i32_e32 vcc_lo, s2, v0
	v_add3_u32 v2, v2, v3, 0x2000
	s_or_b32 s7, vcc_lo, s7
	ds_load_2addr_b64 v[3:6], v2 offset1:1
	v_ashrrev_i32_e32 v2, 31, v1
	s_delay_alu instid0(VALU_DEP_1) | instskip(NEXT) | instid1(VALU_DEP_1)
	v_lshlrev_b64 v[1:2], 4, v[1:2]
	v_add_co_u32 v1, s0, s34, v1
	s_delay_alu instid0(VALU_DEP_1)
	v_add_co_ci_u32_e64 v2, s0, s35, v2, s0
	s_waitcnt lgkmcnt(0)
	global_store_b128 v[1:2], v[3:6], off
	s_and_not1_b32 exec_lo, exec_lo, s7
	s_cbranch_execz .LBB69_107
.LBB69_100:                             ; =>This Loop Header: Depth=1
                                        ;     Child Loop BB69_102 Depth 2
                                        ;     Child Loop BB69_106 Depth 2
	v_lshl_add_u32 v2, v0, 2, 0
	v_mov_b32_e32 v1, s3
	s_and_not1_b32 vcc_lo, exec_lo, s4
	s_mov_b32 s0, 0
	ds_load_b32 v3, v2
	s_cbranch_vccnz .LBB69_104
; %bb.101:                              ;   in Loop: Header=BB69_100 Depth=1
	v_mov_b32_e32 v1, s3
	s_mov_b32 s8, 0
	s_set_inst_prefetch_distance 0x1
	.p2align	6
.LBB69_102:                             ;   Parent Loop BB69_100 Depth=1
                                        ; =>  This Inner Loop Header: Depth=2
	v_mov_b32_e32 v10, s8
	s_add_i32 s0, s0, 8
	s_add_i32 s8, s8, 32
	s_cmp_eq_u32 s5, s0
	ds_load_2addr_b32 v[4:5], v10 offset1:1
	ds_load_2addr_b32 v[6:7], v10 offset0:2 offset1:3
	ds_load_2addr_b32 v[8:9], v10 offset0:4 offset1:5
	;; [unrolled: 1-line block ×3, first 2 shown]
	s_waitcnt lgkmcnt(3)
	v_cmp_gt_i32_e32 vcc_lo, v3, v4
	v_cndmask_b32_e64 v4, 0, 1, vcc_lo
	s_waitcnt lgkmcnt(2)
	v_cmp_gt_i32_e32 vcc_lo, v3, v6
	v_cndmask_b32_e64 v6, 0, 1, vcc_lo
	v_cmp_gt_i32_e32 vcc_lo, v3, v5
	v_add_co_ci_u32_e32 v1, vcc_lo, v1, v4, vcc_lo
	s_waitcnt lgkmcnt(1)
	v_cmp_gt_i32_e32 vcc_lo, v3, v8
	v_cndmask_b32_e64 v4, 0, 1, vcc_lo
	v_cmp_gt_i32_e32 vcc_lo, v3, v7
	v_add_co_ci_u32_e32 v1, vcc_lo, v1, v6, vcc_lo
	;; [unrolled: 5-line block ×3, first 2 shown]
	v_cmp_gt_i32_e32 vcc_lo, v3, v11
	s_delay_alu instid0(VALU_DEP_2)
	v_add_co_ci_u32_e32 v1, vcc_lo, v1, v5, vcc_lo
	s_cbranch_scc0 .LBB69_102
; %bb.103:                              ;   in Loop: Header=BB69_100 Depth=1
	s_set_inst_prefetch_distance 0x2
	s_mov_b32 s0, s5
.LBB69_104:                             ;   in Loop: Header=BB69_100 Depth=1
	s_and_not1_b32 vcc_lo, exec_lo, s6
	s_cbranch_vccnz .LBB69_99
; %bb.105:                              ;   in Loop: Header=BB69_100 Depth=1
	s_lshl_b32 s0, s0, 2
	s_mov_b32 s8, s1
	s_add_i32 s0, s0, 0
.LBB69_106:                             ;   Parent Loop BB69_100 Depth=1
                                        ; =>  This Inner Loop Header: Depth=2
	s_delay_alu instid0(SALU_CYCLE_1)
	v_mov_b32_e32 v4, s0
	s_add_i32 s8, s8, -1
	s_add_i32 s0, s0, 4
	s_cmp_lg_u32 s8, 0
	ds_load_b32 v4, v4
	s_waitcnt lgkmcnt(0)
	v_cmp_gt_i32_e32 vcc_lo, v3, v4
	v_add_co_ci_u32_e32 v1, vcc_lo, 0, v1, vcc_lo
	s_cbranch_scc1 .LBB69_106
	s_branch .LBB69_99
.LBB69_107:
	s_nop 0
	s_sendmsg sendmsg(MSG_DEALLOC_VGPRS)
	s_endpgm
	.section	.rodata,"a",@progbits
	.p2align	6, 0x0
	.amdhsa_kernel _ZN9rocsparseL41csrgemm_numeric_fill_block_per_row_kernelILj1024ELj32ELj2048ELj137ELj64Eii21rocsparse_complex_numIdEEEvT5_PKS3_S5_NS_24const_host_device_scalarIT6_EEPKT4_S5_PKS7_SB_S5_SD_S8_SB_S5_SD_SB_S5_PS7_21rocsparse_index_base_SF_SF_SF_bbb
		.amdhsa_group_segment_fixed_size 0
		.amdhsa_private_segment_fixed_size 40
		.amdhsa_kernarg_size 172
		.amdhsa_user_sgpr_count 15
		.amdhsa_user_sgpr_dispatch_ptr 0
		.amdhsa_user_sgpr_queue_ptr 0
		.amdhsa_user_sgpr_kernarg_segment_ptr 1
		.amdhsa_user_sgpr_dispatch_id 0
		.amdhsa_user_sgpr_private_segment_size 0
		.amdhsa_wavefront_size32 1
		.amdhsa_uses_dynamic_stack 0
		.amdhsa_enable_private_segment 1
		.amdhsa_system_sgpr_workgroup_id_x 1
		.amdhsa_system_sgpr_workgroup_id_y 0
		.amdhsa_system_sgpr_workgroup_id_z 0
		.amdhsa_system_sgpr_workgroup_info 0
		.amdhsa_system_vgpr_workitem_id 0
		.amdhsa_next_free_vgpr 31
		.amdhsa_next_free_sgpr 46
		.amdhsa_reserve_vcc 1
		.amdhsa_float_round_mode_32 0
		.amdhsa_float_round_mode_16_64 0
		.amdhsa_float_denorm_mode_32 3
		.amdhsa_float_denorm_mode_16_64 3
		.amdhsa_dx10_clamp 1
		.amdhsa_ieee_mode 1
		.amdhsa_fp16_overflow 0
		.amdhsa_workgroup_processor_mode 1
		.amdhsa_memory_ordered 1
		.amdhsa_forward_progress 0
		.amdhsa_shared_vgpr_count 0
		.amdhsa_exception_fp_ieee_invalid_op 0
		.amdhsa_exception_fp_denorm_src 0
		.amdhsa_exception_fp_ieee_div_zero 0
		.amdhsa_exception_fp_ieee_overflow 0
		.amdhsa_exception_fp_ieee_underflow 0
		.amdhsa_exception_fp_ieee_inexact 0
		.amdhsa_exception_int_div_zero 0
	.end_amdhsa_kernel
	.section	.text._ZN9rocsparseL41csrgemm_numeric_fill_block_per_row_kernelILj1024ELj32ELj2048ELj137ELj64Eii21rocsparse_complex_numIdEEEvT5_PKS3_S5_NS_24const_host_device_scalarIT6_EEPKT4_S5_PKS7_SB_S5_SD_S8_SB_S5_SD_SB_S5_PS7_21rocsparse_index_base_SF_SF_SF_bbb,"axG",@progbits,_ZN9rocsparseL41csrgemm_numeric_fill_block_per_row_kernelILj1024ELj32ELj2048ELj137ELj64Eii21rocsparse_complex_numIdEEEvT5_PKS3_S5_NS_24const_host_device_scalarIT6_EEPKT4_S5_PKS7_SB_S5_SD_S8_SB_S5_SD_SB_S5_PS7_21rocsparse_index_base_SF_SF_SF_bbb,comdat
.Lfunc_end69:
	.size	_ZN9rocsparseL41csrgemm_numeric_fill_block_per_row_kernelILj1024ELj32ELj2048ELj137ELj64Eii21rocsparse_complex_numIdEEEvT5_PKS3_S5_NS_24const_host_device_scalarIT6_EEPKT4_S5_PKS7_SB_S5_SD_S8_SB_S5_SD_SB_S5_PS7_21rocsparse_index_base_SF_SF_SF_bbb, .Lfunc_end69-_ZN9rocsparseL41csrgemm_numeric_fill_block_per_row_kernelILj1024ELj32ELj2048ELj137ELj64Eii21rocsparse_complex_numIdEEEvT5_PKS3_S5_NS_24const_host_device_scalarIT6_EEPKT4_S5_PKS7_SB_S5_SD_S8_SB_S5_SD_SB_S5_PS7_21rocsparse_index_base_SF_SF_SF_bbb
                                        ; -- End function
	.section	.AMDGPU.csdata,"",@progbits
; Kernel info:
; codeLenInByte = 4068
; NumSgprs: 48
; NumVgprs: 31
; ScratchSize: 40
; MemoryBound: 0
; FloatMode: 240
; IeeeMode: 1
; LDSByteSize: 0 bytes/workgroup (compile time only)
; SGPRBlocks: 5
; VGPRBlocks: 3
; NumSGPRsForWavesPerEU: 48
; NumVGPRsForWavesPerEU: 31
; Occupancy: 16
; WaveLimiterHint : 1
; COMPUTE_PGM_RSRC2:SCRATCH_EN: 1
; COMPUTE_PGM_RSRC2:USER_SGPR: 15
; COMPUTE_PGM_RSRC2:TRAP_HANDLER: 0
; COMPUTE_PGM_RSRC2:TGID_X_EN: 1
; COMPUTE_PGM_RSRC2:TGID_Y_EN: 0
; COMPUTE_PGM_RSRC2:TGID_Z_EN: 0
; COMPUTE_PGM_RSRC2:TIDIG_COMP_CNT: 0
	.section	.text._ZN9rocsparseL41csrgemm_numeric_fill_block_per_row_kernelILj1024ELj64ELj4096ELj137ELj32Eii21rocsparse_complex_numIdEEEvT5_PKS3_S5_NS_24const_host_device_scalarIT6_EEPKT4_S5_PKS7_SB_S5_SD_S8_SB_S5_SD_SB_S5_PS7_21rocsparse_index_base_SF_SF_SF_bbb,"axG",@progbits,_ZN9rocsparseL41csrgemm_numeric_fill_block_per_row_kernelILj1024ELj64ELj4096ELj137ELj32Eii21rocsparse_complex_numIdEEEvT5_PKS3_S5_NS_24const_host_device_scalarIT6_EEPKT4_S5_PKS7_SB_S5_SD_S8_SB_S5_SD_SB_S5_PS7_21rocsparse_index_base_SF_SF_SF_bbb,comdat
	.globl	_ZN9rocsparseL41csrgemm_numeric_fill_block_per_row_kernelILj1024ELj64ELj4096ELj137ELj32Eii21rocsparse_complex_numIdEEEvT5_PKS3_S5_NS_24const_host_device_scalarIT6_EEPKT4_S5_PKS7_SB_S5_SD_S8_SB_S5_SD_SB_S5_PS7_21rocsparse_index_base_SF_SF_SF_bbb ; -- Begin function _ZN9rocsparseL41csrgemm_numeric_fill_block_per_row_kernelILj1024ELj64ELj4096ELj137ELj32Eii21rocsparse_complex_numIdEEEvT5_PKS3_S5_NS_24const_host_device_scalarIT6_EEPKT4_S5_PKS7_SB_S5_SD_S8_SB_S5_SD_SB_S5_PS7_21rocsparse_index_base_SF_SF_SF_bbb
	.p2align	8
	.type	_ZN9rocsparseL41csrgemm_numeric_fill_block_per_row_kernelILj1024ELj64ELj4096ELj137ELj32Eii21rocsparse_complex_numIdEEEvT5_PKS3_S5_NS_24const_host_device_scalarIT6_EEPKT4_S5_PKS7_SB_S5_SD_S8_SB_S5_SD_SB_S5_PS7_21rocsparse_index_base_SF_SF_SF_bbb,@function
_ZN9rocsparseL41csrgemm_numeric_fill_block_per_row_kernelILj1024ELj64ELj4096ELj137ELj32Eii21rocsparse_complex_numIdEEEvT5_PKS3_S5_NS_24const_host_device_scalarIT6_EEPKT4_S5_PKS7_SB_S5_SD_S8_SB_S5_SD_SB_S5_PS7_21rocsparse_index_base_SF_SF_SF_bbb: ; @_ZN9rocsparseL41csrgemm_numeric_fill_block_per_row_kernelILj1024ELj64ELj4096ELj137ELj32Eii21rocsparse_complex_numIdEEEvT5_PKS3_S5_NS_24const_host_device_scalarIT6_EEPKT4_S5_PKS7_SB_S5_SD_S8_SB_S5_SD_SB_S5_PS7_21rocsparse_index_base_SF_SF_SF_bbb
; %bb.0:
	s_clause 0x3
	s_load_b32 s14, s[0:1], 0xa8
	s_load_b128 s[4:7], s[0:1], 0x18
	s_load_b128 s[20:23], s[0:1], 0x58
	;; [unrolled: 1-line block ×3, first 2 shown]
	v_mov_b32_e32 v1, 0
	v_mov_b32_e32 v2, 0
	s_waitcnt lgkmcnt(0)
	s_bitcmp1_b32 s14, 0
	v_mov_b32_e32 v3, s4
	s_cselect_b32 s12, -1, 0
	s_bitcmp1_b32 s14, 16
	v_dual_mov_b32 v6, v2 :: v_dual_mov_b32 v5, v1
	s_cselect_b32 s2, -1, 0
	v_mov_b32_e32 v4, s5
	s_xor_b32 s13, s2, -1
	v_dual_mov_b32 v9, s20 :: v_dual_mov_b32 v10, s21
	v_cndmask_b32_e64 v7, 0, 1, s13
	s_bitcmp0_b32 s14, 0
	s_clause 0x1
	scratch_store_b64 off, v[3:4], off offset:16
	scratch_store_b64 off, v[9:10], off offset:24
	v_cmp_ne_u32_e32 vcc_lo, 1, v7
	v_dual_mov_b32 v8, v2 :: v_dual_mov_b32 v7, v1
	s_cbranch_scc1 .LBB70_3
; %bb.1:
	s_mov_b64 s[8:9], src_private_base
	s_and_b32 s3, s2, exec_lo
	s_cselect_b32 s3, s9, s5
	s_delay_alu instid0(SALU_CYCLE_1) | instskip(SKIP_2) | instid1(VALU_DEP_2)
	v_dual_mov_b32 v3, 16 :: v_dual_mov_b32 v4, s3
	v_dual_mov_b32 v8, s7 :: v_dual_mov_b32 v7, s6
	s_and_b32 vcc_lo, exec_lo, vcc_lo
	v_cndmask_b32_e64 v3, s4, v3, s2
	flat_load_b64 v[5:6], v[3:4]
	s_cbranch_vccnz .LBB70_3
; %bb.2:
	v_dual_mov_b32 v3, s4 :: v_dual_mov_b32 v4, s5
	flat_load_b64 v[7:8], v[3:4] offset:8
.LBB70_3:
	s_clause 0x4
	s_load_b64 s[34:35], s[0:1], 0x90
	s_load_b256 s[36:43], s[0:1], 0x68
	s_load_b128 s[16:19], s[0:1], 0x48
	s_load_b128 s[24:27], s[0:1], 0x8
	s_load_b256 s[4:11], s[0:1], 0x28
	s_bitcmp1_b32 s14, 8
	v_dual_mov_b32 v4, v2 :: v_dual_mov_b32 v3, v1
	s_cselect_b32 s3, -1, 0
	s_bfe_u32 s14, s14, 0x10008
	s_delay_alu instid0(SALU_CYCLE_1)
	s_cmp_eq_u32 s14, 0
	s_cbranch_scc1 .LBB70_6
; %bb.4:
	s_mov_b64 s[28:29], src_private_base
	s_and_b32 s14, s2, exec_lo
	s_cselect_b32 s14, s29, s21
	s_delay_alu instid0(SALU_CYCLE_1) | instskip(SKIP_1) | instid1(VALU_DEP_1)
	v_dual_mov_b32 v1, 24 :: v_dual_mov_b32 v2, s14
	s_and_not1_b32 vcc_lo, exec_lo, s13
	v_cndmask_b32_e64 v1, s20, v1, s2
	flat_load_b64 v[3:4], v[1:2]
	v_dual_mov_b32 v1, s22 :: v_dual_mov_b32 v2, s23
	s_cbranch_vccnz .LBB70_6
; %bb.5:
	v_dual_mov_b32 v1, s20 :: v_dual_mov_b32 v2, s21
	flat_load_b64 v[1:2], v[1:2] offset:8
.LBB70_6:
	s_load_b32 s33, s[0:1], 0x0
	s_mov_b32 s0, 0
	v_or_b32_e32 v23, 0xfffffc00, v0
	s_mov_b32 s1, s0
	s_delay_alu instid0(SALU_CYCLE_1) | instskip(SKIP_3) | instid1(VALU_DEP_2)
	v_dual_mov_b32 v10, s1 :: v_dual_lshlrev_b32 v11, 4, v0
	v_lshl_add_u32 v24, v0, 2, 0
	s_mov_b32 s20, s0
	s_mov_b32 s21, s0
	v_add3_u32 v25, v11, 0, 0x4000
	v_dual_mov_b32 v11, s20 :: v_dual_mov_b32 v14, v23
	v_dual_mov_b32 v9, s0 :: v_dual_mov_b32 v12, s21
	s_delay_alu instid0(VALU_DEP_3)
	v_dual_mov_b32 v13, v24 :: v_dual_mov_b32 v16, v25
	s_waitcnt lgkmcnt(0)
	v_mov_b32_e32 v15, s33
.LBB70_7:                               ; =>This Inner Loop Header: Depth=1
	v_add_nc_u32_e32 v14, 0x400, v14
	ds_store_b32 v13, v15
	ds_store_2addr_b64 v16, v[9:10], v[11:12] offset1:1
	v_add_nc_u32_e32 v16, 0x4000, v16
	v_add_nc_u32_e32 v13, 0x1000, v13
	v_cmp_lt_u32_e32 vcc_lo, 0xbff, v14
	s_or_b32 s0, vcc_lo, s0
	s_delay_alu instid0(SALU_CYCLE_1)
	s_and_not1_b32 exec_lo, exec_lo, s0
	s_cbranch_execnz .LBB70_7
; %bb.8:
	s_or_b32 exec_lo, exec_lo, s0
	s_waitcnt vmcnt(0) lgkmcnt(0)
	s_waitcnt_vscnt null, 0x0
	s_barrier
	buffer_gl0_inv
	s_load_b32 s0, s[24:25], 0x0
	s_mov_b32 s1, 0
	s_waitcnt lgkmcnt(0)
	s_add_i32 s0, s0, s15
	s_delay_alu instid0(SALU_CYCLE_1) | instskip(NEXT) | instid1(SALU_CYCLE_1)
	s_lshl_b64 s[0:1], s[0:1], 2
	s_add_u32 s0, s26, s0
	s_addc_u32 s1, s27, s1
	s_and_b32 vcc_lo, exec_lo, s12
	s_load_b32 s48, s[0:1], 0x0
	s_cbranch_vccz .LBB70_36
; %bb.9:
	s_waitcnt lgkmcnt(0)
	s_ashr_i32 s49, s48, 31
	v_lshrrev_b32_e32 v9, 6, v0
	s_lshl_b64 s[0:1], s[48:49], 2
	s_delay_alu instid0(SALU_CYCLE_1) | instskip(SKIP_1) | instid1(VALU_DEP_1)
	s_add_u32 s0, s4, s0
	s_addc_u32 s1, s5, s1
	v_subrev_nc_u32_e32 v9, s44, v9
	s_load_b64 s[0:1], s[0:1], 0x0
	s_waitcnt lgkmcnt(0)
	s_delay_alu instid0(VALU_DEP_1) | instskip(SKIP_2) | instid1(VALU_DEP_1)
	v_add_nc_u32_e32 v9, s0, v9
	s_sub_i32 s0, s1, s44
	s_mov_b32 s1, exec_lo
	v_cmpx_gt_i32_e64 s0, v9
	s_cbranch_execz .LBB70_35
; %bb.10:
	v_and_b32_e32 v10, 63, v0
	s_mov_b32 s2, 0
	s_delay_alu instid0(VALU_DEP_1)
	v_subrev_nc_u32_e32 v26, s45, v10
	s_branch .LBB70_12
.LBB70_11:                              ;   in Loop: Header=BB70_12 Depth=1
	s_or_b32 exec_lo, exec_lo, s4
	v_add_nc_u32_e32 v9, 16, v9
	s_delay_alu instid0(VALU_DEP_1) | instskip(SKIP_1) | instid1(SALU_CYCLE_1)
	v_cmp_le_i32_e32 vcc_lo, s0, v9
	s_or_b32 s2, vcc_lo, s2
	s_and_not1_b32 exec_lo, exec_lo, s2
	s_cbranch_execz .LBB70_35
.LBB70_12:                              ; =>This Loop Header: Depth=1
                                        ;     Child Loop BB70_15 Depth 2
                                        ;       Child Loop BB70_17 Depth 3
                                        ;         Child Loop BB70_23 Depth 4
                                        ;         Child Loop BB70_25 Depth 4
	;; [unrolled: 1-line block ×4, first 2 shown]
	v_ashrrev_i32_e32 v10, 31, v9
	s_mov_b32 s4, exec_lo
	s_delay_alu instid0(VALU_DEP_1) | instskip(NEXT) | instid1(VALU_DEP_1)
	v_lshlrev_b64 v[11:12], 2, v[9:10]
	v_add_co_u32 v11, vcc_lo, s6, v11
	s_delay_alu instid0(VALU_DEP_2) | instskip(SKIP_3) | instid1(VALU_DEP_1)
	v_add_co_ci_u32_e32 v12, vcc_lo, s7, v12, vcc_lo
	global_load_b32 v11, v[11:12], off
	s_waitcnt vmcnt(0)
	v_subrev_nc_u32_e32 v11, s44, v11
	v_ashrrev_i32_e32 v12, 31, v11
	s_delay_alu instid0(VALU_DEP_1) | instskip(NEXT) | instid1(VALU_DEP_1)
	v_lshlrev_b64 v[11:12], 2, v[11:12]
	v_add_co_u32 v11, vcc_lo, s10, v11
	s_delay_alu instid0(VALU_DEP_2) | instskip(SKIP_4) | instid1(VALU_DEP_1)
	v_add_co_ci_u32_e32 v12, vcc_lo, s11, v12, vcc_lo
	global_load_b64 v[11:12], v[11:12], off
	s_waitcnt vmcnt(0)
	v_subrev_nc_u32_e32 v27, s45, v12
	v_add_nc_u32_e32 v11, v11, v26
	v_cmpx_lt_i32_e64 v11, v27
	s_cbranch_execz .LBB70_11
; %bb.13:                               ;   in Loop: Header=BB70_12 Depth=1
	v_lshlrev_b64 v[12:13], 4, v[9:10]
	s_mov_b32 s5, 0
	s_delay_alu instid0(VALU_DEP_1) | instskip(NEXT) | instid1(VALU_DEP_2)
	v_add_co_u32 v12, vcc_lo, s8, v12
	v_add_co_ci_u32_e32 v13, vcc_lo, s9, v13, vcc_lo
	global_load_b128 v[15:18], v[12:13], off
	s_waitcnt vmcnt(0)
	v_mul_f64 v[12:13], v[17:18], -v[7:8]
	v_mul_f64 v[17:18], v[5:6], v[17:18]
	s_delay_alu instid0(VALU_DEP_2) | instskip(NEXT) | instid1(VALU_DEP_2)
	v_fma_f64 v[13:14], v[5:6], v[15:16], v[12:13]
	v_fma_f64 v[15:16], v[7:8], v[15:16], v[17:18]
	s_branch .LBB70_15
.LBB70_14:                              ;   in Loop: Header=BB70_15 Depth=2
	s_or_b32 exec_lo, exec_lo, s12
	v_add_nc_u32_e32 v11, 64, v11
	s_delay_alu instid0(VALU_DEP_1) | instskip(SKIP_1) | instid1(SALU_CYCLE_1)
	v_cmp_ge_i32_e32 vcc_lo, v11, v27
	s_or_b32 s5, vcc_lo, s5
	s_and_not1_b32 exec_lo, exec_lo, s5
	s_cbranch_execz .LBB70_11
.LBB70_15:                              ;   Parent Loop BB70_12 Depth=1
                                        ; =>  This Loop Header: Depth=2
                                        ;       Child Loop BB70_17 Depth 3
                                        ;         Child Loop BB70_23 Depth 4
                                        ;         Child Loop BB70_25 Depth 4
	;; [unrolled: 1-line block ×4, first 2 shown]
	v_ashrrev_i32_e32 v12, 31, v11
	s_mov_b32 s12, 0
	s_delay_alu instid0(VALU_DEP_1) | instskip(NEXT) | instid1(VALU_DEP_1)
	v_lshlrev_b64 v[17:18], 4, v[11:12]
	v_add_co_u32 v17, vcc_lo, s18, v17
	s_delay_alu instid0(VALU_DEP_2) | instskip(SKIP_2) | instid1(VALU_DEP_1)
	v_add_co_ci_u32_e32 v18, vcc_lo, s19, v18, vcc_lo
	global_load_b128 v[19:22], v[17:18], off
	v_lshlrev_b64 v[17:18], 2, v[11:12]
	v_add_co_u32 v17, vcc_lo, s16, v17
	s_delay_alu instid0(VALU_DEP_2)
	v_add_co_ci_u32_e32 v18, vcc_lo, s17, v18, vcc_lo
	global_load_b32 v10, v[17:18], off
	s_waitcnt vmcnt(1)
	v_mul_f64 v[17:18], v[21:22], -v[15:16]
	v_mul_f64 v[21:22], v[13:14], v[21:22]
	s_waitcnt vmcnt(0)
	v_subrev_nc_u32_e32 v10, s45, v10
	s_delay_alu instid0(VALU_DEP_1) | instskip(NEXT) | instid1(VALU_DEP_1)
	v_mul_lo_u32 v12, 0x89, v10
	v_and_b32_e32 v12, 0xfff, v12
	v_fma_f64 v[17:18], v[13:14], v[19:20], v[17:18]
	v_fma_f64 v[19:20], v[15:16], v[19:20], v[21:22]
	s_branch .LBB70_17
.LBB70_16:                              ;   in Loop: Header=BB70_17 Depth=3
	s_or_b32 exec_lo, exec_lo, s13
	s_xor_b32 s13, s14, -1
	s_delay_alu instid0(SALU_CYCLE_1) | instskip(NEXT) | instid1(SALU_CYCLE_1)
	s_and_b32 s13, exec_lo, s13
	s_or_b32 s12, s13, s12
	s_delay_alu instid0(SALU_CYCLE_1)
	s_and_not1_b32 exec_lo, exec_lo, s12
	s_cbranch_execz .LBB70_14
.LBB70_17:                              ;   Parent Loop BB70_12 Depth=1
                                        ;     Parent Loop BB70_15 Depth=2
                                        ; =>    This Loop Header: Depth=3
                                        ;         Child Loop BB70_23 Depth 4
                                        ;         Child Loop BB70_25 Depth 4
	;; [unrolled: 1-line block ×4, first 2 shown]
	s_delay_alu instid0(VALU_DEP_3)
	v_lshl_add_u32 v21, v12, 2, 0
	s_mov_b32 s13, exec_lo
                                        ; implicit-def: $sgpr14
	ds_load_b32 v22, v21
	s_waitcnt lgkmcnt(0)
	v_cmpx_ne_u32_e64 v22, v10
	s_xor_b32 s13, exec_lo, s13
	s_cbranch_execz .LBB70_29
; %bb.18:                               ;   in Loop: Header=BB70_17 Depth=3
	s_mov_b32 s15, exec_lo
                                        ; implicit-def: $sgpr14
	v_cmpx_ne_u32_e64 s33, v22
	s_xor_b32 s15, exec_lo, s15
; %bb.19:                               ;   in Loop: Header=BB70_17 Depth=3
	v_add_nc_u32_e32 v12, 1, v12
	s_mov_b32 s14, -1
                                        ; implicit-def: $vgpr21
	s_delay_alu instid0(VALU_DEP_1)
	v_and_b32_e32 v12, 0xfff, v12
; %bb.20:                               ;   in Loop: Header=BB70_17 Depth=3
	s_and_not1_saveexec_b32 s15, s15
	s_cbranch_execz .LBB70_28
; %bb.21:                               ;   in Loop: Header=BB70_17 Depth=3
	v_mov_b32_e32 v22, s33
	s_mov_b32 s21, -1
	s_mov_b32 s20, exec_lo
	ds_cmpstore_rtn_b32 v22, v21, v10, v22
	s_waitcnt lgkmcnt(0)
	v_cmpx_eq_u32_e64 s33, v22
	s_cbranch_execz .LBB70_27
; %bb.22:                               ;   in Loop: Header=BB70_17 Depth=3
	v_mul_lo_u32 v22, v12, 12
	s_mov_b32 s21, 0
	s_delay_alu instid0(VALU_DEP_1)
	v_add_nc_u32_e32 v28, v21, v22
	ds_load_b64 v[21:22], v28 offset:16384
.LBB70_23:                              ;   Parent Loop BB70_12 Depth=1
                                        ;     Parent Loop BB70_15 Depth=2
                                        ;       Parent Loop BB70_17 Depth=3
                                        ; =>      This Inner Loop Header: Depth=4
	s_waitcnt lgkmcnt(0)
	v_add_f64 v[29:30], v[21:22], v[17:18]
	ds_cmpstore_rtn_b64 v[29:30], v28, v[29:30], v[21:22] offset:16384
	s_waitcnt lgkmcnt(0)
	v_cmp_eq_u64_e32 vcc_lo, v[29:30], v[21:22]
	v_dual_mov_b32 v21, v29 :: v_dual_mov_b32 v22, v30
	s_or_b32 s21, vcc_lo, s21
	s_delay_alu instid0(SALU_CYCLE_1)
	s_and_not1_b32 exec_lo, exec_lo, s21
	s_cbranch_execnz .LBB70_23
; %bb.24:                               ;   in Loop: Header=BB70_17 Depth=3
	s_or_b32 exec_lo, exec_lo, s21
	ds_load_b64 v[21:22], v28 offset:16392
	s_mov_b32 s21, 0
.LBB70_25:                              ;   Parent Loop BB70_12 Depth=1
                                        ;     Parent Loop BB70_15 Depth=2
                                        ;       Parent Loop BB70_17 Depth=3
                                        ; =>      This Inner Loop Header: Depth=4
	s_waitcnt lgkmcnt(0)
	v_add_f64 v[29:30], v[21:22], v[19:20]
	ds_cmpstore_rtn_b64 v[29:30], v28, v[29:30], v[21:22] offset:16392
	s_waitcnt lgkmcnt(0)
	v_cmp_eq_u64_e32 vcc_lo, v[29:30], v[21:22]
	v_dual_mov_b32 v21, v29 :: v_dual_mov_b32 v22, v30
	s_or_b32 s21, vcc_lo, s21
	s_delay_alu instid0(SALU_CYCLE_1)
	s_and_not1_b32 exec_lo, exec_lo, s21
	s_cbranch_execnz .LBB70_25
; %bb.26:                               ;   in Loop: Header=BB70_17 Depth=3
	s_or_b32 exec_lo, exec_lo, s21
	s_delay_alu instid0(SALU_CYCLE_1)
	s_xor_b32 s21, exec_lo, -1
.LBB70_27:                              ;   in Loop: Header=BB70_17 Depth=3
	s_or_b32 exec_lo, exec_lo, s20
	s_delay_alu instid0(SALU_CYCLE_1) | instskip(SKIP_1) | instid1(SALU_CYCLE_1)
	s_and_not1_b32 s14, s14, exec_lo
	s_and_b32 s20, s21, exec_lo
	s_or_b32 s14, s14, s20
.LBB70_28:                              ;   in Loop: Header=BB70_17 Depth=3
	s_or_b32 exec_lo, exec_lo, s15
	s_delay_alu instid0(SALU_CYCLE_1)
	s_and_b32 s14, s14, exec_lo
                                        ; implicit-def: $vgpr21
.LBB70_29:                              ;   in Loop: Header=BB70_17 Depth=3
	s_and_not1_saveexec_b32 s13, s13
	s_cbranch_execz .LBB70_16
; %bb.30:                               ;   in Loop: Header=BB70_17 Depth=3
	v_mul_lo_u32 v22, v12, 12
	s_mov_b32 s15, 0
	s_delay_alu instid0(VALU_DEP_1)
	v_add_nc_u32_e32 v28, v21, v22
	ds_load_b64 v[21:22], v28 offset:16384
.LBB70_31:                              ;   Parent Loop BB70_12 Depth=1
                                        ;     Parent Loop BB70_15 Depth=2
                                        ;       Parent Loop BB70_17 Depth=3
                                        ; =>      This Inner Loop Header: Depth=4
	s_waitcnt lgkmcnt(0)
	v_add_f64 v[29:30], v[21:22], v[17:18]
	ds_cmpstore_rtn_b64 v[29:30], v28, v[29:30], v[21:22] offset:16384
	s_waitcnt lgkmcnt(0)
	v_cmp_eq_u64_e32 vcc_lo, v[29:30], v[21:22]
	v_dual_mov_b32 v21, v29 :: v_dual_mov_b32 v22, v30
	s_or_b32 s15, vcc_lo, s15
	s_delay_alu instid0(SALU_CYCLE_1)
	s_and_not1_b32 exec_lo, exec_lo, s15
	s_cbranch_execnz .LBB70_31
; %bb.32:                               ;   in Loop: Header=BB70_17 Depth=3
	s_or_b32 exec_lo, exec_lo, s15
	ds_load_b64 v[21:22], v28 offset:16392
	s_mov_b32 s15, 0
.LBB70_33:                              ;   Parent Loop BB70_12 Depth=1
                                        ;     Parent Loop BB70_15 Depth=2
                                        ;       Parent Loop BB70_17 Depth=3
                                        ; =>      This Inner Loop Header: Depth=4
	s_waitcnt lgkmcnt(0)
	v_add_f64 v[29:30], v[21:22], v[19:20]
	ds_cmpstore_rtn_b64 v[29:30], v28, v[29:30], v[21:22] offset:16392
	s_waitcnt lgkmcnt(0)
	v_cmp_eq_u64_e32 vcc_lo, v[29:30], v[21:22]
	v_dual_mov_b32 v21, v29 :: v_dual_mov_b32 v22, v30
	s_or_b32 s15, vcc_lo, s15
	s_delay_alu instid0(SALU_CYCLE_1)
	s_and_not1_b32 exec_lo, exec_lo, s15
	s_cbranch_execnz .LBB70_33
; %bb.34:                               ;   in Loop: Header=BB70_17 Depth=3
	s_or_b32 exec_lo, exec_lo, s15
	s_delay_alu instid0(SALU_CYCLE_1)
	s_and_not1_b32 s14, s14, exec_lo
	s_branch .LBB70_16
.LBB70_35:
	s_or_b32 exec_lo, exec_lo, s1
.LBB70_36:
	s_delay_alu instid0(SALU_CYCLE_1)
	s_and_not1_b32 vcc_lo, exec_lo, s3
	s_cbranch_vccnz .LBB70_61
; %bb.37:
	s_waitcnt lgkmcnt(0)
	s_ashr_i32 s49, s48, 31
	v_subrev_nc_u32_e32 v5, s47, v0
	s_lshl_b64 s[0:1], s[48:49], 2
	s_delay_alu instid0(SALU_CYCLE_1)
	s_add_u32 s0, s36, s0
	s_addc_u32 s1, s37, s1
	s_load_b64 s[0:1], s[0:1], 0x0
	s_waitcnt lgkmcnt(0)
	v_add_nc_u32_e32 v5, s0, v5
	s_sub_i32 s0, s1, s47
	s_mov_b32 s1, exec_lo
	s_delay_alu instid0(VALU_DEP_1)
	v_cmpx_gt_i32_e64 s0, v5
	s_cbranch_execz .LBB70_60
; %bb.38:
	s_mov_b32 s2, 0
	s_branch .LBB70_40
.LBB70_39:                              ;   in Loop: Header=BB70_40 Depth=1
	s_or_b32 exec_lo, exec_lo, s3
	v_add_nc_u32_e32 v5, 0x400, v5
	s_delay_alu instid0(VALU_DEP_1) | instskip(SKIP_1) | instid1(SALU_CYCLE_1)
	v_cmp_le_i32_e32 vcc_lo, s0, v5
	s_or_b32 s2, vcc_lo, s2
	s_and_not1_b32 exec_lo, exec_lo, s2
	s_cbranch_execz .LBB70_60
.LBB70_40:                              ; =>This Loop Header: Depth=1
                                        ;     Child Loop BB70_42 Depth 2
                                        ;       Child Loop BB70_48 Depth 3
                                        ;       Child Loop BB70_50 Depth 3
	;; [unrolled: 1-line block ×4, first 2 shown]
	v_ashrrev_i32_e32 v6, 31, v5
	s_mov_b32 s3, 0
	s_delay_alu instid0(VALU_DEP_1) | instskip(NEXT) | instid1(VALU_DEP_1)
	v_lshlrev_b64 v[7:8], 4, v[5:6]
	v_add_co_u32 v7, vcc_lo, s40, v7
	s_delay_alu instid0(VALU_DEP_2) | instskip(SKIP_2) | instid1(VALU_DEP_1)
	v_add_co_ci_u32_e32 v8, vcc_lo, s41, v8, vcc_lo
	global_load_b128 v[8:11], v[7:8], off
	v_lshlrev_b64 v[6:7], 2, v[5:6]
	v_add_co_u32 v6, vcc_lo, s38, v6
	s_delay_alu instid0(VALU_DEP_2)
	v_add_co_ci_u32_e32 v7, vcc_lo, s39, v7, vcc_lo
	global_load_b32 v12, v[6:7], off
	s_waitcnt vmcnt(1)
	v_mul_f64 v[6:7], v[10:11], -v[1:2]
	v_mul_f64 v[10:11], v[3:4], v[10:11]
	s_waitcnt vmcnt(0)
	v_subrev_nc_u32_e32 v12, s47, v12
	s_delay_alu instid0(VALU_DEP_3) | instskip(NEXT) | instid1(VALU_DEP_3)
	v_fma_f64 v[6:7], v[3:4], v[8:9], v[6:7]
	v_fma_f64 v[8:9], v[1:2], v[8:9], v[10:11]
	s_delay_alu instid0(VALU_DEP_3) | instskip(NEXT) | instid1(VALU_DEP_1)
	v_mul_lo_u32 v10, 0x89, v12
	v_and_b32_e32 v13, 0xfff, v10
	s_branch .LBB70_42
.LBB70_41:                              ;   in Loop: Header=BB70_42 Depth=2
	s_or_b32 exec_lo, exec_lo, s4
	s_xor_b32 s4, s5, -1
	s_delay_alu instid0(SALU_CYCLE_1) | instskip(NEXT) | instid1(SALU_CYCLE_1)
	s_and_b32 s4, exec_lo, s4
	s_or_b32 s3, s4, s3
	s_delay_alu instid0(SALU_CYCLE_1)
	s_and_not1_b32 exec_lo, exec_lo, s3
	s_cbranch_execz .LBB70_39
.LBB70_42:                              ;   Parent Loop BB70_40 Depth=1
                                        ; =>  This Loop Header: Depth=2
                                        ;       Child Loop BB70_48 Depth 3
                                        ;       Child Loop BB70_50 Depth 3
	;; [unrolled: 1-line block ×4, first 2 shown]
	s_delay_alu instid0(VALU_DEP_1)
	v_lshl_add_u32 v10, v13, 2, 0
	s_mov_b32 s4, exec_lo
                                        ; implicit-def: $sgpr5
	ds_load_b32 v11, v10
	s_waitcnt lgkmcnt(0)
	v_cmpx_ne_u32_e64 v11, v12
	s_xor_b32 s4, exec_lo, s4
	s_cbranch_execz .LBB70_54
; %bb.43:                               ;   in Loop: Header=BB70_42 Depth=2
	s_mov_b32 s6, exec_lo
                                        ; implicit-def: $sgpr5
	v_cmpx_ne_u32_e64 s33, v11
	s_xor_b32 s6, exec_lo, s6
; %bb.44:                               ;   in Loop: Header=BB70_42 Depth=2
	v_add_nc_u32_e32 v10, 1, v13
	s_mov_b32 s5, -1
	s_delay_alu instid0(VALU_DEP_1)
	v_and_b32_e32 v13, 0xfff, v10
                                        ; implicit-def: $vgpr10
; %bb.45:                               ;   in Loop: Header=BB70_42 Depth=2
	s_and_not1_saveexec_b32 s6, s6
	s_cbranch_execz .LBB70_53
; %bb.46:                               ;   in Loop: Header=BB70_42 Depth=2
	v_mov_b32_e32 v11, s33
	s_mov_b32 s8, -1
	s_mov_b32 s7, exec_lo
	ds_cmpstore_rtn_b32 v11, v10, v12, v11
	s_waitcnt lgkmcnt(0)
	v_cmpx_eq_u32_e64 s33, v11
	s_cbranch_execz .LBB70_52
; %bb.47:                               ;   in Loop: Header=BB70_42 Depth=2
	v_mul_lo_u32 v11, v13, 12
	s_mov_b32 s8, 0
	s_delay_alu instid0(VALU_DEP_1)
	v_add_nc_u32_e32 v14, v10, v11
	ds_load_b64 v[10:11], v14 offset:16384
.LBB70_48:                              ;   Parent Loop BB70_40 Depth=1
                                        ;     Parent Loop BB70_42 Depth=2
                                        ; =>    This Inner Loop Header: Depth=3
	s_waitcnt lgkmcnt(0)
	v_add_f64 v[15:16], v[10:11], v[6:7]
	ds_cmpstore_rtn_b64 v[15:16], v14, v[15:16], v[10:11] offset:16384
	s_waitcnt lgkmcnt(0)
	v_cmp_eq_u64_e32 vcc_lo, v[15:16], v[10:11]
	v_dual_mov_b32 v10, v15 :: v_dual_mov_b32 v11, v16
	s_or_b32 s8, vcc_lo, s8
	s_delay_alu instid0(SALU_CYCLE_1)
	s_and_not1_b32 exec_lo, exec_lo, s8
	s_cbranch_execnz .LBB70_48
; %bb.49:                               ;   in Loop: Header=BB70_42 Depth=2
	s_or_b32 exec_lo, exec_lo, s8
	ds_load_b64 v[10:11], v14 offset:16392
	s_mov_b32 s8, 0
.LBB70_50:                              ;   Parent Loop BB70_40 Depth=1
                                        ;     Parent Loop BB70_42 Depth=2
                                        ; =>    This Inner Loop Header: Depth=3
	s_waitcnt lgkmcnt(0)
	v_add_f64 v[15:16], v[10:11], v[8:9]
	ds_cmpstore_rtn_b64 v[15:16], v14, v[15:16], v[10:11] offset:16392
	s_waitcnt lgkmcnt(0)
	v_cmp_eq_u64_e32 vcc_lo, v[15:16], v[10:11]
	v_dual_mov_b32 v10, v15 :: v_dual_mov_b32 v11, v16
	s_or_b32 s8, vcc_lo, s8
	s_delay_alu instid0(SALU_CYCLE_1)
	s_and_not1_b32 exec_lo, exec_lo, s8
	s_cbranch_execnz .LBB70_50
; %bb.51:                               ;   in Loop: Header=BB70_42 Depth=2
	s_or_b32 exec_lo, exec_lo, s8
	s_delay_alu instid0(SALU_CYCLE_1)
	s_xor_b32 s8, exec_lo, -1
.LBB70_52:                              ;   in Loop: Header=BB70_42 Depth=2
	s_or_b32 exec_lo, exec_lo, s7
	s_delay_alu instid0(SALU_CYCLE_1) | instskip(SKIP_1) | instid1(SALU_CYCLE_1)
	s_and_not1_b32 s5, s5, exec_lo
	s_and_b32 s7, s8, exec_lo
	s_or_b32 s5, s5, s7
.LBB70_53:                              ;   in Loop: Header=BB70_42 Depth=2
	s_or_b32 exec_lo, exec_lo, s6
	s_delay_alu instid0(SALU_CYCLE_1)
	s_and_b32 s5, s5, exec_lo
                                        ; implicit-def: $vgpr10
.LBB70_54:                              ;   in Loop: Header=BB70_42 Depth=2
	s_and_not1_saveexec_b32 s4, s4
	s_cbranch_execz .LBB70_41
; %bb.55:                               ;   in Loop: Header=BB70_42 Depth=2
	v_mul_lo_u32 v11, v13, 12
	s_mov_b32 s6, 0
	s_delay_alu instid0(VALU_DEP_1)
	v_add_nc_u32_e32 v14, v10, v11
	ds_load_b64 v[10:11], v14 offset:16384
.LBB70_56:                              ;   Parent Loop BB70_40 Depth=1
                                        ;     Parent Loop BB70_42 Depth=2
                                        ; =>    This Inner Loop Header: Depth=3
	s_waitcnt lgkmcnt(0)
	v_add_f64 v[15:16], v[10:11], v[6:7]
	ds_cmpstore_rtn_b64 v[15:16], v14, v[15:16], v[10:11] offset:16384
	s_waitcnt lgkmcnt(0)
	v_cmp_eq_u64_e32 vcc_lo, v[15:16], v[10:11]
	v_dual_mov_b32 v10, v15 :: v_dual_mov_b32 v11, v16
	s_or_b32 s6, vcc_lo, s6
	s_delay_alu instid0(SALU_CYCLE_1)
	s_and_not1_b32 exec_lo, exec_lo, s6
	s_cbranch_execnz .LBB70_56
; %bb.57:                               ;   in Loop: Header=BB70_42 Depth=2
	s_or_b32 exec_lo, exec_lo, s6
	ds_load_b64 v[10:11], v14 offset:16392
	s_mov_b32 s6, 0
.LBB70_58:                              ;   Parent Loop BB70_40 Depth=1
                                        ;     Parent Loop BB70_42 Depth=2
                                        ; =>    This Inner Loop Header: Depth=3
	s_waitcnt lgkmcnt(0)
	v_add_f64 v[15:16], v[10:11], v[8:9]
	ds_cmpstore_rtn_b64 v[15:16], v14, v[15:16], v[10:11] offset:16392
	s_waitcnt lgkmcnt(0)
	v_cmp_eq_u64_e32 vcc_lo, v[15:16], v[10:11]
	v_dual_mov_b32 v10, v15 :: v_dual_mov_b32 v11, v16
	s_or_b32 s6, vcc_lo, s6
	s_delay_alu instid0(SALU_CYCLE_1)
	s_and_not1_b32 exec_lo, exec_lo, s6
	s_cbranch_execnz .LBB70_58
; %bb.59:                               ;   in Loop: Header=BB70_42 Depth=2
	s_or_b32 exec_lo, exec_lo, s6
	s_delay_alu instid0(SALU_CYCLE_1)
	s_and_not1_b32 s5, s5, exec_lo
	s_branch .LBB70_41
.LBB70_60:
	s_or_b32 exec_lo, exec_lo, s1
.LBB70_61:
	v_mbcnt_lo_u32_b32 v1, -1, 0
	v_lshrrev_b32_e32 v2, 3, v0
	s_add_i32 s68, 0, 0x1407c
	v_cmp_eq_u32_e32 vcc_lo, 0x3ff, v0
	v_cmp_lt_u32_e64 s0, 31, v0
	v_xor_b32_e32 v1, 63, v1
	v_dual_mov_b32 v4, s68 :: v_dual_and_b32 v3, 0x7c, v2
	v_cmp_lt_u32_e64 s1, 63, v0
	v_cmp_lt_u32_e64 s2, 0x5f, v0
	s_delay_alu instid0(VALU_DEP_4) | instskip(NEXT) | instid1(VALU_DEP_4)
	v_lshrrev_b64 v[1:2], v1, -1
	v_add3_u32 v2, 0, 0x14000, v3
	v_cmp_lt_u32_e64 s3, 0x7f, v0
	v_cmp_lt_u32_e64 s4, 0x9f, v0
	;; [unrolled: 1-line block ×28, first 2 shown]
	v_mov_b32_e32 v3, 0
	s_mov_b32 s36, 0
	s_add_i32 s37, 0, 0x14000
	s_add_i32 s38, 0, 0x14004
	;; [unrolled: 1-line block ×31, first 2 shown]
	s_waitcnt lgkmcnt(0)
	s_barrier
	buffer_gl0_inv
	s_branch .LBB70_63
.LBB70_62:                              ;   in Loop: Header=BB70_63 Depth=1
	s_or_b32 exec_lo, exec_lo, s31
	s_waitcnt lgkmcnt(0)
	s_barrier
	buffer_gl0_inv
	ds_load_b32 v5, v4
	v_add_nc_u32_e32 v23, 0x400, v23
	v_add_nc_u32_e32 v25, 0x4000, v25
	;; [unrolled: 1-line block ×3, first 2 shown]
	s_delay_alu instid0(VALU_DEP_3) | instskip(NEXT) | instid1(VALU_DEP_1)
	v_cmp_lt_u32_e64 s31, 0xbff, v23
	s_or_b32 s36, s31, s36
	s_waitcnt lgkmcnt(0)
	v_add_nc_u32_e32 v3, v5, v3
	s_and_not1_b32 exec_lo, exec_lo, s36
	s_cbranch_execz .LBB70_129
.LBB70_63:                              ; =>This Inner Loop Header: Depth=1
	ds_load_b32 v5, v24
	ds_load_2addr_b64 v[6:9], v25 offset1:1
	s_waitcnt lgkmcnt(1)
	v_cmp_gt_i32_e64 s31, s33, v5
	s_waitcnt lgkmcnt(0)
	scratch_store_b128 off, v[6:9], off
	s_waitcnt_vscnt null, 0x0
	s_barrier
	buffer_gl0_inv
	s_bcnt1_i32_b32 s73, s31
	s_delay_alu instid0(SALU_CYCLE_1) | instskip(NEXT) | instid1(VALU_DEP_1)
	v_dual_mov_b32 v7, s73 :: v_dual_and_b32 v6, s31, v1
	v_bcnt_u32_b32 v6, v6, 0
	ds_store_b32 v2, v7
	s_waitcnt lgkmcnt(0)
	s_barrier
	buffer_gl0_inv
	s_and_saveexec_b32 s73, s0
	s_cbranch_execnz .LBB70_96
; %bb.64:                               ;   in Loop: Header=BB70_63 Depth=1
	s_or_b32 exec_lo, exec_lo, s73
	s_and_saveexec_b32 s73, s1
	s_cbranch_execnz .LBB70_97
.LBB70_65:                              ;   in Loop: Header=BB70_63 Depth=1
	s_or_b32 exec_lo, exec_lo, s73
	s_and_saveexec_b32 s73, s2
	s_cbranch_execnz .LBB70_98
.LBB70_66:                              ;   in Loop: Header=BB70_63 Depth=1
	s_or_b32 exec_lo, exec_lo, s73
	s_and_saveexec_b32 s73, s3
	s_cbranch_execnz .LBB70_99
.LBB70_67:                              ;   in Loop: Header=BB70_63 Depth=1
	s_or_b32 exec_lo, exec_lo, s73
	s_and_saveexec_b32 s73, s4
	s_cbranch_execnz .LBB70_100
.LBB70_68:                              ;   in Loop: Header=BB70_63 Depth=1
	s_or_b32 exec_lo, exec_lo, s73
	s_and_saveexec_b32 s73, s5
	s_cbranch_execnz .LBB70_101
.LBB70_69:                              ;   in Loop: Header=BB70_63 Depth=1
	s_or_b32 exec_lo, exec_lo, s73
	s_and_saveexec_b32 s73, s6
	s_cbranch_execnz .LBB70_102
.LBB70_70:                              ;   in Loop: Header=BB70_63 Depth=1
	s_or_b32 exec_lo, exec_lo, s73
	s_and_saveexec_b32 s73, s7
	s_cbranch_execnz .LBB70_103
.LBB70_71:                              ;   in Loop: Header=BB70_63 Depth=1
	s_or_b32 exec_lo, exec_lo, s73
	s_and_saveexec_b32 s73, s8
	s_cbranch_execnz .LBB70_104
.LBB70_72:                              ;   in Loop: Header=BB70_63 Depth=1
	s_or_b32 exec_lo, exec_lo, s73
	s_and_saveexec_b32 s73, s9
	s_cbranch_execnz .LBB70_105
.LBB70_73:                              ;   in Loop: Header=BB70_63 Depth=1
	s_or_b32 exec_lo, exec_lo, s73
	s_and_saveexec_b32 s73, s10
	s_cbranch_execnz .LBB70_106
.LBB70_74:                              ;   in Loop: Header=BB70_63 Depth=1
	s_or_b32 exec_lo, exec_lo, s73
	s_and_saveexec_b32 s73, s11
	s_cbranch_execnz .LBB70_107
.LBB70_75:                              ;   in Loop: Header=BB70_63 Depth=1
	s_or_b32 exec_lo, exec_lo, s73
	s_and_saveexec_b32 s73, s12
	s_cbranch_execnz .LBB70_108
.LBB70_76:                              ;   in Loop: Header=BB70_63 Depth=1
	s_or_b32 exec_lo, exec_lo, s73
	s_and_saveexec_b32 s73, s13
	s_cbranch_execnz .LBB70_109
.LBB70_77:                              ;   in Loop: Header=BB70_63 Depth=1
	s_or_b32 exec_lo, exec_lo, s73
	s_and_saveexec_b32 s73, s14
	s_cbranch_execnz .LBB70_110
.LBB70_78:                              ;   in Loop: Header=BB70_63 Depth=1
	s_or_b32 exec_lo, exec_lo, s73
	s_and_saveexec_b32 s73, s15
	s_cbranch_execnz .LBB70_111
.LBB70_79:                              ;   in Loop: Header=BB70_63 Depth=1
	s_or_b32 exec_lo, exec_lo, s73
	s_and_saveexec_b32 s73, s16
	s_cbranch_execnz .LBB70_112
.LBB70_80:                              ;   in Loop: Header=BB70_63 Depth=1
	s_or_b32 exec_lo, exec_lo, s73
	s_and_saveexec_b32 s73, s17
	s_cbranch_execnz .LBB70_113
.LBB70_81:                              ;   in Loop: Header=BB70_63 Depth=1
	s_or_b32 exec_lo, exec_lo, s73
	s_and_saveexec_b32 s73, s18
	s_cbranch_execnz .LBB70_114
.LBB70_82:                              ;   in Loop: Header=BB70_63 Depth=1
	s_or_b32 exec_lo, exec_lo, s73
	s_and_saveexec_b32 s73, s19
	s_cbranch_execnz .LBB70_115
.LBB70_83:                              ;   in Loop: Header=BB70_63 Depth=1
	s_or_b32 exec_lo, exec_lo, s73
	s_and_saveexec_b32 s73, s20
	s_cbranch_execnz .LBB70_116
.LBB70_84:                              ;   in Loop: Header=BB70_63 Depth=1
	s_or_b32 exec_lo, exec_lo, s73
	s_and_saveexec_b32 s73, s21
	s_cbranch_execnz .LBB70_117
.LBB70_85:                              ;   in Loop: Header=BB70_63 Depth=1
	s_or_b32 exec_lo, exec_lo, s73
	s_and_saveexec_b32 s73, s22
	s_cbranch_execnz .LBB70_118
.LBB70_86:                              ;   in Loop: Header=BB70_63 Depth=1
	s_or_b32 exec_lo, exec_lo, s73
	s_and_saveexec_b32 s73, s23
	s_cbranch_execnz .LBB70_119
.LBB70_87:                              ;   in Loop: Header=BB70_63 Depth=1
	s_or_b32 exec_lo, exec_lo, s73
	s_and_saveexec_b32 s73, s24
	s_cbranch_execnz .LBB70_120
.LBB70_88:                              ;   in Loop: Header=BB70_63 Depth=1
	s_or_b32 exec_lo, exec_lo, s73
	s_and_saveexec_b32 s73, s25
	s_cbranch_execnz .LBB70_121
.LBB70_89:                              ;   in Loop: Header=BB70_63 Depth=1
	s_or_b32 exec_lo, exec_lo, s73
	s_and_saveexec_b32 s73, s26
	s_cbranch_execnz .LBB70_122
.LBB70_90:                              ;   in Loop: Header=BB70_63 Depth=1
	s_or_b32 exec_lo, exec_lo, s73
	s_and_saveexec_b32 s73, s27
	s_cbranch_execnz .LBB70_123
.LBB70_91:                              ;   in Loop: Header=BB70_63 Depth=1
	s_or_b32 exec_lo, exec_lo, s73
	s_and_saveexec_b32 s73, s28
	s_cbranch_execnz .LBB70_124
.LBB70_92:                              ;   in Loop: Header=BB70_63 Depth=1
	s_or_b32 exec_lo, exec_lo, s73
	s_and_saveexec_b32 s73, s29
	s_cbranch_execnz .LBB70_125
.LBB70_93:                              ;   in Loop: Header=BB70_63 Depth=1
	s_or_b32 exec_lo, exec_lo, s73
	s_and_saveexec_b32 s73, s30
	s_cbranch_execnz .LBB70_126
.LBB70_94:                              ;   in Loop: Header=BB70_63 Depth=1
	s_or_b32 exec_lo, exec_lo, s73
	s_and_saveexec_b32 s73, s31
	s_cbranch_execnz .LBB70_127
.LBB70_95:                              ;   in Loop: Header=BB70_63 Depth=1
	s_or_b32 exec_lo, exec_lo, s73
	s_and_saveexec_b32 s31, vcc_lo
	s_cbranch_execz .LBB70_62
	s_branch .LBB70_128
.LBB70_96:                              ;   in Loop: Header=BB70_63 Depth=1
	v_mov_b32_e32 v7, s37
	ds_load_b32 v7, v7
	s_waitcnt lgkmcnt(0)
	v_add_nc_u32_e32 v6, v7, v6
	s_or_b32 exec_lo, exec_lo, s73
	s_and_saveexec_b32 s73, s1
	s_cbranch_execz .LBB70_65
.LBB70_97:                              ;   in Loop: Header=BB70_63 Depth=1
	v_mov_b32_e32 v7, s38
	ds_load_b32 v7, v7
	s_waitcnt lgkmcnt(0)
	v_add_nc_u32_e32 v6, v7, v6
	s_or_b32 exec_lo, exec_lo, s73
	s_and_saveexec_b32 s73, s2
	s_cbranch_execz .LBB70_66
.LBB70_98:                              ;   in Loop: Header=BB70_63 Depth=1
	v_mov_b32_e32 v7, s39
	ds_load_b32 v7, v7
	s_waitcnt lgkmcnt(0)
	v_add_nc_u32_e32 v6, v7, v6
	s_or_b32 exec_lo, exec_lo, s73
	s_and_saveexec_b32 s73, s3
	s_cbranch_execz .LBB70_67
.LBB70_99:                              ;   in Loop: Header=BB70_63 Depth=1
	v_mov_b32_e32 v7, s40
	ds_load_b32 v7, v7
	s_waitcnt lgkmcnt(0)
	v_add_nc_u32_e32 v6, v7, v6
	s_or_b32 exec_lo, exec_lo, s73
	s_and_saveexec_b32 s73, s4
	s_cbranch_execz .LBB70_68
.LBB70_100:                             ;   in Loop: Header=BB70_63 Depth=1
	v_mov_b32_e32 v7, s41
	ds_load_b32 v7, v7
	s_waitcnt lgkmcnt(0)
	v_add_nc_u32_e32 v6, v7, v6
	s_or_b32 exec_lo, exec_lo, s73
	s_and_saveexec_b32 s73, s5
	s_cbranch_execz .LBB70_69
.LBB70_101:                             ;   in Loop: Header=BB70_63 Depth=1
	v_mov_b32_e32 v7, s44
	ds_load_b32 v7, v7
	s_waitcnt lgkmcnt(0)
	v_add_nc_u32_e32 v6, v7, v6
	s_or_b32 exec_lo, exec_lo, s73
	s_and_saveexec_b32 s73, s6
	s_cbranch_execz .LBB70_70
.LBB70_102:                             ;   in Loop: Header=BB70_63 Depth=1
	v_mov_b32_e32 v7, s45
	ds_load_b32 v7, v7
	s_waitcnt lgkmcnt(0)
	v_add_nc_u32_e32 v6, v7, v6
	s_or_b32 exec_lo, exec_lo, s73
	s_and_saveexec_b32 s73, s7
	s_cbranch_execz .LBB70_71
.LBB70_103:                             ;   in Loop: Header=BB70_63 Depth=1
	v_mov_b32_e32 v7, s47
	ds_load_b32 v7, v7
	s_waitcnt lgkmcnt(0)
	v_add_nc_u32_e32 v6, v7, v6
	s_or_b32 exec_lo, exec_lo, s73
	s_and_saveexec_b32 s73, s8
	s_cbranch_execz .LBB70_72
.LBB70_104:                             ;   in Loop: Header=BB70_63 Depth=1
	v_mov_b32_e32 v7, s49
	ds_load_b32 v7, v7
	s_waitcnt lgkmcnt(0)
	v_add_nc_u32_e32 v6, v7, v6
	s_or_b32 exec_lo, exec_lo, s73
	s_and_saveexec_b32 s73, s9
	s_cbranch_execz .LBB70_73
.LBB70_105:                             ;   in Loop: Header=BB70_63 Depth=1
	v_mov_b32_e32 v7, s50
	ds_load_b32 v7, v7
	s_waitcnt lgkmcnt(0)
	v_add_nc_u32_e32 v6, v7, v6
	s_or_b32 exec_lo, exec_lo, s73
	s_and_saveexec_b32 s73, s10
	s_cbranch_execz .LBB70_74
.LBB70_106:                             ;   in Loop: Header=BB70_63 Depth=1
	v_mov_b32_e32 v7, s51
	ds_load_b32 v7, v7
	s_waitcnt lgkmcnt(0)
	v_add_nc_u32_e32 v6, v7, v6
	s_or_b32 exec_lo, exec_lo, s73
	s_and_saveexec_b32 s73, s11
	s_cbranch_execz .LBB70_75
.LBB70_107:                             ;   in Loop: Header=BB70_63 Depth=1
	v_mov_b32_e32 v7, s52
	ds_load_b32 v7, v7
	s_waitcnt lgkmcnt(0)
	v_add_nc_u32_e32 v6, v7, v6
	s_or_b32 exec_lo, exec_lo, s73
	s_and_saveexec_b32 s73, s12
	s_cbranch_execz .LBB70_76
.LBB70_108:                             ;   in Loop: Header=BB70_63 Depth=1
	v_mov_b32_e32 v7, s53
	ds_load_b32 v7, v7
	s_waitcnt lgkmcnt(0)
	v_add_nc_u32_e32 v6, v7, v6
	s_or_b32 exec_lo, exec_lo, s73
	s_and_saveexec_b32 s73, s13
	s_cbranch_execz .LBB70_77
.LBB70_109:                             ;   in Loop: Header=BB70_63 Depth=1
	v_mov_b32_e32 v7, s54
	ds_load_b32 v7, v7
	s_waitcnt lgkmcnt(0)
	v_add_nc_u32_e32 v6, v7, v6
	s_or_b32 exec_lo, exec_lo, s73
	s_and_saveexec_b32 s73, s14
	s_cbranch_execz .LBB70_78
.LBB70_110:                             ;   in Loop: Header=BB70_63 Depth=1
	v_mov_b32_e32 v7, s55
	ds_load_b32 v7, v7
	s_waitcnt lgkmcnt(0)
	v_add_nc_u32_e32 v6, v7, v6
	s_or_b32 exec_lo, exec_lo, s73
	s_and_saveexec_b32 s73, s15
	s_cbranch_execz .LBB70_79
.LBB70_111:                             ;   in Loop: Header=BB70_63 Depth=1
	v_mov_b32_e32 v7, s56
	ds_load_b32 v7, v7
	s_waitcnt lgkmcnt(0)
	v_add_nc_u32_e32 v6, v7, v6
	s_or_b32 exec_lo, exec_lo, s73
	s_and_saveexec_b32 s73, s16
	s_cbranch_execz .LBB70_80
.LBB70_112:                             ;   in Loop: Header=BB70_63 Depth=1
	v_mov_b32_e32 v7, s57
	ds_load_b32 v7, v7
	s_waitcnt lgkmcnt(0)
	v_add_nc_u32_e32 v6, v7, v6
	s_or_b32 exec_lo, exec_lo, s73
	s_and_saveexec_b32 s73, s17
	s_cbranch_execz .LBB70_81
.LBB70_113:                             ;   in Loop: Header=BB70_63 Depth=1
	v_mov_b32_e32 v7, s58
	ds_load_b32 v7, v7
	s_waitcnt lgkmcnt(0)
	v_add_nc_u32_e32 v6, v7, v6
	s_or_b32 exec_lo, exec_lo, s73
	s_and_saveexec_b32 s73, s18
	s_cbranch_execz .LBB70_82
.LBB70_114:                             ;   in Loop: Header=BB70_63 Depth=1
	v_mov_b32_e32 v7, s59
	ds_load_b32 v7, v7
	s_waitcnt lgkmcnt(0)
	v_add_nc_u32_e32 v6, v7, v6
	s_or_b32 exec_lo, exec_lo, s73
	s_and_saveexec_b32 s73, s19
	s_cbranch_execz .LBB70_83
.LBB70_115:                             ;   in Loop: Header=BB70_63 Depth=1
	v_mov_b32_e32 v7, s60
	ds_load_b32 v7, v7
	s_waitcnt lgkmcnt(0)
	v_add_nc_u32_e32 v6, v7, v6
	s_or_b32 exec_lo, exec_lo, s73
	s_and_saveexec_b32 s73, s20
	s_cbranch_execz .LBB70_84
.LBB70_116:                             ;   in Loop: Header=BB70_63 Depth=1
	v_mov_b32_e32 v7, s61
	ds_load_b32 v7, v7
	s_waitcnt lgkmcnt(0)
	v_add_nc_u32_e32 v6, v7, v6
	s_or_b32 exec_lo, exec_lo, s73
	s_and_saveexec_b32 s73, s21
	s_cbranch_execz .LBB70_85
.LBB70_117:                             ;   in Loop: Header=BB70_63 Depth=1
	v_mov_b32_e32 v7, s62
	ds_load_b32 v7, v7
	s_waitcnt lgkmcnt(0)
	v_add_nc_u32_e32 v6, v7, v6
	s_or_b32 exec_lo, exec_lo, s73
	s_and_saveexec_b32 s73, s22
	s_cbranch_execz .LBB70_86
.LBB70_118:                             ;   in Loop: Header=BB70_63 Depth=1
	v_mov_b32_e32 v7, s63
	ds_load_b32 v7, v7
	s_waitcnt lgkmcnt(0)
	v_add_nc_u32_e32 v6, v7, v6
	s_or_b32 exec_lo, exec_lo, s73
	s_and_saveexec_b32 s73, s23
	s_cbranch_execz .LBB70_87
.LBB70_119:                             ;   in Loop: Header=BB70_63 Depth=1
	v_mov_b32_e32 v7, s64
	ds_load_b32 v7, v7
	s_waitcnt lgkmcnt(0)
	v_add_nc_u32_e32 v6, v7, v6
	s_or_b32 exec_lo, exec_lo, s73
	s_and_saveexec_b32 s73, s24
	s_cbranch_execz .LBB70_88
.LBB70_120:                             ;   in Loop: Header=BB70_63 Depth=1
	v_mov_b32_e32 v7, s65
	ds_load_b32 v7, v7
	s_waitcnt lgkmcnt(0)
	v_add_nc_u32_e32 v6, v7, v6
	s_or_b32 exec_lo, exec_lo, s73
	s_and_saveexec_b32 s73, s25
	s_cbranch_execz .LBB70_89
.LBB70_121:                             ;   in Loop: Header=BB70_63 Depth=1
	v_mov_b32_e32 v7, s66
	ds_load_b32 v7, v7
	s_waitcnt lgkmcnt(0)
	v_add_nc_u32_e32 v6, v7, v6
	s_or_b32 exec_lo, exec_lo, s73
	s_and_saveexec_b32 s73, s26
	s_cbranch_execz .LBB70_90
.LBB70_122:                             ;   in Loop: Header=BB70_63 Depth=1
	v_mov_b32_e32 v7, s67
	ds_load_b32 v7, v7
	s_waitcnt lgkmcnt(0)
	v_add_nc_u32_e32 v6, v7, v6
	s_or_b32 exec_lo, exec_lo, s73
	s_and_saveexec_b32 s73, s27
	s_cbranch_execz .LBB70_91
.LBB70_123:                             ;   in Loop: Header=BB70_63 Depth=1
	v_mov_b32_e32 v7, s69
	ds_load_b32 v7, v7
	s_waitcnt lgkmcnt(0)
	v_add_nc_u32_e32 v6, v7, v6
	s_or_b32 exec_lo, exec_lo, s73
	s_and_saveexec_b32 s73, s28
	s_cbranch_execz .LBB70_92
.LBB70_124:                             ;   in Loop: Header=BB70_63 Depth=1
	v_mov_b32_e32 v7, s70
	ds_load_b32 v7, v7
	s_waitcnt lgkmcnt(0)
	v_add_nc_u32_e32 v6, v7, v6
	s_or_b32 exec_lo, exec_lo, s73
	s_and_saveexec_b32 s73, s29
	s_cbranch_execz .LBB70_93
.LBB70_125:                             ;   in Loop: Header=BB70_63 Depth=1
	v_mov_b32_e32 v7, s71
	ds_load_b32 v7, v7
	s_waitcnt lgkmcnt(0)
	v_add_nc_u32_e32 v6, v7, v6
	s_or_b32 exec_lo, exec_lo, s73
	s_and_saveexec_b32 s73, s30
	s_cbranch_execz .LBB70_94
.LBB70_126:                             ;   in Loop: Header=BB70_63 Depth=1
	v_mov_b32_e32 v7, s72
	ds_load_b32 v7, v7
	s_waitcnt lgkmcnt(0)
	v_add_nc_u32_e32 v6, v7, v6
	s_or_b32 exec_lo, exec_lo, s73
	s_and_saveexec_b32 s73, s31
	s_cbranch_execz .LBB70_95
.LBB70_127:                             ;   in Loop: Header=BB70_63 Depth=1
	scratch_load_b128 v[7:10], off, off
	v_add3_u32 v11, v3, -1, v6
	s_delay_alu instid0(VALU_DEP_1) | instskip(SKIP_1) | instid1(VALU_DEP_2)
	v_lshlrev_b32_e32 v12, 4, v11
	v_lshl_add_u32 v11, v11, 2, 0
	v_add3_u32 v12, 0, v12, 0x4000
	ds_store_b32 v11, v5
	s_waitcnt vmcnt(0)
	ds_store_2addr_b64 v12, v[7:8], v[9:10] offset1:1
	s_or_b32 exec_lo, exec_lo, s73
	s_and_saveexec_b32 s31, vcc_lo
	s_cbranch_execz .LBB70_62
.LBB70_128:                             ;   in Loop: Header=BB70_63 Depth=1
	v_mov_b32_e32 v5, s68
	ds_store_b32 v5, v6
	s_branch .LBB70_62
.LBB70_129:
	s_or_b32 exec_lo, exec_lo, s36
	s_ashr_i32 s49, s48, 31
	s_mov_b32 s3, exec_lo
	s_lshl_b64 s[0:1], s[48:49], 2
	s_delay_alu instid0(SALU_CYCLE_1) | instskip(SKIP_4) | instid1(SALU_CYCLE_1)
	s_add_u32 s0, s42, s0
	s_addc_u32 s1, s43, s1
	s_load_b64 s[0:1], s[0:1], 0x0
	s_waitcnt lgkmcnt(0)
	s_sub_i32 s2, s1, s0
	v_cmpx_gt_i32_e64 s2, v0
	s_cbranch_execz .LBB70_139
; %bb.130:
	s_sub_i32 s3, s0, s46
	s_sub_i32 s0, s0, s1
	s_and_b32 s1, s2, 7
	s_cmp_lt_u32 s0, -7
	s_mov_b32 s7, 0
	s_cselect_b32 s4, -1, 0
	s_and_b32 s5, s2, -8
	s_cmp_lg_u32 s1, 0
	s_cselect_b32 s6, -1, 0
	s_branch .LBB70_132
.LBB70_131:                             ;   in Loop: Header=BB70_132 Depth=1
	s_waitcnt lgkmcnt(0)
	v_mul_lo_u32 v3, v0, 12
	v_add_nc_u32_e32 v0, 0x400, v0
	s_delay_alu instid0(VALU_DEP_1) | instskip(NEXT) | instid1(VALU_DEP_3)
	v_cmp_le_i32_e32 vcc_lo, s2, v0
	v_add3_u32 v2, v2, v3, 0x4000
	s_or_b32 s7, vcc_lo, s7
	ds_load_2addr_b64 v[3:6], v2 offset1:1
	v_ashrrev_i32_e32 v2, 31, v1
	s_delay_alu instid0(VALU_DEP_1) | instskip(NEXT) | instid1(VALU_DEP_1)
	v_lshlrev_b64 v[1:2], 4, v[1:2]
	v_add_co_u32 v1, s0, s34, v1
	s_delay_alu instid0(VALU_DEP_1)
	v_add_co_ci_u32_e64 v2, s0, s35, v2, s0
	s_waitcnt lgkmcnt(0)
	global_store_b128 v[1:2], v[3:6], off
	s_and_not1_b32 exec_lo, exec_lo, s7
	s_cbranch_execz .LBB70_139
.LBB70_132:                             ; =>This Loop Header: Depth=1
                                        ;     Child Loop BB70_134 Depth 2
                                        ;     Child Loop BB70_138 Depth 2
	v_lshl_add_u32 v2, v0, 2, 0
	v_mov_b32_e32 v1, s3
	s_and_not1_b32 vcc_lo, exec_lo, s4
	s_mov_b32 s0, 0
	ds_load_b32 v3, v2
	s_cbranch_vccnz .LBB70_136
; %bb.133:                              ;   in Loop: Header=BB70_132 Depth=1
	v_mov_b32_e32 v1, s3
	s_mov_b32 s8, 0
	s_set_inst_prefetch_distance 0x1
	.p2align	6
.LBB70_134:                             ;   Parent Loop BB70_132 Depth=1
                                        ; =>  This Inner Loop Header: Depth=2
	v_mov_b32_e32 v10, s8
	s_add_i32 s0, s0, 8
	s_add_i32 s8, s8, 32
	s_cmp_eq_u32 s5, s0
	ds_load_2addr_b32 v[4:5], v10 offset1:1
	ds_load_2addr_b32 v[6:7], v10 offset0:2 offset1:3
	ds_load_2addr_b32 v[8:9], v10 offset0:4 offset1:5
	ds_load_2addr_b32 v[10:11], v10 offset0:6 offset1:7
	s_waitcnt lgkmcnt(3)
	v_cmp_gt_i32_e32 vcc_lo, v3, v4
	v_cndmask_b32_e64 v4, 0, 1, vcc_lo
	s_waitcnt lgkmcnt(2)
	v_cmp_gt_i32_e32 vcc_lo, v3, v6
	v_cndmask_b32_e64 v6, 0, 1, vcc_lo
	v_cmp_gt_i32_e32 vcc_lo, v3, v5
	v_add_co_ci_u32_e32 v1, vcc_lo, v1, v4, vcc_lo
	s_waitcnt lgkmcnt(1)
	v_cmp_gt_i32_e32 vcc_lo, v3, v8
	v_cndmask_b32_e64 v4, 0, 1, vcc_lo
	v_cmp_gt_i32_e32 vcc_lo, v3, v7
	v_add_co_ci_u32_e32 v1, vcc_lo, v1, v6, vcc_lo
	;; [unrolled: 5-line block ×3, first 2 shown]
	v_cmp_gt_i32_e32 vcc_lo, v3, v11
	s_delay_alu instid0(VALU_DEP_2)
	v_add_co_ci_u32_e32 v1, vcc_lo, v1, v5, vcc_lo
	s_cbranch_scc0 .LBB70_134
; %bb.135:                              ;   in Loop: Header=BB70_132 Depth=1
	s_set_inst_prefetch_distance 0x2
	s_mov_b32 s0, s5
.LBB70_136:                             ;   in Loop: Header=BB70_132 Depth=1
	s_and_not1_b32 vcc_lo, exec_lo, s6
	s_cbranch_vccnz .LBB70_131
; %bb.137:                              ;   in Loop: Header=BB70_132 Depth=1
	s_lshl_b32 s0, s0, 2
	s_mov_b32 s8, s1
	s_add_i32 s0, s0, 0
.LBB70_138:                             ;   Parent Loop BB70_132 Depth=1
                                        ; =>  This Inner Loop Header: Depth=2
	s_delay_alu instid0(SALU_CYCLE_1)
	v_mov_b32_e32 v4, s0
	s_add_i32 s8, s8, -1
	s_add_i32 s0, s0, 4
	s_cmp_lg_u32 s8, 0
	ds_load_b32 v4, v4
	s_waitcnt lgkmcnt(0)
	v_cmp_gt_i32_e32 vcc_lo, v3, v4
	v_add_co_ci_u32_e32 v1, vcc_lo, 0, v1, vcc_lo
	s_cbranch_scc1 .LBB70_138
	s_branch .LBB70_131
.LBB70_139:
	s_nop 0
	s_sendmsg sendmsg(MSG_DEALLOC_VGPRS)
	s_endpgm
	.section	.rodata,"a",@progbits
	.p2align	6, 0x0
	.amdhsa_kernel _ZN9rocsparseL41csrgemm_numeric_fill_block_per_row_kernelILj1024ELj64ELj4096ELj137ELj32Eii21rocsparse_complex_numIdEEEvT5_PKS3_S5_NS_24const_host_device_scalarIT6_EEPKT4_S5_PKS7_SB_S5_SD_S8_SB_S5_SD_SB_S5_PS7_21rocsparse_index_base_SF_SF_SF_bbb
		.amdhsa_group_segment_fixed_size 0
		.amdhsa_private_segment_fixed_size 40
		.amdhsa_kernarg_size 172
		.amdhsa_user_sgpr_count 15
		.amdhsa_user_sgpr_dispatch_ptr 0
		.amdhsa_user_sgpr_queue_ptr 0
		.amdhsa_user_sgpr_kernarg_segment_ptr 1
		.amdhsa_user_sgpr_dispatch_id 0
		.amdhsa_user_sgpr_private_segment_size 0
		.amdhsa_wavefront_size32 1
		.amdhsa_uses_dynamic_stack 0
		.amdhsa_enable_private_segment 1
		.amdhsa_system_sgpr_workgroup_id_x 1
		.amdhsa_system_sgpr_workgroup_id_y 0
		.amdhsa_system_sgpr_workgroup_id_z 0
		.amdhsa_system_sgpr_workgroup_info 0
		.amdhsa_system_vgpr_workitem_id 0
		.amdhsa_next_free_vgpr 31
		.amdhsa_next_free_sgpr 74
		.amdhsa_reserve_vcc 1
		.amdhsa_float_round_mode_32 0
		.amdhsa_float_round_mode_16_64 0
		.amdhsa_float_denorm_mode_32 3
		.amdhsa_float_denorm_mode_16_64 3
		.amdhsa_dx10_clamp 1
		.amdhsa_ieee_mode 1
		.amdhsa_fp16_overflow 0
		.amdhsa_workgroup_processor_mode 1
		.amdhsa_memory_ordered 1
		.amdhsa_forward_progress 0
		.amdhsa_shared_vgpr_count 0
		.amdhsa_exception_fp_ieee_invalid_op 0
		.amdhsa_exception_fp_denorm_src 0
		.amdhsa_exception_fp_ieee_div_zero 0
		.amdhsa_exception_fp_ieee_overflow 0
		.amdhsa_exception_fp_ieee_underflow 0
		.amdhsa_exception_fp_ieee_inexact 0
		.amdhsa_exception_int_div_zero 0
	.end_amdhsa_kernel
	.section	.text._ZN9rocsparseL41csrgemm_numeric_fill_block_per_row_kernelILj1024ELj64ELj4096ELj137ELj32Eii21rocsparse_complex_numIdEEEvT5_PKS3_S5_NS_24const_host_device_scalarIT6_EEPKT4_S5_PKS7_SB_S5_SD_S8_SB_S5_SD_SB_S5_PS7_21rocsparse_index_base_SF_SF_SF_bbb,"axG",@progbits,_ZN9rocsparseL41csrgemm_numeric_fill_block_per_row_kernelILj1024ELj64ELj4096ELj137ELj32Eii21rocsparse_complex_numIdEEEvT5_PKS3_S5_NS_24const_host_device_scalarIT6_EEPKT4_S5_PKS7_SB_S5_SD_S8_SB_S5_SD_SB_S5_PS7_21rocsparse_index_base_SF_SF_SF_bbb,comdat
.Lfunc_end70:
	.size	_ZN9rocsparseL41csrgemm_numeric_fill_block_per_row_kernelILj1024ELj64ELj4096ELj137ELj32Eii21rocsparse_complex_numIdEEEvT5_PKS3_S5_NS_24const_host_device_scalarIT6_EEPKT4_S5_PKS7_SB_S5_SD_S8_SB_S5_SD_SB_S5_PS7_21rocsparse_index_base_SF_SF_SF_bbb, .Lfunc_end70-_ZN9rocsparseL41csrgemm_numeric_fill_block_per_row_kernelILj1024ELj64ELj4096ELj137ELj32Eii21rocsparse_complex_numIdEEEvT5_PKS3_S5_NS_24const_host_device_scalarIT6_EEPKT4_S5_PKS7_SB_S5_SD_S8_SB_S5_SD_SB_S5_PS7_21rocsparse_index_base_SF_SF_SF_bbb
                                        ; -- End function
	.section	.AMDGPU.csdata,"",@progbits
; Kernel info:
; codeLenInByte = 5284
; NumSgprs: 76
; NumVgprs: 31
; ScratchSize: 40
; MemoryBound: 0
; FloatMode: 240
; IeeeMode: 1
; LDSByteSize: 0 bytes/workgroup (compile time only)
; SGPRBlocks: 9
; VGPRBlocks: 3
; NumSGPRsForWavesPerEU: 76
; NumVGPRsForWavesPerEU: 31
; Occupancy: 16
; WaveLimiterHint : 1
; COMPUTE_PGM_RSRC2:SCRATCH_EN: 1
; COMPUTE_PGM_RSRC2:USER_SGPR: 15
; COMPUTE_PGM_RSRC2:TRAP_HANDLER: 0
; COMPUTE_PGM_RSRC2:TGID_X_EN: 1
; COMPUTE_PGM_RSRC2:TGID_Y_EN: 0
; COMPUTE_PGM_RSRC2:TGID_Z_EN: 0
; COMPUTE_PGM_RSRC2:TIDIG_COMP_CNT: 0
	.section	.text._ZN9rocsparseL41csrgemm_numeric_fill_block_per_row_kernelILj1024ELj64ELj4096ELj137ELj64Eii21rocsparse_complex_numIdEEEvT5_PKS3_S5_NS_24const_host_device_scalarIT6_EEPKT4_S5_PKS7_SB_S5_SD_S8_SB_S5_SD_SB_S5_PS7_21rocsparse_index_base_SF_SF_SF_bbb,"axG",@progbits,_ZN9rocsparseL41csrgemm_numeric_fill_block_per_row_kernelILj1024ELj64ELj4096ELj137ELj64Eii21rocsparse_complex_numIdEEEvT5_PKS3_S5_NS_24const_host_device_scalarIT6_EEPKT4_S5_PKS7_SB_S5_SD_S8_SB_S5_SD_SB_S5_PS7_21rocsparse_index_base_SF_SF_SF_bbb,comdat
	.globl	_ZN9rocsparseL41csrgemm_numeric_fill_block_per_row_kernelILj1024ELj64ELj4096ELj137ELj64Eii21rocsparse_complex_numIdEEEvT5_PKS3_S5_NS_24const_host_device_scalarIT6_EEPKT4_S5_PKS7_SB_S5_SD_S8_SB_S5_SD_SB_S5_PS7_21rocsparse_index_base_SF_SF_SF_bbb ; -- Begin function _ZN9rocsparseL41csrgemm_numeric_fill_block_per_row_kernelILj1024ELj64ELj4096ELj137ELj64Eii21rocsparse_complex_numIdEEEvT5_PKS3_S5_NS_24const_host_device_scalarIT6_EEPKT4_S5_PKS7_SB_S5_SD_S8_SB_S5_SD_SB_S5_PS7_21rocsparse_index_base_SF_SF_SF_bbb
	.p2align	8
	.type	_ZN9rocsparseL41csrgemm_numeric_fill_block_per_row_kernelILj1024ELj64ELj4096ELj137ELj64Eii21rocsparse_complex_numIdEEEvT5_PKS3_S5_NS_24const_host_device_scalarIT6_EEPKT4_S5_PKS7_SB_S5_SD_S8_SB_S5_SD_SB_S5_PS7_21rocsparse_index_base_SF_SF_SF_bbb,@function
_ZN9rocsparseL41csrgemm_numeric_fill_block_per_row_kernelILj1024ELj64ELj4096ELj137ELj64Eii21rocsparse_complex_numIdEEEvT5_PKS3_S5_NS_24const_host_device_scalarIT6_EEPKT4_S5_PKS7_SB_S5_SD_S8_SB_S5_SD_SB_S5_PS7_21rocsparse_index_base_SF_SF_SF_bbb: ; @_ZN9rocsparseL41csrgemm_numeric_fill_block_per_row_kernelILj1024ELj64ELj4096ELj137ELj64Eii21rocsparse_complex_numIdEEEvT5_PKS3_S5_NS_24const_host_device_scalarIT6_EEPKT4_S5_PKS7_SB_S5_SD_S8_SB_S5_SD_SB_S5_PS7_21rocsparse_index_base_SF_SF_SF_bbb
; %bb.0:
	s_clause 0x3
	s_load_b32 s14, s[0:1], 0xa8
	s_load_b128 s[4:7], s[0:1], 0x18
	s_load_b128 s[36:39], s[0:1], 0x58
	;; [unrolled: 1-line block ×3, first 2 shown]
	v_mov_b32_e32 v1, 0
	v_mov_b32_e32 v2, 0
	s_waitcnt lgkmcnt(0)
	s_bitcmp1_b32 s14, 0
	v_mov_b32_e32 v3, s4
	s_cselect_b32 s12, -1, 0
	s_bitcmp1_b32 s14, 16
	v_dual_mov_b32 v6, v2 :: v_dual_mov_b32 v5, v1
	s_cselect_b32 s2, -1, 0
	v_mov_b32_e32 v4, s5
	s_xor_b32 s13, s2, -1
	v_dual_mov_b32 v9, s36 :: v_dual_mov_b32 v10, s37
	v_cndmask_b32_e64 v7, 0, 1, s13
	s_bitcmp0_b32 s14, 0
	s_clause 0x1
	scratch_store_b64 off, v[3:4], off offset:16
	scratch_store_b64 off, v[9:10], off offset:24
	v_cmp_ne_u32_e32 vcc_lo, 1, v7
	v_dual_mov_b32 v8, v2 :: v_dual_mov_b32 v7, v1
	s_cbranch_scc1 .LBB71_3
; %bb.1:
	s_mov_b64 s[8:9], src_private_base
	s_and_b32 s3, s2, exec_lo
	s_cselect_b32 s3, s9, s5
	s_delay_alu instid0(SALU_CYCLE_1) | instskip(SKIP_2) | instid1(VALU_DEP_2)
	v_dual_mov_b32 v3, 16 :: v_dual_mov_b32 v4, s3
	v_dual_mov_b32 v8, s7 :: v_dual_mov_b32 v7, s6
	s_and_b32 vcc_lo, exec_lo, vcc_lo
	v_cndmask_b32_e64 v3, s4, v3, s2
	flat_load_b64 v[5:6], v[3:4]
	s_cbranch_vccnz .LBB71_3
; %bb.2:
	v_dual_mov_b32 v3, s4 :: v_dual_mov_b32 v4, s5
	flat_load_b64 v[7:8], v[3:4] offset:8
.LBB71_3:
	s_clause 0x4
	s_load_b64 s[34:35], s[0:1], 0x90
	s_load_b256 s[16:23], s[0:1], 0x68
	s_load_b128 s[28:31], s[0:1], 0x48
	s_load_b128 s[40:43], s[0:1], 0x8
	s_load_b256 s[4:11], s[0:1], 0x28
	s_bitcmp1_b32 s14, 8
	v_dual_mov_b32 v4, v2 :: v_dual_mov_b32 v3, v1
	s_cselect_b32 s3, -1, 0
	s_bfe_u32 s14, s14, 0x10008
	s_delay_alu instid0(SALU_CYCLE_1)
	s_cmp_eq_u32 s14, 0
	s_cbranch_scc1 .LBB71_6
; %bb.4:
	s_mov_b64 s[44:45], src_private_base
	s_and_b32 s14, s2, exec_lo
	s_cselect_b32 s14, s45, s37
	s_delay_alu instid0(SALU_CYCLE_1) | instskip(SKIP_1) | instid1(VALU_DEP_1)
	v_dual_mov_b32 v1, 24 :: v_dual_mov_b32 v2, s14
	s_and_not1_b32 vcc_lo, exec_lo, s13
	v_cndmask_b32_e64 v1, s36, v1, s2
	flat_load_b64 v[3:4], v[1:2]
	v_dual_mov_b32 v1, s38 :: v_dual_mov_b32 v2, s39
	s_cbranch_vccnz .LBB71_6
; %bb.5:
	v_dual_mov_b32 v1, s36 :: v_dual_mov_b32 v2, s37
	flat_load_b64 v[1:2], v[1:2] offset:8
.LBB71_6:
	s_load_b32 s33, s[0:1], 0x0
	s_mov_b32 s0, 0
	v_or_b32_e32 v23, 0xfffffc00, v0
	s_mov_b32 s1, s0
	s_delay_alu instid0(SALU_CYCLE_1) | instskip(SKIP_3) | instid1(VALU_DEP_2)
	v_dual_mov_b32 v10, s1 :: v_dual_lshlrev_b32 v11, 4, v0
	v_lshl_add_u32 v24, v0, 2, 0
	s_mov_b32 s36, s0
	s_mov_b32 s37, s0
	v_add3_u32 v25, v11, 0, 0x4000
	v_dual_mov_b32 v11, s36 :: v_dual_mov_b32 v14, v23
	v_dual_mov_b32 v9, s0 :: v_dual_mov_b32 v12, s37
	s_delay_alu instid0(VALU_DEP_3)
	v_dual_mov_b32 v13, v24 :: v_dual_mov_b32 v16, v25
	s_waitcnt lgkmcnt(0)
	v_mov_b32_e32 v15, s33
.LBB71_7:                               ; =>This Inner Loop Header: Depth=1
	v_add_nc_u32_e32 v14, 0x400, v14
	ds_store_b32 v13, v15
	ds_store_2addr_b64 v16, v[9:10], v[11:12] offset1:1
	v_add_nc_u32_e32 v16, 0x4000, v16
	v_add_nc_u32_e32 v13, 0x1000, v13
	v_cmp_lt_u32_e32 vcc_lo, 0xbff, v14
	s_or_b32 s0, vcc_lo, s0
	s_delay_alu instid0(SALU_CYCLE_1)
	s_and_not1_b32 exec_lo, exec_lo, s0
	s_cbranch_execnz .LBB71_7
; %bb.8:
	s_or_b32 exec_lo, exec_lo, s0
	s_waitcnt vmcnt(0) lgkmcnt(0)
	s_waitcnt_vscnt null, 0x0
	s_barrier
	buffer_gl0_inv
	s_load_b32 s0, s[40:41], 0x0
	s_mov_b32 s1, 0
	v_lshrrev_b32_e32 v26, 6, v0
	s_waitcnt lgkmcnt(0)
	s_add_i32 s0, s0, s15
	s_delay_alu instid0(SALU_CYCLE_1) | instskip(NEXT) | instid1(SALU_CYCLE_1)
	s_lshl_b64 s[0:1], s[0:1], 2
	s_add_u32 s0, s42, s0
	s_addc_u32 s1, s43, s1
	s_and_b32 vcc_lo, exec_lo, s12
	s_load_b32 s36, s[0:1], 0x0
	s_cbranch_vccz .LBB71_36
; %bb.9:
	s_waitcnt lgkmcnt(0)
	s_ashr_i32 s37, s36, 31
	v_subrev_nc_u32_e32 v9, s24, v26
	s_lshl_b64 s[0:1], s[36:37], 2
	s_delay_alu instid0(SALU_CYCLE_1)
	s_add_u32 s0, s4, s0
	s_addc_u32 s1, s5, s1
	s_load_b64 s[0:1], s[0:1], 0x0
	s_waitcnt lgkmcnt(0)
	v_add_nc_u32_e32 v9, s0, v9
	s_sub_i32 s0, s1, s24
	s_mov_b32 s1, exec_lo
	s_delay_alu instid0(VALU_DEP_1)
	v_cmpx_gt_i32_e64 s0, v9
	s_cbranch_execz .LBB71_35
; %bb.10:
	v_and_b32_e32 v10, 63, v0
	s_mov_b32 s2, 0
	s_delay_alu instid0(VALU_DEP_1)
	v_subrev_nc_u32_e32 v27, s25, v10
	s_branch .LBB71_12
.LBB71_11:                              ;   in Loop: Header=BB71_12 Depth=1
	s_or_b32 exec_lo, exec_lo, s4
	v_add_nc_u32_e32 v9, 16, v9
	s_delay_alu instid0(VALU_DEP_1) | instskip(SKIP_1) | instid1(SALU_CYCLE_1)
	v_cmp_le_i32_e32 vcc_lo, s0, v9
	s_or_b32 s2, vcc_lo, s2
	s_and_not1_b32 exec_lo, exec_lo, s2
	s_cbranch_execz .LBB71_35
.LBB71_12:                              ; =>This Loop Header: Depth=1
                                        ;     Child Loop BB71_15 Depth 2
                                        ;       Child Loop BB71_17 Depth 3
                                        ;         Child Loop BB71_23 Depth 4
                                        ;         Child Loop BB71_25 Depth 4
	;; [unrolled: 1-line block ×4, first 2 shown]
	v_ashrrev_i32_e32 v10, 31, v9
	s_mov_b32 s4, exec_lo
	s_delay_alu instid0(VALU_DEP_1) | instskip(NEXT) | instid1(VALU_DEP_1)
	v_lshlrev_b64 v[11:12], 2, v[9:10]
	v_add_co_u32 v11, vcc_lo, s6, v11
	s_delay_alu instid0(VALU_DEP_2) | instskip(SKIP_3) | instid1(VALU_DEP_1)
	v_add_co_ci_u32_e32 v12, vcc_lo, s7, v12, vcc_lo
	global_load_b32 v11, v[11:12], off
	s_waitcnt vmcnt(0)
	v_subrev_nc_u32_e32 v11, s24, v11
	v_ashrrev_i32_e32 v12, 31, v11
	s_delay_alu instid0(VALU_DEP_1) | instskip(NEXT) | instid1(VALU_DEP_1)
	v_lshlrev_b64 v[11:12], 2, v[11:12]
	v_add_co_u32 v11, vcc_lo, s10, v11
	s_delay_alu instid0(VALU_DEP_2) | instskip(SKIP_4) | instid1(VALU_DEP_1)
	v_add_co_ci_u32_e32 v12, vcc_lo, s11, v12, vcc_lo
	global_load_b64 v[11:12], v[11:12], off
	s_waitcnt vmcnt(0)
	v_subrev_nc_u32_e32 v28, s25, v12
	v_add_nc_u32_e32 v11, v11, v27
	v_cmpx_lt_i32_e64 v11, v28
	s_cbranch_execz .LBB71_11
; %bb.13:                               ;   in Loop: Header=BB71_12 Depth=1
	v_lshlrev_b64 v[12:13], 4, v[9:10]
	s_mov_b32 s5, 0
	s_delay_alu instid0(VALU_DEP_1) | instskip(NEXT) | instid1(VALU_DEP_2)
	v_add_co_u32 v12, vcc_lo, s8, v12
	v_add_co_ci_u32_e32 v13, vcc_lo, s9, v13, vcc_lo
	global_load_b128 v[15:18], v[12:13], off
	s_waitcnt vmcnt(0)
	v_mul_f64 v[12:13], v[17:18], -v[7:8]
	v_mul_f64 v[17:18], v[5:6], v[17:18]
	s_delay_alu instid0(VALU_DEP_2) | instskip(NEXT) | instid1(VALU_DEP_2)
	v_fma_f64 v[13:14], v[5:6], v[15:16], v[12:13]
	v_fma_f64 v[15:16], v[7:8], v[15:16], v[17:18]
	s_branch .LBB71_15
.LBB71_14:                              ;   in Loop: Header=BB71_15 Depth=2
	s_or_b32 exec_lo, exec_lo, s12
	v_add_nc_u32_e32 v11, 64, v11
	s_delay_alu instid0(VALU_DEP_1) | instskip(SKIP_1) | instid1(SALU_CYCLE_1)
	v_cmp_ge_i32_e32 vcc_lo, v11, v28
	s_or_b32 s5, vcc_lo, s5
	s_and_not1_b32 exec_lo, exec_lo, s5
	s_cbranch_execz .LBB71_11
.LBB71_15:                              ;   Parent Loop BB71_12 Depth=1
                                        ; =>  This Loop Header: Depth=2
                                        ;       Child Loop BB71_17 Depth 3
                                        ;         Child Loop BB71_23 Depth 4
                                        ;         Child Loop BB71_25 Depth 4
	;; [unrolled: 1-line block ×4, first 2 shown]
	v_ashrrev_i32_e32 v12, 31, v11
	s_mov_b32 s12, 0
	s_delay_alu instid0(VALU_DEP_1) | instskip(NEXT) | instid1(VALU_DEP_1)
	v_lshlrev_b64 v[17:18], 4, v[11:12]
	v_add_co_u32 v17, vcc_lo, s30, v17
	s_delay_alu instid0(VALU_DEP_2) | instskip(SKIP_2) | instid1(VALU_DEP_1)
	v_add_co_ci_u32_e32 v18, vcc_lo, s31, v18, vcc_lo
	global_load_b128 v[19:22], v[17:18], off
	v_lshlrev_b64 v[17:18], 2, v[11:12]
	v_add_co_u32 v17, vcc_lo, s28, v17
	s_delay_alu instid0(VALU_DEP_2)
	v_add_co_ci_u32_e32 v18, vcc_lo, s29, v18, vcc_lo
	global_load_b32 v10, v[17:18], off
	s_waitcnt vmcnt(1)
	v_mul_f64 v[17:18], v[21:22], -v[15:16]
	v_mul_f64 v[21:22], v[13:14], v[21:22]
	s_waitcnt vmcnt(0)
	v_subrev_nc_u32_e32 v10, s25, v10
	s_delay_alu instid0(VALU_DEP_1) | instskip(NEXT) | instid1(VALU_DEP_1)
	v_mul_lo_u32 v12, 0x89, v10
	v_and_b32_e32 v12, 0xfff, v12
	v_fma_f64 v[17:18], v[13:14], v[19:20], v[17:18]
	v_fma_f64 v[19:20], v[15:16], v[19:20], v[21:22]
	s_branch .LBB71_17
.LBB71_16:                              ;   in Loop: Header=BB71_17 Depth=3
	s_or_b32 exec_lo, exec_lo, s13
	s_xor_b32 s13, s14, -1
	s_delay_alu instid0(SALU_CYCLE_1) | instskip(NEXT) | instid1(SALU_CYCLE_1)
	s_and_b32 s13, exec_lo, s13
	s_or_b32 s12, s13, s12
	s_delay_alu instid0(SALU_CYCLE_1)
	s_and_not1_b32 exec_lo, exec_lo, s12
	s_cbranch_execz .LBB71_14
.LBB71_17:                              ;   Parent Loop BB71_12 Depth=1
                                        ;     Parent Loop BB71_15 Depth=2
                                        ; =>    This Loop Header: Depth=3
                                        ;         Child Loop BB71_23 Depth 4
                                        ;         Child Loop BB71_25 Depth 4
	;; [unrolled: 1-line block ×4, first 2 shown]
	s_delay_alu instid0(VALU_DEP_3)
	v_lshl_add_u32 v21, v12, 2, 0
	s_mov_b32 s13, exec_lo
                                        ; implicit-def: $sgpr14
	ds_load_b32 v22, v21
	s_waitcnt lgkmcnt(0)
	v_cmpx_ne_u32_e64 v22, v10
	s_xor_b32 s13, exec_lo, s13
	s_cbranch_execz .LBB71_29
; %bb.18:                               ;   in Loop: Header=BB71_17 Depth=3
	s_mov_b32 s15, exec_lo
                                        ; implicit-def: $sgpr14
	v_cmpx_ne_u32_e64 s33, v22
	s_xor_b32 s15, exec_lo, s15
; %bb.19:                               ;   in Loop: Header=BB71_17 Depth=3
	v_add_nc_u32_e32 v12, 1, v12
	s_mov_b32 s14, -1
                                        ; implicit-def: $vgpr21
	s_delay_alu instid0(VALU_DEP_1)
	v_and_b32_e32 v12, 0xfff, v12
; %bb.20:                               ;   in Loop: Header=BB71_17 Depth=3
	s_and_not1_saveexec_b32 s15, s15
	s_cbranch_execz .LBB71_28
; %bb.21:                               ;   in Loop: Header=BB71_17 Depth=3
	v_mov_b32_e32 v22, s33
	s_mov_b32 s38, -1
	s_mov_b32 s37, exec_lo
	ds_cmpstore_rtn_b32 v22, v21, v10, v22
	s_waitcnt lgkmcnt(0)
	v_cmpx_eq_u32_e64 s33, v22
	s_cbranch_execz .LBB71_27
; %bb.22:                               ;   in Loop: Header=BB71_17 Depth=3
	v_mul_lo_u32 v22, v12, 12
	s_mov_b32 s38, 0
	s_delay_alu instid0(VALU_DEP_1)
	v_add_nc_u32_e32 v29, v21, v22
	ds_load_b64 v[21:22], v29 offset:16384
.LBB71_23:                              ;   Parent Loop BB71_12 Depth=1
                                        ;     Parent Loop BB71_15 Depth=2
                                        ;       Parent Loop BB71_17 Depth=3
                                        ; =>      This Inner Loop Header: Depth=4
	s_waitcnt lgkmcnt(0)
	v_add_f64 v[30:31], v[21:22], v[17:18]
	ds_cmpstore_rtn_b64 v[30:31], v29, v[30:31], v[21:22] offset:16384
	s_waitcnt lgkmcnt(0)
	v_cmp_eq_u64_e32 vcc_lo, v[30:31], v[21:22]
	v_dual_mov_b32 v21, v30 :: v_dual_mov_b32 v22, v31
	s_or_b32 s38, vcc_lo, s38
	s_delay_alu instid0(SALU_CYCLE_1)
	s_and_not1_b32 exec_lo, exec_lo, s38
	s_cbranch_execnz .LBB71_23
; %bb.24:                               ;   in Loop: Header=BB71_17 Depth=3
	s_or_b32 exec_lo, exec_lo, s38
	ds_load_b64 v[21:22], v29 offset:16392
	s_mov_b32 s38, 0
.LBB71_25:                              ;   Parent Loop BB71_12 Depth=1
                                        ;     Parent Loop BB71_15 Depth=2
                                        ;       Parent Loop BB71_17 Depth=3
                                        ; =>      This Inner Loop Header: Depth=4
	s_waitcnt lgkmcnt(0)
	v_add_f64 v[30:31], v[21:22], v[19:20]
	ds_cmpstore_rtn_b64 v[30:31], v29, v[30:31], v[21:22] offset:16392
	s_waitcnt lgkmcnt(0)
	v_cmp_eq_u64_e32 vcc_lo, v[30:31], v[21:22]
	v_dual_mov_b32 v21, v30 :: v_dual_mov_b32 v22, v31
	s_or_b32 s38, vcc_lo, s38
	s_delay_alu instid0(SALU_CYCLE_1)
	s_and_not1_b32 exec_lo, exec_lo, s38
	s_cbranch_execnz .LBB71_25
; %bb.26:                               ;   in Loop: Header=BB71_17 Depth=3
	s_or_b32 exec_lo, exec_lo, s38
	s_delay_alu instid0(SALU_CYCLE_1)
	s_xor_b32 s38, exec_lo, -1
.LBB71_27:                              ;   in Loop: Header=BB71_17 Depth=3
	s_or_b32 exec_lo, exec_lo, s37
	s_delay_alu instid0(SALU_CYCLE_1) | instskip(SKIP_1) | instid1(SALU_CYCLE_1)
	s_and_not1_b32 s14, s14, exec_lo
	s_and_b32 s37, s38, exec_lo
	s_or_b32 s14, s14, s37
.LBB71_28:                              ;   in Loop: Header=BB71_17 Depth=3
	s_or_b32 exec_lo, exec_lo, s15
	s_delay_alu instid0(SALU_CYCLE_1)
	s_and_b32 s14, s14, exec_lo
                                        ; implicit-def: $vgpr21
.LBB71_29:                              ;   in Loop: Header=BB71_17 Depth=3
	s_and_not1_saveexec_b32 s13, s13
	s_cbranch_execz .LBB71_16
; %bb.30:                               ;   in Loop: Header=BB71_17 Depth=3
	v_mul_lo_u32 v22, v12, 12
	s_mov_b32 s15, 0
	s_delay_alu instid0(VALU_DEP_1)
	v_add_nc_u32_e32 v29, v21, v22
	ds_load_b64 v[21:22], v29 offset:16384
.LBB71_31:                              ;   Parent Loop BB71_12 Depth=1
                                        ;     Parent Loop BB71_15 Depth=2
                                        ;       Parent Loop BB71_17 Depth=3
                                        ; =>      This Inner Loop Header: Depth=4
	s_waitcnt lgkmcnt(0)
	v_add_f64 v[30:31], v[21:22], v[17:18]
	ds_cmpstore_rtn_b64 v[30:31], v29, v[30:31], v[21:22] offset:16384
	s_waitcnt lgkmcnt(0)
	v_cmp_eq_u64_e32 vcc_lo, v[30:31], v[21:22]
	v_dual_mov_b32 v21, v30 :: v_dual_mov_b32 v22, v31
	s_or_b32 s15, vcc_lo, s15
	s_delay_alu instid0(SALU_CYCLE_1)
	s_and_not1_b32 exec_lo, exec_lo, s15
	s_cbranch_execnz .LBB71_31
; %bb.32:                               ;   in Loop: Header=BB71_17 Depth=3
	s_or_b32 exec_lo, exec_lo, s15
	ds_load_b64 v[21:22], v29 offset:16392
	s_mov_b32 s15, 0
.LBB71_33:                              ;   Parent Loop BB71_12 Depth=1
                                        ;     Parent Loop BB71_15 Depth=2
                                        ;       Parent Loop BB71_17 Depth=3
                                        ; =>      This Inner Loop Header: Depth=4
	s_waitcnt lgkmcnt(0)
	v_add_f64 v[30:31], v[21:22], v[19:20]
	ds_cmpstore_rtn_b64 v[30:31], v29, v[30:31], v[21:22] offset:16392
	s_waitcnt lgkmcnt(0)
	v_cmp_eq_u64_e32 vcc_lo, v[30:31], v[21:22]
	v_dual_mov_b32 v21, v30 :: v_dual_mov_b32 v22, v31
	s_or_b32 s15, vcc_lo, s15
	s_delay_alu instid0(SALU_CYCLE_1)
	s_and_not1_b32 exec_lo, exec_lo, s15
	s_cbranch_execnz .LBB71_33
; %bb.34:                               ;   in Loop: Header=BB71_17 Depth=3
	s_or_b32 exec_lo, exec_lo, s15
	s_delay_alu instid0(SALU_CYCLE_1)
	s_and_not1_b32 s14, s14, exec_lo
	s_branch .LBB71_16
.LBB71_35:
	s_or_b32 exec_lo, exec_lo, s1
.LBB71_36:
	s_delay_alu instid0(SALU_CYCLE_1)
	s_and_not1_b32 vcc_lo, exec_lo, s3
	s_cbranch_vccnz .LBB71_61
; %bb.37:
	s_waitcnt lgkmcnt(0)
	s_ashr_i32 s37, s36, 31
	v_subrev_nc_u32_e32 v5, s27, v0
	s_lshl_b64 s[0:1], s[36:37], 2
	s_delay_alu instid0(SALU_CYCLE_1)
	s_add_u32 s0, s16, s0
	s_addc_u32 s1, s17, s1
	s_load_b64 s[0:1], s[0:1], 0x0
	s_waitcnt lgkmcnt(0)
	v_add_nc_u32_e32 v5, s0, v5
	s_sub_i32 s0, s1, s27
	s_mov_b32 s1, exec_lo
	s_delay_alu instid0(VALU_DEP_1)
	v_cmpx_gt_i32_e64 s0, v5
	s_cbranch_execz .LBB71_60
; %bb.38:
	s_mov_b32 s2, 0
	s_branch .LBB71_40
.LBB71_39:                              ;   in Loop: Header=BB71_40 Depth=1
	s_or_b32 exec_lo, exec_lo, s3
	v_add_nc_u32_e32 v5, 0x400, v5
	s_delay_alu instid0(VALU_DEP_1) | instskip(SKIP_1) | instid1(SALU_CYCLE_1)
	v_cmp_le_i32_e32 vcc_lo, s0, v5
	s_or_b32 s2, vcc_lo, s2
	s_and_not1_b32 exec_lo, exec_lo, s2
	s_cbranch_execz .LBB71_60
.LBB71_40:                              ; =>This Loop Header: Depth=1
                                        ;     Child Loop BB71_42 Depth 2
                                        ;       Child Loop BB71_48 Depth 3
                                        ;       Child Loop BB71_50 Depth 3
	;; [unrolled: 1-line block ×4, first 2 shown]
	v_ashrrev_i32_e32 v6, 31, v5
	s_mov_b32 s3, 0
	s_delay_alu instid0(VALU_DEP_1) | instskip(NEXT) | instid1(VALU_DEP_1)
	v_lshlrev_b64 v[7:8], 4, v[5:6]
	v_add_co_u32 v7, vcc_lo, s20, v7
	s_delay_alu instid0(VALU_DEP_2) | instskip(SKIP_2) | instid1(VALU_DEP_1)
	v_add_co_ci_u32_e32 v8, vcc_lo, s21, v8, vcc_lo
	global_load_b128 v[8:11], v[7:8], off
	v_lshlrev_b64 v[6:7], 2, v[5:6]
	v_add_co_u32 v6, vcc_lo, s18, v6
	s_delay_alu instid0(VALU_DEP_2)
	v_add_co_ci_u32_e32 v7, vcc_lo, s19, v7, vcc_lo
	global_load_b32 v12, v[6:7], off
	s_waitcnt vmcnt(1)
	v_mul_f64 v[6:7], v[10:11], -v[1:2]
	v_mul_f64 v[10:11], v[3:4], v[10:11]
	s_waitcnt vmcnt(0)
	v_subrev_nc_u32_e32 v12, s27, v12
	s_delay_alu instid0(VALU_DEP_3) | instskip(NEXT) | instid1(VALU_DEP_3)
	v_fma_f64 v[6:7], v[3:4], v[8:9], v[6:7]
	v_fma_f64 v[8:9], v[1:2], v[8:9], v[10:11]
	s_delay_alu instid0(VALU_DEP_3) | instskip(NEXT) | instid1(VALU_DEP_1)
	v_mul_lo_u32 v10, 0x89, v12
	v_and_b32_e32 v13, 0xfff, v10
	s_branch .LBB71_42
.LBB71_41:                              ;   in Loop: Header=BB71_42 Depth=2
	s_or_b32 exec_lo, exec_lo, s4
	s_xor_b32 s4, s5, -1
	s_delay_alu instid0(SALU_CYCLE_1) | instskip(NEXT) | instid1(SALU_CYCLE_1)
	s_and_b32 s4, exec_lo, s4
	s_or_b32 s3, s4, s3
	s_delay_alu instid0(SALU_CYCLE_1)
	s_and_not1_b32 exec_lo, exec_lo, s3
	s_cbranch_execz .LBB71_39
.LBB71_42:                              ;   Parent Loop BB71_40 Depth=1
                                        ; =>  This Loop Header: Depth=2
                                        ;       Child Loop BB71_48 Depth 3
                                        ;       Child Loop BB71_50 Depth 3
	;; [unrolled: 1-line block ×4, first 2 shown]
	s_delay_alu instid0(VALU_DEP_1)
	v_lshl_add_u32 v10, v13, 2, 0
	s_mov_b32 s4, exec_lo
                                        ; implicit-def: $sgpr5
	ds_load_b32 v11, v10
	s_waitcnt lgkmcnt(0)
	v_cmpx_ne_u32_e64 v11, v12
	s_xor_b32 s4, exec_lo, s4
	s_cbranch_execz .LBB71_54
; %bb.43:                               ;   in Loop: Header=BB71_42 Depth=2
	s_mov_b32 s6, exec_lo
                                        ; implicit-def: $sgpr5
	v_cmpx_ne_u32_e64 s33, v11
	s_xor_b32 s6, exec_lo, s6
; %bb.44:                               ;   in Loop: Header=BB71_42 Depth=2
	v_add_nc_u32_e32 v10, 1, v13
	s_mov_b32 s5, -1
	s_delay_alu instid0(VALU_DEP_1)
	v_and_b32_e32 v13, 0xfff, v10
                                        ; implicit-def: $vgpr10
; %bb.45:                               ;   in Loop: Header=BB71_42 Depth=2
	s_and_not1_saveexec_b32 s6, s6
	s_cbranch_execz .LBB71_53
; %bb.46:                               ;   in Loop: Header=BB71_42 Depth=2
	v_mov_b32_e32 v11, s33
	s_mov_b32 s8, -1
	s_mov_b32 s7, exec_lo
	ds_cmpstore_rtn_b32 v11, v10, v12, v11
	s_waitcnt lgkmcnt(0)
	v_cmpx_eq_u32_e64 s33, v11
	s_cbranch_execz .LBB71_52
; %bb.47:                               ;   in Loop: Header=BB71_42 Depth=2
	v_mul_lo_u32 v11, v13, 12
	s_mov_b32 s8, 0
	s_delay_alu instid0(VALU_DEP_1)
	v_add_nc_u32_e32 v14, v10, v11
	ds_load_b64 v[10:11], v14 offset:16384
.LBB71_48:                              ;   Parent Loop BB71_40 Depth=1
                                        ;     Parent Loop BB71_42 Depth=2
                                        ; =>    This Inner Loop Header: Depth=3
	s_waitcnt lgkmcnt(0)
	v_add_f64 v[15:16], v[10:11], v[6:7]
	ds_cmpstore_rtn_b64 v[15:16], v14, v[15:16], v[10:11] offset:16384
	s_waitcnt lgkmcnt(0)
	v_cmp_eq_u64_e32 vcc_lo, v[15:16], v[10:11]
	v_dual_mov_b32 v10, v15 :: v_dual_mov_b32 v11, v16
	s_or_b32 s8, vcc_lo, s8
	s_delay_alu instid0(SALU_CYCLE_1)
	s_and_not1_b32 exec_lo, exec_lo, s8
	s_cbranch_execnz .LBB71_48
; %bb.49:                               ;   in Loop: Header=BB71_42 Depth=2
	s_or_b32 exec_lo, exec_lo, s8
	ds_load_b64 v[10:11], v14 offset:16392
	s_mov_b32 s8, 0
.LBB71_50:                              ;   Parent Loop BB71_40 Depth=1
                                        ;     Parent Loop BB71_42 Depth=2
                                        ; =>    This Inner Loop Header: Depth=3
	s_waitcnt lgkmcnt(0)
	v_add_f64 v[15:16], v[10:11], v[8:9]
	ds_cmpstore_rtn_b64 v[15:16], v14, v[15:16], v[10:11] offset:16392
	s_waitcnt lgkmcnt(0)
	v_cmp_eq_u64_e32 vcc_lo, v[15:16], v[10:11]
	v_dual_mov_b32 v10, v15 :: v_dual_mov_b32 v11, v16
	s_or_b32 s8, vcc_lo, s8
	s_delay_alu instid0(SALU_CYCLE_1)
	s_and_not1_b32 exec_lo, exec_lo, s8
	s_cbranch_execnz .LBB71_50
; %bb.51:                               ;   in Loop: Header=BB71_42 Depth=2
	s_or_b32 exec_lo, exec_lo, s8
	s_delay_alu instid0(SALU_CYCLE_1)
	s_xor_b32 s8, exec_lo, -1
.LBB71_52:                              ;   in Loop: Header=BB71_42 Depth=2
	s_or_b32 exec_lo, exec_lo, s7
	s_delay_alu instid0(SALU_CYCLE_1) | instskip(SKIP_1) | instid1(SALU_CYCLE_1)
	s_and_not1_b32 s5, s5, exec_lo
	s_and_b32 s7, s8, exec_lo
	s_or_b32 s5, s5, s7
.LBB71_53:                              ;   in Loop: Header=BB71_42 Depth=2
	s_or_b32 exec_lo, exec_lo, s6
	s_delay_alu instid0(SALU_CYCLE_1)
	s_and_b32 s5, s5, exec_lo
                                        ; implicit-def: $vgpr10
.LBB71_54:                              ;   in Loop: Header=BB71_42 Depth=2
	s_and_not1_saveexec_b32 s4, s4
	s_cbranch_execz .LBB71_41
; %bb.55:                               ;   in Loop: Header=BB71_42 Depth=2
	v_mul_lo_u32 v11, v13, 12
	s_mov_b32 s6, 0
	s_delay_alu instid0(VALU_DEP_1)
	v_add_nc_u32_e32 v14, v10, v11
	ds_load_b64 v[10:11], v14 offset:16384
.LBB71_56:                              ;   Parent Loop BB71_40 Depth=1
                                        ;     Parent Loop BB71_42 Depth=2
                                        ; =>    This Inner Loop Header: Depth=3
	s_waitcnt lgkmcnt(0)
	v_add_f64 v[15:16], v[10:11], v[6:7]
	ds_cmpstore_rtn_b64 v[15:16], v14, v[15:16], v[10:11] offset:16384
	s_waitcnt lgkmcnt(0)
	v_cmp_eq_u64_e32 vcc_lo, v[15:16], v[10:11]
	v_dual_mov_b32 v10, v15 :: v_dual_mov_b32 v11, v16
	s_or_b32 s6, vcc_lo, s6
	s_delay_alu instid0(SALU_CYCLE_1)
	s_and_not1_b32 exec_lo, exec_lo, s6
	s_cbranch_execnz .LBB71_56
; %bb.57:                               ;   in Loop: Header=BB71_42 Depth=2
	s_or_b32 exec_lo, exec_lo, s6
	ds_load_b64 v[10:11], v14 offset:16392
	s_mov_b32 s6, 0
.LBB71_58:                              ;   Parent Loop BB71_40 Depth=1
                                        ;     Parent Loop BB71_42 Depth=2
                                        ; =>    This Inner Loop Header: Depth=3
	s_waitcnt lgkmcnt(0)
	v_add_f64 v[15:16], v[10:11], v[8:9]
	ds_cmpstore_rtn_b64 v[15:16], v14, v[15:16], v[10:11] offset:16392
	s_waitcnt lgkmcnt(0)
	v_cmp_eq_u64_e32 vcc_lo, v[15:16], v[10:11]
	v_dual_mov_b32 v10, v15 :: v_dual_mov_b32 v11, v16
	s_or_b32 s6, vcc_lo, s6
	s_delay_alu instid0(SALU_CYCLE_1)
	s_and_not1_b32 exec_lo, exec_lo, s6
	s_cbranch_execnz .LBB71_58
; %bb.59:                               ;   in Loop: Header=BB71_42 Depth=2
	s_or_b32 exec_lo, exec_lo, s6
	s_delay_alu instid0(SALU_CYCLE_1)
	s_and_not1_b32 s5, s5, exec_lo
	s_branch .LBB71_41
.LBB71_60:
	s_or_b32 exec_lo, exec_lo, s1
.LBB71_61:
	v_mbcnt_lo_u32_b32 v1, -1, 0
	v_lshlrev_b32_e32 v2, 2, v26
	s_add_i32 s31, 0, 0x1403c
	v_cmp_eq_u32_e32 vcc_lo, 0x3ff, v0
	v_cmp_lt_u32_e64 s0, 63, v0
	v_xor_b32_e32 v1, 63, v1
	v_add3_u32 v3, 0, 0x14000, v2
	v_cmp_lt_u32_e64 s1, 0x7f, v0
	v_cmp_lt_u32_e64 s2, 0xbf, v0
	;; [unrolled: 1-line block ×3, first 2 shown]
	v_lshrrev_b64 v[1:2], v1, -1
	v_cmp_lt_u32_e64 s4, 0x13f, v0
	v_cmp_lt_u32_e64 s5, 0x17f, v0
	v_cmp_lt_u32_e64 s6, 0x1bf, v0
	v_cmp_lt_u32_e64 s7, 0x1ff, v0
	v_cmp_lt_u32_e64 s8, 0x23f, v0
	v_cmp_lt_u32_e64 s9, 0x27f, v0
	v_cmp_lt_u32_e64 s10, 0x2bf, v0
	v_cmp_lt_u32_e64 s11, 0x2ff, v0
	v_cmp_lt_u32_e64 s12, 0x33f, v0
	v_cmp_lt_u32_e64 s13, 0x37f, v0
	v_cmp_lt_u32_e64 s14, 0x3bf, v0
	v_mov_b32_e32 v2, 0
	v_mov_b32_e32 v4, s31
	s_mov_b32 s16, 0
	s_add_i32 s17, 0, 0x14000
	s_add_i32 s18, 0, 0x14004
	s_add_i32 s19, 0, 0x14008
	s_add_i32 s20, 0, 0x1400c
	s_add_i32 s21, 0, 0x14010
	s_add_i32 s24, 0, 0x14014
	s_add_i32 s25, 0, 0x14018
	s_add_i32 s27, 0, 0x1401c
	s_add_i32 s28, 0, 0x14020
	s_add_i32 s29, 0, 0x14024
	s_add_i32 s30, 0, 0x14028
	s_add_i32 s37, 0, 0x1402c
	s_add_i32 s38, 0, 0x14030
	s_add_i32 s39, 0, 0x14034
	s_add_i32 s40, 0, 0x14038
	s_waitcnt lgkmcnt(0)
	s_barrier
	buffer_gl0_inv
	s_branch .LBB71_63
.LBB71_62:                              ;   in Loop: Header=BB71_63 Depth=1
	s_or_b32 exec_lo, exec_lo, s15
	s_waitcnt lgkmcnt(0)
	s_barrier
	buffer_gl0_inv
	ds_load_b32 v5, v4
	v_add_nc_u32_e32 v23, 0x400, v23
	v_add_nc_u32_e32 v25, 0x4000, v25
	;; [unrolled: 1-line block ×3, first 2 shown]
	s_delay_alu instid0(VALU_DEP_3) | instskip(NEXT) | instid1(VALU_DEP_1)
	v_cmp_lt_u32_e64 s15, 0xbff, v23
	s_or_b32 s16, s15, s16
	s_waitcnt lgkmcnt(0)
	v_add_nc_u32_e32 v2, v5, v2
	s_and_not1_b32 exec_lo, exec_lo, s16
	s_cbranch_execz .LBB71_97
.LBB71_63:                              ; =>This Inner Loop Header: Depth=1
	ds_load_b32 v5, v24
	ds_load_2addr_b64 v[6:9], v25 offset1:1
	s_waitcnt lgkmcnt(1)
	v_cmp_gt_i32_e64 s15, s33, v5
	s_waitcnt lgkmcnt(0)
	scratch_store_b128 off, v[6:9], off
	s_waitcnt_vscnt null, 0x0
	s_barrier
	buffer_gl0_inv
	s_bcnt1_i32_b32 s41, s15
	s_delay_alu instid0(SALU_CYCLE_1) | instskip(NEXT) | instid1(VALU_DEP_1)
	v_dual_mov_b32 v7, s41 :: v_dual_and_b32 v6, s15, v1
	v_bcnt_u32_b32 v6, v6, 0
	ds_store_b32 v3, v7
	s_waitcnt lgkmcnt(0)
	s_barrier
	buffer_gl0_inv
	s_and_saveexec_b32 s41, s0
	s_cbranch_execnz .LBB71_80
; %bb.64:                               ;   in Loop: Header=BB71_63 Depth=1
	s_or_b32 exec_lo, exec_lo, s41
	s_and_saveexec_b32 s41, s1
	s_cbranch_execnz .LBB71_81
.LBB71_65:                              ;   in Loop: Header=BB71_63 Depth=1
	s_or_b32 exec_lo, exec_lo, s41
	s_and_saveexec_b32 s41, s2
	s_cbranch_execnz .LBB71_82
.LBB71_66:                              ;   in Loop: Header=BB71_63 Depth=1
	s_or_b32 exec_lo, exec_lo, s41
	s_and_saveexec_b32 s41, s3
	s_cbranch_execnz .LBB71_83
.LBB71_67:                              ;   in Loop: Header=BB71_63 Depth=1
	s_or_b32 exec_lo, exec_lo, s41
	s_and_saveexec_b32 s41, s4
	s_cbranch_execnz .LBB71_84
.LBB71_68:                              ;   in Loop: Header=BB71_63 Depth=1
	s_or_b32 exec_lo, exec_lo, s41
	s_and_saveexec_b32 s41, s5
	s_cbranch_execnz .LBB71_85
.LBB71_69:                              ;   in Loop: Header=BB71_63 Depth=1
	s_or_b32 exec_lo, exec_lo, s41
	s_and_saveexec_b32 s41, s6
	s_cbranch_execnz .LBB71_86
.LBB71_70:                              ;   in Loop: Header=BB71_63 Depth=1
	s_or_b32 exec_lo, exec_lo, s41
	s_and_saveexec_b32 s41, s7
	s_cbranch_execnz .LBB71_87
.LBB71_71:                              ;   in Loop: Header=BB71_63 Depth=1
	s_or_b32 exec_lo, exec_lo, s41
	s_and_saveexec_b32 s41, s8
	s_cbranch_execnz .LBB71_88
.LBB71_72:                              ;   in Loop: Header=BB71_63 Depth=1
	s_or_b32 exec_lo, exec_lo, s41
	s_and_saveexec_b32 s41, s9
	s_cbranch_execnz .LBB71_89
.LBB71_73:                              ;   in Loop: Header=BB71_63 Depth=1
	s_or_b32 exec_lo, exec_lo, s41
	s_and_saveexec_b32 s41, s10
	s_cbranch_execnz .LBB71_90
.LBB71_74:                              ;   in Loop: Header=BB71_63 Depth=1
	s_or_b32 exec_lo, exec_lo, s41
	s_and_saveexec_b32 s41, s11
	s_cbranch_execnz .LBB71_91
.LBB71_75:                              ;   in Loop: Header=BB71_63 Depth=1
	s_or_b32 exec_lo, exec_lo, s41
	s_and_saveexec_b32 s41, s12
	s_cbranch_execnz .LBB71_92
.LBB71_76:                              ;   in Loop: Header=BB71_63 Depth=1
	s_or_b32 exec_lo, exec_lo, s41
	s_and_saveexec_b32 s41, s13
	s_cbranch_execnz .LBB71_93
.LBB71_77:                              ;   in Loop: Header=BB71_63 Depth=1
	s_or_b32 exec_lo, exec_lo, s41
	s_and_saveexec_b32 s41, s14
	s_cbranch_execnz .LBB71_94
.LBB71_78:                              ;   in Loop: Header=BB71_63 Depth=1
	s_or_b32 exec_lo, exec_lo, s41
	s_and_saveexec_b32 s41, s15
	s_cbranch_execnz .LBB71_95
.LBB71_79:                              ;   in Loop: Header=BB71_63 Depth=1
	s_or_b32 exec_lo, exec_lo, s41
	s_and_saveexec_b32 s15, vcc_lo
	s_cbranch_execz .LBB71_62
	s_branch .LBB71_96
.LBB71_80:                              ;   in Loop: Header=BB71_63 Depth=1
	v_mov_b32_e32 v7, s17
	ds_load_b32 v7, v7
	s_waitcnt lgkmcnt(0)
	v_add_nc_u32_e32 v6, v7, v6
	s_or_b32 exec_lo, exec_lo, s41
	s_and_saveexec_b32 s41, s1
	s_cbranch_execz .LBB71_65
.LBB71_81:                              ;   in Loop: Header=BB71_63 Depth=1
	v_mov_b32_e32 v7, s18
	ds_load_b32 v7, v7
	s_waitcnt lgkmcnt(0)
	v_add_nc_u32_e32 v6, v7, v6
	s_or_b32 exec_lo, exec_lo, s41
	s_and_saveexec_b32 s41, s2
	s_cbranch_execz .LBB71_66
.LBB71_82:                              ;   in Loop: Header=BB71_63 Depth=1
	v_mov_b32_e32 v7, s19
	ds_load_b32 v7, v7
	s_waitcnt lgkmcnt(0)
	v_add_nc_u32_e32 v6, v7, v6
	s_or_b32 exec_lo, exec_lo, s41
	s_and_saveexec_b32 s41, s3
	s_cbranch_execz .LBB71_67
.LBB71_83:                              ;   in Loop: Header=BB71_63 Depth=1
	v_mov_b32_e32 v7, s20
	ds_load_b32 v7, v7
	s_waitcnt lgkmcnt(0)
	v_add_nc_u32_e32 v6, v7, v6
	s_or_b32 exec_lo, exec_lo, s41
	s_and_saveexec_b32 s41, s4
	s_cbranch_execz .LBB71_68
.LBB71_84:                              ;   in Loop: Header=BB71_63 Depth=1
	v_mov_b32_e32 v7, s21
	ds_load_b32 v7, v7
	s_waitcnt lgkmcnt(0)
	v_add_nc_u32_e32 v6, v7, v6
	s_or_b32 exec_lo, exec_lo, s41
	s_and_saveexec_b32 s41, s5
	s_cbranch_execz .LBB71_69
.LBB71_85:                              ;   in Loop: Header=BB71_63 Depth=1
	v_mov_b32_e32 v7, s24
	ds_load_b32 v7, v7
	s_waitcnt lgkmcnt(0)
	v_add_nc_u32_e32 v6, v7, v6
	s_or_b32 exec_lo, exec_lo, s41
	s_and_saveexec_b32 s41, s6
	s_cbranch_execz .LBB71_70
.LBB71_86:                              ;   in Loop: Header=BB71_63 Depth=1
	v_mov_b32_e32 v7, s25
	ds_load_b32 v7, v7
	s_waitcnt lgkmcnt(0)
	v_add_nc_u32_e32 v6, v7, v6
	s_or_b32 exec_lo, exec_lo, s41
	s_and_saveexec_b32 s41, s7
	s_cbranch_execz .LBB71_71
.LBB71_87:                              ;   in Loop: Header=BB71_63 Depth=1
	v_mov_b32_e32 v7, s27
	ds_load_b32 v7, v7
	s_waitcnt lgkmcnt(0)
	v_add_nc_u32_e32 v6, v7, v6
	s_or_b32 exec_lo, exec_lo, s41
	s_and_saveexec_b32 s41, s8
	s_cbranch_execz .LBB71_72
.LBB71_88:                              ;   in Loop: Header=BB71_63 Depth=1
	v_mov_b32_e32 v7, s28
	ds_load_b32 v7, v7
	s_waitcnt lgkmcnt(0)
	v_add_nc_u32_e32 v6, v7, v6
	s_or_b32 exec_lo, exec_lo, s41
	s_and_saveexec_b32 s41, s9
	s_cbranch_execz .LBB71_73
.LBB71_89:                              ;   in Loop: Header=BB71_63 Depth=1
	v_mov_b32_e32 v7, s29
	ds_load_b32 v7, v7
	s_waitcnt lgkmcnt(0)
	v_add_nc_u32_e32 v6, v7, v6
	s_or_b32 exec_lo, exec_lo, s41
	s_and_saveexec_b32 s41, s10
	s_cbranch_execz .LBB71_74
.LBB71_90:                              ;   in Loop: Header=BB71_63 Depth=1
	v_mov_b32_e32 v7, s30
	ds_load_b32 v7, v7
	s_waitcnt lgkmcnt(0)
	v_add_nc_u32_e32 v6, v7, v6
	s_or_b32 exec_lo, exec_lo, s41
	s_and_saveexec_b32 s41, s11
	s_cbranch_execz .LBB71_75
.LBB71_91:                              ;   in Loop: Header=BB71_63 Depth=1
	v_mov_b32_e32 v7, s37
	ds_load_b32 v7, v7
	s_waitcnt lgkmcnt(0)
	v_add_nc_u32_e32 v6, v7, v6
	s_or_b32 exec_lo, exec_lo, s41
	s_and_saveexec_b32 s41, s12
	s_cbranch_execz .LBB71_76
.LBB71_92:                              ;   in Loop: Header=BB71_63 Depth=1
	v_mov_b32_e32 v7, s38
	ds_load_b32 v7, v7
	s_waitcnt lgkmcnt(0)
	v_add_nc_u32_e32 v6, v7, v6
	s_or_b32 exec_lo, exec_lo, s41
	s_and_saveexec_b32 s41, s13
	s_cbranch_execz .LBB71_77
.LBB71_93:                              ;   in Loop: Header=BB71_63 Depth=1
	v_mov_b32_e32 v7, s39
	ds_load_b32 v7, v7
	s_waitcnt lgkmcnt(0)
	v_add_nc_u32_e32 v6, v7, v6
	s_or_b32 exec_lo, exec_lo, s41
	s_and_saveexec_b32 s41, s14
	s_cbranch_execz .LBB71_78
.LBB71_94:                              ;   in Loop: Header=BB71_63 Depth=1
	v_mov_b32_e32 v7, s40
	ds_load_b32 v7, v7
	s_waitcnt lgkmcnt(0)
	v_add_nc_u32_e32 v6, v7, v6
	s_or_b32 exec_lo, exec_lo, s41
	s_and_saveexec_b32 s41, s15
	s_cbranch_execz .LBB71_79
.LBB71_95:                              ;   in Loop: Header=BB71_63 Depth=1
	scratch_load_b128 v[7:10], off, off
	v_add3_u32 v11, v2, -1, v6
	s_delay_alu instid0(VALU_DEP_1) | instskip(SKIP_1) | instid1(VALU_DEP_2)
	v_lshlrev_b32_e32 v12, 4, v11
	v_lshl_add_u32 v11, v11, 2, 0
	v_add3_u32 v12, 0, v12, 0x4000
	ds_store_b32 v11, v5
	s_waitcnt vmcnt(0)
	ds_store_2addr_b64 v12, v[7:8], v[9:10] offset1:1
	s_or_b32 exec_lo, exec_lo, s41
	s_and_saveexec_b32 s15, vcc_lo
	s_cbranch_execz .LBB71_62
.LBB71_96:                              ;   in Loop: Header=BB71_63 Depth=1
	v_mov_b32_e32 v5, s31
	ds_store_b32 v5, v6
	s_branch .LBB71_62
.LBB71_97:
	s_or_b32 exec_lo, exec_lo, s16
	s_ashr_i32 s37, s36, 31
	s_mov_b32 s3, exec_lo
	s_lshl_b64 s[0:1], s[36:37], 2
	s_delay_alu instid0(SALU_CYCLE_1) | instskip(SKIP_4) | instid1(SALU_CYCLE_1)
	s_add_u32 s0, s22, s0
	s_addc_u32 s1, s23, s1
	s_load_b64 s[0:1], s[0:1], 0x0
	s_waitcnt lgkmcnt(0)
	s_sub_i32 s2, s1, s0
	v_cmpx_gt_i32_e64 s2, v0
	s_cbranch_execz .LBB71_107
; %bb.98:
	s_sub_i32 s3, s0, s26
	s_sub_i32 s0, s0, s1
	s_and_b32 s1, s2, 7
	s_cmp_lt_u32 s0, -7
	s_mov_b32 s7, 0
	s_cselect_b32 s4, -1, 0
	s_and_b32 s5, s2, -8
	s_cmp_lg_u32 s1, 0
	s_cselect_b32 s6, -1, 0
	s_branch .LBB71_100
.LBB71_99:                              ;   in Loop: Header=BB71_100 Depth=1
	s_waitcnt lgkmcnt(0)
	v_mul_lo_u32 v3, v0, 12
	v_add_nc_u32_e32 v0, 0x400, v0
	s_delay_alu instid0(VALU_DEP_1) | instskip(NEXT) | instid1(VALU_DEP_3)
	v_cmp_le_i32_e32 vcc_lo, s2, v0
	v_add3_u32 v2, v2, v3, 0x4000
	s_or_b32 s7, vcc_lo, s7
	ds_load_2addr_b64 v[3:6], v2 offset1:1
	v_ashrrev_i32_e32 v2, 31, v1
	s_delay_alu instid0(VALU_DEP_1) | instskip(NEXT) | instid1(VALU_DEP_1)
	v_lshlrev_b64 v[1:2], 4, v[1:2]
	v_add_co_u32 v1, s0, s34, v1
	s_delay_alu instid0(VALU_DEP_1)
	v_add_co_ci_u32_e64 v2, s0, s35, v2, s0
	s_waitcnt lgkmcnt(0)
	global_store_b128 v[1:2], v[3:6], off
	s_and_not1_b32 exec_lo, exec_lo, s7
	s_cbranch_execz .LBB71_107
.LBB71_100:                             ; =>This Loop Header: Depth=1
                                        ;     Child Loop BB71_102 Depth 2
                                        ;     Child Loop BB71_106 Depth 2
	v_lshl_add_u32 v2, v0, 2, 0
	v_mov_b32_e32 v1, s3
	s_and_not1_b32 vcc_lo, exec_lo, s4
	s_mov_b32 s0, 0
	ds_load_b32 v3, v2
	s_cbranch_vccnz .LBB71_104
; %bb.101:                              ;   in Loop: Header=BB71_100 Depth=1
	v_mov_b32_e32 v1, s3
	s_mov_b32 s8, 0
	s_set_inst_prefetch_distance 0x1
	.p2align	6
.LBB71_102:                             ;   Parent Loop BB71_100 Depth=1
                                        ; =>  This Inner Loop Header: Depth=2
	v_mov_b32_e32 v10, s8
	s_add_i32 s0, s0, 8
	s_add_i32 s8, s8, 32
	s_cmp_eq_u32 s5, s0
	ds_load_2addr_b32 v[4:5], v10 offset1:1
	ds_load_2addr_b32 v[6:7], v10 offset0:2 offset1:3
	ds_load_2addr_b32 v[8:9], v10 offset0:4 offset1:5
	;; [unrolled: 1-line block ×3, first 2 shown]
	s_waitcnt lgkmcnt(3)
	v_cmp_gt_i32_e32 vcc_lo, v3, v4
	v_cndmask_b32_e64 v4, 0, 1, vcc_lo
	s_waitcnt lgkmcnt(2)
	v_cmp_gt_i32_e32 vcc_lo, v3, v6
	v_cndmask_b32_e64 v6, 0, 1, vcc_lo
	v_cmp_gt_i32_e32 vcc_lo, v3, v5
	v_add_co_ci_u32_e32 v1, vcc_lo, v1, v4, vcc_lo
	s_waitcnt lgkmcnt(1)
	v_cmp_gt_i32_e32 vcc_lo, v3, v8
	v_cndmask_b32_e64 v4, 0, 1, vcc_lo
	v_cmp_gt_i32_e32 vcc_lo, v3, v7
	v_add_co_ci_u32_e32 v1, vcc_lo, v1, v6, vcc_lo
	;; [unrolled: 5-line block ×3, first 2 shown]
	v_cmp_gt_i32_e32 vcc_lo, v3, v11
	s_delay_alu instid0(VALU_DEP_2)
	v_add_co_ci_u32_e32 v1, vcc_lo, v1, v5, vcc_lo
	s_cbranch_scc0 .LBB71_102
; %bb.103:                              ;   in Loop: Header=BB71_100 Depth=1
	s_set_inst_prefetch_distance 0x2
	s_mov_b32 s0, s5
.LBB71_104:                             ;   in Loop: Header=BB71_100 Depth=1
	s_and_not1_b32 vcc_lo, exec_lo, s6
	s_cbranch_vccnz .LBB71_99
; %bb.105:                              ;   in Loop: Header=BB71_100 Depth=1
	s_lshl_b32 s0, s0, 2
	s_mov_b32 s8, s1
	s_add_i32 s0, s0, 0
.LBB71_106:                             ;   Parent Loop BB71_100 Depth=1
                                        ; =>  This Inner Loop Header: Depth=2
	s_delay_alu instid0(SALU_CYCLE_1)
	v_mov_b32_e32 v4, s0
	s_add_i32 s8, s8, -1
	s_add_i32 s0, s0, 4
	s_cmp_lg_u32 s8, 0
	ds_load_b32 v4, v4
	s_waitcnt lgkmcnt(0)
	v_cmp_gt_i32_e32 vcc_lo, v3, v4
	v_add_co_ci_u32_e32 v1, vcc_lo, 0, v1, vcc_lo
	s_cbranch_scc1 .LBB71_106
	s_branch .LBB71_99
.LBB71_107:
	s_nop 0
	s_sendmsg sendmsg(MSG_DEALLOC_VGPRS)
	s_endpgm
	.section	.rodata,"a",@progbits
	.p2align	6, 0x0
	.amdhsa_kernel _ZN9rocsparseL41csrgemm_numeric_fill_block_per_row_kernelILj1024ELj64ELj4096ELj137ELj64Eii21rocsparse_complex_numIdEEEvT5_PKS3_S5_NS_24const_host_device_scalarIT6_EEPKT4_S5_PKS7_SB_S5_SD_S8_SB_S5_SD_SB_S5_PS7_21rocsparse_index_base_SF_SF_SF_bbb
		.amdhsa_group_segment_fixed_size 0
		.amdhsa_private_segment_fixed_size 40
		.amdhsa_kernarg_size 172
		.amdhsa_user_sgpr_count 15
		.amdhsa_user_sgpr_dispatch_ptr 0
		.amdhsa_user_sgpr_queue_ptr 0
		.amdhsa_user_sgpr_kernarg_segment_ptr 1
		.amdhsa_user_sgpr_dispatch_id 0
		.amdhsa_user_sgpr_private_segment_size 0
		.amdhsa_wavefront_size32 1
		.amdhsa_uses_dynamic_stack 0
		.amdhsa_enable_private_segment 1
		.amdhsa_system_sgpr_workgroup_id_x 1
		.amdhsa_system_sgpr_workgroup_id_y 0
		.amdhsa_system_sgpr_workgroup_id_z 0
		.amdhsa_system_sgpr_workgroup_info 0
		.amdhsa_system_vgpr_workitem_id 0
		.amdhsa_next_free_vgpr 32
		.amdhsa_next_free_sgpr 46
		.amdhsa_reserve_vcc 1
		.amdhsa_float_round_mode_32 0
		.amdhsa_float_round_mode_16_64 0
		.amdhsa_float_denorm_mode_32 3
		.amdhsa_float_denorm_mode_16_64 3
		.amdhsa_dx10_clamp 1
		.amdhsa_ieee_mode 1
		.amdhsa_fp16_overflow 0
		.amdhsa_workgroup_processor_mode 1
		.amdhsa_memory_ordered 1
		.amdhsa_forward_progress 0
		.amdhsa_shared_vgpr_count 0
		.amdhsa_exception_fp_ieee_invalid_op 0
		.amdhsa_exception_fp_denorm_src 0
		.amdhsa_exception_fp_ieee_div_zero 0
		.amdhsa_exception_fp_ieee_overflow 0
		.amdhsa_exception_fp_ieee_underflow 0
		.amdhsa_exception_fp_ieee_inexact 0
		.amdhsa_exception_int_div_zero 0
	.end_amdhsa_kernel
	.section	.text._ZN9rocsparseL41csrgemm_numeric_fill_block_per_row_kernelILj1024ELj64ELj4096ELj137ELj64Eii21rocsparse_complex_numIdEEEvT5_PKS3_S5_NS_24const_host_device_scalarIT6_EEPKT4_S5_PKS7_SB_S5_SD_S8_SB_S5_SD_SB_S5_PS7_21rocsparse_index_base_SF_SF_SF_bbb,"axG",@progbits,_ZN9rocsparseL41csrgemm_numeric_fill_block_per_row_kernelILj1024ELj64ELj4096ELj137ELj64Eii21rocsparse_complex_numIdEEEvT5_PKS3_S5_NS_24const_host_device_scalarIT6_EEPKT4_S5_PKS7_SB_S5_SD_S8_SB_S5_SD_SB_S5_PS7_21rocsparse_index_base_SF_SF_SF_bbb,comdat
.Lfunc_end71:
	.size	_ZN9rocsparseL41csrgemm_numeric_fill_block_per_row_kernelILj1024ELj64ELj4096ELj137ELj64Eii21rocsparse_complex_numIdEEEvT5_PKS3_S5_NS_24const_host_device_scalarIT6_EEPKT4_S5_PKS7_SB_S5_SD_S8_SB_S5_SD_SB_S5_PS7_21rocsparse_index_base_SF_SF_SF_bbb, .Lfunc_end71-_ZN9rocsparseL41csrgemm_numeric_fill_block_per_row_kernelILj1024ELj64ELj4096ELj137ELj64Eii21rocsparse_complex_numIdEEEvT5_PKS3_S5_NS_24const_host_device_scalarIT6_EEPKT4_S5_PKS7_SB_S5_SD_S8_SB_S5_SD_SB_S5_PS7_21rocsparse_index_base_SF_SF_SF_bbb
                                        ; -- End function
	.section	.AMDGPU.csdata,"",@progbits
; Kernel info:
; codeLenInByte = 4252
; NumSgprs: 48
; NumVgprs: 32
; ScratchSize: 40
; MemoryBound: 0
; FloatMode: 240
; IeeeMode: 1
; LDSByteSize: 0 bytes/workgroup (compile time only)
; SGPRBlocks: 5
; VGPRBlocks: 3
; NumSGPRsForWavesPerEU: 48
; NumVGPRsForWavesPerEU: 32
; Occupancy: 16
; WaveLimiterHint : 1
; COMPUTE_PGM_RSRC2:SCRATCH_EN: 1
; COMPUTE_PGM_RSRC2:USER_SGPR: 15
; COMPUTE_PGM_RSRC2:TRAP_HANDLER: 0
; COMPUTE_PGM_RSRC2:TGID_X_EN: 1
; COMPUTE_PGM_RSRC2:TGID_Y_EN: 0
; COMPUTE_PGM_RSRC2:TGID_Z_EN: 0
; COMPUTE_PGM_RSRC2:TIDIG_COMP_CNT: 0
	.section	.text._ZN9rocsparseL41csrgemm_numeric_fill_block_per_row_kernelILj1024ELj64ELj8192ELj137ELj32Eii21rocsparse_complex_numIdEEEvT5_PKS3_S5_NS_24const_host_device_scalarIT6_EEPKT4_S5_PKS7_SB_S5_SD_S8_SB_S5_SD_SB_S5_PS7_21rocsparse_index_base_SF_SF_SF_bbb,"axG",@progbits,_ZN9rocsparseL41csrgemm_numeric_fill_block_per_row_kernelILj1024ELj64ELj8192ELj137ELj32Eii21rocsparse_complex_numIdEEEvT5_PKS3_S5_NS_24const_host_device_scalarIT6_EEPKT4_S5_PKS7_SB_S5_SD_S8_SB_S5_SD_SB_S5_PS7_21rocsparse_index_base_SF_SF_SF_bbb,comdat
	.globl	_ZN9rocsparseL41csrgemm_numeric_fill_block_per_row_kernelILj1024ELj64ELj8192ELj137ELj32Eii21rocsparse_complex_numIdEEEvT5_PKS3_S5_NS_24const_host_device_scalarIT6_EEPKT4_S5_PKS7_SB_S5_SD_S8_SB_S5_SD_SB_S5_PS7_21rocsparse_index_base_SF_SF_SF_bbb ; -- Begin function _ZN9rocsparseL41csrgemm_numeric_fill_block_per_row_kernelILj1024ELj64ELj8192ELj137ELj32Eii21rocsparse_complex_numIdEEEvT5_PKS3_S5_NS_24const_host_device_scalarIT6_EEPKT4_S5_PKS7_SB_S5_SD_S8_SB_S5_SD_SB_S5_PS7_21rocsparse_index_base_SF_SF_SF_bbb
	.p2align	8
	.type	_ZN9rocsparseL41csrgemm_numeric_fill_block_per_row_kernelILj1024ELj64ELj8192ELj137ELj32Eii21rocsparse_complex_numIdEEEvT5_PKS3_S5_NS_24const_host_device_scalarIT6_EEPKT4_S5_PKS7_SB_S5_SD_S8_SB_S5_SD_SB_S5_PS7_21rocsparse_index_base_SF_SF_SF_bbb,@function
_ZN9rocsparseL41csrgemm_numeric_fill_block_per_row_kernelILj1024ELj64ELj8192ELj137ELj32Eii21rocsparse_complex_numIdEEEvT5_PKS3_S5_NS_24const_host_device_scalarIT6_EEPKT4_S5_PKS7_SB_S5_SD_S8_SB_S5_SD_SB_S5_PS7_21rocsparse_index_base_SF_SF_SF_bbb: ; @_ZN9rocsparseL41csrgemm_numeric_fill_block_per_row_kernelILj1024ELj64ELj8192ELj137ELj32Eii21rocsparse_complex_numIdEEEvT5_PKS3_S5_NS_24const_host_device_scalarIT6_EEPKT4_S5_PKS7_SB_S5_SD_S8_SB_S5_SD_SB_S5_PS7_21rocsparse_index_base_SF_SF_SF_bbb
; %bb.0:
	s_clause 0x3
	s_load_b32 s14, s[0:1], 0xa8
	s_load_b256 s[4:11], s[0:1], 0x8
	s_load_b128 s[16:19], s[0:1], 0x58
	s_load_b128 s[36:39], s[0:1], 0x98
	v_mov_b32_e32 v1, 0
	v_mov_b32_e32 v2, 0
	s_waitcnt lgkmcnt(0)
	s_bitcmp1_b32 s14, 0
	v_mov_b32_e32 v3, s8
	s_cselect_b32 s3, -1, 0
	s_bitcmp1_b32 s14, 16
	v_dual_mov_b32 v6, v2 :: v_dual_mov_b32 v5, v1
	s_cselect_b32 s2, -1, 0
	v_mov_b32_e32 v4, s9
	s_xor_b32 s13, s2, -1
	v_dual_mov_b32 v9, s16 :: v_dual_mov_b32 v10, s17
	v_cndmask_b32_e64 v7, 0, 1, s13
	s_bitcmp0_b32 s14, 0
	s_clause 0x1
	scratch_store_b64 off, v[3:4], off offset:16
	scratch_store_b64 off, v[9:10], off offset:24
	v_cmp_ne_u32_e32 vcc_lo, 1, v7
	v_dual_mov_b32 v8, v2 :: v_dual_mov_b32 v7, v1
	s_cbranch_scc1 .LBB72_3
; %bb.1:
	s_mov_b64 s[20:21], src_private_base
	s_and_b32 s12, s2, exec_lo
	s_cselect_b32 s12, s21, s9
	s_delay_alu instid0(SALU_CYCLE_1) | instskip(SKIP_2) | instid1(VALU_DEP_2)
	v_dual_mov_b32 v3, 16 :: v_dual_mov_b32 v4, s12
	v_dual_mov_b32 v7, s10 :: v_dual_mov_b32 v8, s11
	s_and_b32 vcc_lo, exec_lo, vcc_lo
	v_cndmask_b32_e64 v3, s8, v3, s2
	flat_load_b64 v[5:6], v[3:4]
	s_cbranch_vccnz .LBB72_3
; %bb.2:
	v_dual_mov_b32 v3, s8 :: v_dual_mov_b32 v4, s9
	flat_load_b64 v[7:8], v[3:4] offset:8
.LBB72_3:
	s_bitcmp1_b32 s14, 8
	v_dual_mov_b32 v4, v2 :: v_dual_mov_b32 v3, v1
	s_cselect_b32 s12, -1, 0
	s_bfe_u32 s8, s14, 0x10008
	s_delay_alu instid0(SALU_CYCLE_1)
	s_cmp_eq_u32 s8, 0
	s_cbranch_scc1 .LBB72_6
; %bb.4:
	s_mov_b64 s[8:9], src_private_base
	s_and_b32 s8, s2, exec_lo
	s_cselect_b32 s8, s9, s17
	s_delay_alu instid0(SALU_CYCLE_1) | instskip(SKIP_1) | instid1(VALU_DEP_1)
	v_dual_mov_b32 v1, 24 :: v_dual_mov_b32 v2, s8
	s_and_not1_b32 vcc_lo, exec_lo, s13
	v_cndmask_b32_e64 v1, s16, v1, s2
	flat_load_b64 v[3:4], v[1:2]
	v_dual_mov_b32 v1, s18 :: v_dual_mov_b32 v2, s19
	s_cbranch_vccnz .LBB72_6
; %bb.5:
	v_dual_mov_b32 v1, s16 :: v_dual_mov_b32 v2, s17
	flat_load_b64 v[1:2], v[1:2] offset:8
.LBB72_6:
	s_load_b32 s33, s[0:1], 0x0
	s_mov_b32 s8, 0
	v_lshl_add_u32 v23, v0, 2, 0
	s_mov_b32 s9, s8
	v_lshlrev_b32_e32 v24, 4, v0
	s_mov_b32 s10, s8
	s_mov_b32 s11, s8
	v_dual_mov_b32 v10, s9 :: v_dual_mov_b32 v9, s8
	s_delay_alu instid0(VALU_DEP_2) | instskip(SKIP_2) | instid1(VALU_DEP_3)
	v_add3_u32 v14, 0, 0x8000, v24
	v_mad_u32_u24 v13, v0, 12, v23
	v_dual_mov_b32 v12, s11 :: v_dual_mov_b32 v11, s10
	v_add_nc_u32_e32 v17, 0x8000, v14
	s_delay_alu instid0(VALU_DEP_3)
	v_add_nc_u32_e32 v15, 0x8000, v13
	v_mad_i32_i24 v13, v0, -12, v13
	s_waitcnt lgkmcnt(0)
	v_dual_mov_b32 v19, s33 :: v_dual_add_nc_u32 v16, 0x4000, v14
	v_mov_b32_e32 v18, s33
	v_dual_mov_b32 v20, s33 :: v_dual_mov_b32 v21, s33
	v_dual_mov_b32 v22, s33 :: v_dual_mov_b32 v25, s33
	ds_store_b32 v23, v18
	ds_store_2addr_b64 v15, v[9:10], v[11:12] offset1:1
	ds_store_2addr_stride64_b32 v13, v19, v20 offset0:16 offset1:32
	ds_store_2addr_b64 v16, v[9:10], v[11:12] offset1:1
	ds_store_2addr_b64 v17, v[9:10], v[11:12] offset1:1
	v_add_nc_u32_e32 v15, 0xc000, v14
	v_dual_mov_b32 v17, s33 :: v_dual_add_nc_u32 v16, 0x10000, v14
	v_add_nc_u32_e32 v18, 0x14000, v14
	v_add_nc_u32_e32 v20, 0x18000, v14
	;; [unrolled: 1-line block ×3, first 2 shown]
	ds_store_2addr_stride64_b32 v13, v21, v22 offset0:48 offset1:64
	ds_store_2addr_b64 v15, v[9:10], v[11:12] offset1:1
	ds_store_2addr_b64 v16, v[9:10], v[11:12] offset1:1
	ds_store_2addr_stride64_b32 v13, v17, v19 offset0:80 offset1:96
	ds_store_2addr_b64 v18, v[9:10], v[11:12] offset1:1
	ds_store_2addr_b64 v20, v[9:10], v[11:12] offset1:1
	ds_store_b32 v13, v25 offset:28672
	ds_store_2addr_b64 v14, v[9:10], v[11:12] offset1:1
	s_waitcnt vmcnt(0) lgkmcnt(0)
	s_waitcnt_vscnt null, 0x0
	s_barrier
	buffer_gl0_inv
	s_load_b32 s2, s[4:5], 0x0
	s_mov_b32 s5, s8
	s_waitcnt lgkmcnt(0)
	s_add_i32 s4, s2, s15
	s_delay_alu instid0(SALU_CYCLE_1) | instskip(NEXT) | instid1(SALU_CYCLE_1)
	s_lshl_b64 s[4:5], s[4:5], 2
	s_add_u32 s4, s6, s4
	s_addc_u32 s5, s7, s5
	s_and_not1_b32 vcc_lo, exec_lo, s3
	s_load_b32 s34, s[4:5], 0x0
	s_cbranch_vccnz .LBB72_34
; %bb.7:
	s_load_b64 s[2:3], s[0:1], 0x28
	s_waitcnt lgkmcnt(0)
	s_ashr_i32 s35, s34, 31
	v_lshrrev_b32_e32 v9, 6, v0
	s_lshl_b64 s[4:5], s[34:35], 2
	s_mov_b32 s14, exec_lo
	s_delay_alu instid0(VALU_DEP_1)
	v_subrev_nc_u32_e32 v9, s36, v9
	s_add_u32 s2, s2, s4
	s_addc_u32 s3, s3, s5
	s_load_b64 s[2:3], s[2:3], 0x0
	s_waitcnt lgkmcnt(0)
	v_add_nc_u32_e32 v9, s2, v9
	s_sub_i32 s13, s3, s36
	s_delay_alu instid0(VALU_DEP_1) | instid1(SALU_CYCLE_1)
	v_cmpx_gt_i32_e64 s13, v9
	s_cbranch_execz .LBB72_33
; %bb.8:
	s_clause 0x1
	s_load_b64 s[2:3], s[0:1], 0x50
	s_load_b256 s[4:11], s[0:1], 0x30
	v_and_b32_e32 v10, 63, v0
	s_mov_b32 s15, 0
	s_delay_alu instid0(VALU_DEP_1)
	v_subrev_nc_u32_e32 v25, s37, v10
	s_branch .LBB72_10
.LBB72_9:                               ;   in Loop: Header=BB72_10 Depth=1
	s_or_b32 exec_lo, exec_lo, s16
	v_add_nc_u32_e32 v9, 16, v9
	s_delay_alu instid0(VALU_DEP_1) | instskip(SKIP_1) | instid1(SALU_CYCLE_1)
	v_cmp_le_i32_e32 vcc_lo, s13, v9
	s_or_b32 s15, vcc_lo, s15
	s_and_not1_b32 exec_lo, exec_lo, s15
	s_cbranch_execz .LBB72_33
.LBB72_10:                              ; =>This Loop Header: Depth=1
                                        ;     Child Loop BB72_13 Depth 2
                                        ;       Child Loop BB72_15 Depth 3
                                        ;         Child Loop BB72_21 Depth 4
                                        ;         Child Loop BB72_23 Depth 4
	;; [unrolled: 1-line block ×4, first 2 shown]
	v_ashrrev_i32_e32 v10, 31, v9
	s_mov_b32 s16, exec_lo
	s_delay_alu instid0(VALU_DEP_1) | instskip(SKIP_1) | instid1(VALU_DEP_1)
	v_lshlrev_b64 v[11:12], 2, v[9:10]
	s_waitcnt lgkmcnt(0)
	v_add_co_u32 v11, vcc_lo, s4, v11
	s_delay_alu instid0(VALU_DEP_2) | instskip(SKIP_3) | instid1(VALU_DEP_1)
	v_add_co_ci_u32_e32 v12, vcc_lo, s5, v12, vcc_lo
	global_load_b32 v11, v[11:12], off
	s_waitcnt vmcnt(0)
	v_subrev_nc_u32_e32 v11, s36, v11
	v_ashrrev_i32_e32 v12, 31, v11
	s_delay_alu instid0(VALU_DEP_1) | instskip(NEXT) | instid1(VALU_DEP_1)
	v_lshlrev_b64 v[11:12], 2, v[11:12]
	v_add_co_u32 v11, vcc_lo, s8, v11
	s_delay_alu instid0(VALU_DEP_2) | instskip(SKIP_4) | instid1(VALU_DEP_1)
	v_add_co_ci_u32_e32 v12, vcc_lo, s9, v12, vcc_lo
	global_load_b64 v[11:12], v[11:12], off
	s_waitcnt vmcnt(0)
	v_subrev_nc_u32_e32 v26, s37, v12
	v_add_nc_u32_e32 v11, v11, v25
	v_cmpx_lt_i32_e64 v11, v26
	s_cbranch_execz .LBB72_9
; %bb.11:                               ;   in Loop: Header=BB72_10 Depth=1
	v_lshlrev_b64 v[12:13], 4, v[9:10]
	s_mov_b32 s17, 0
	s_delay_alu instid0(VALU_DEP_1) | instskip(NEXT) | instid1(VALU_DEP_2)
	v_add_co_u32 v12, vcc_lo, s6, v12
	v_add_co_ci_u32_e32 v13, vcc_lo, s7, v13, vcc_lo
	global_load_b128 v[15:18], v[12:13], off
	s_waitcnt vmcnt(0)
	v_mul_f64 v[12:13], v[17:18], -v[7:8]
	v_mul_f64 v[17:18], v[5:6], v[17:18]
	s_delay_alu instid0(VALU_DEP_2) | instskip(NEXT) | instid1(VALU_DEP_2)
	v_fma_f64 v[13:14], v[5:6], v[15:16], v[12:13]
	v_fma_f64 v[15:16], v[7:8], v[15:16], v[17:18]
	s_branch .LBB72_13
.LBB72_12:                              ;   in Loop: Header=BB72_13 Depth=2
	s_or_b32 exec_lo, exec_lo, s18
	v_add_nc_u32_e32 v11, 64, v11
	s_delay_alu instid0(VALU_DEP_1) | instskip(SKIP_1) | instid1(SALU_CYCLE_1)
	v_cmp_ge_i32_e32 vcc_lo, v11, v26
	s_or_b32 s17, vcc_lo, s17
	s_and_not1_b32 exec_lo, exec_lo, s17
	s_cbranch_execz .LBB72_9
.LBB72_13:                              ;   Parent Loop BB72_10 Depth=1
                                        ; =>  This Loop Header: Depth=2
                                        ;       Child Loop BB72_15 Depth 3
                                        ;         Child Loop BB72_21 Depth 4
                                        ;         Child Loop BB72_23 Depth 4
	;; [unrolled: 1-line block ×4, first 2 shown]
	v_ashrrev_i32_e32 v12, 31, v11
	s_mov_b32 s18, 0
	s_delay_alu instid0(VALU_DEP_1) | instskip(NEXT) | instid1(VALU_DEP_1)
	v_lshlrev_b64 v[17:18], 4, v[11:12]
	v_add_co_u32 v17, vcc_lo, s2, v17
	s_delay_alu instid0(VALU_DEP_2) | instskip(SKIP_2) | instid1(VALU_DEP_1)
	v_add_co_ci_u32_e32 v18, vcc_lo, s3, v18, vcc_lo
	global_load_b128 v[19:22], v[17:18], off
	v_lshlrev_b64 v[17:18], 2, v[11:12]
	v_add_co_u32 v17, vcc_lo, s10, v17
	s_delay_alu instid0(VALU_DEP_2)
	v_add_co_ci_u32_e32 v18, vcc_lo, s11, v18, vcc_lo
	global_load_b32 v10, v[17:18], off
	s_waitcnt vmcnt(1)
	v_mul_f64 v[17:18], v[21:22], -v[15:16]
	v_mul_f64 v[21:22], v[13:14], v[21:22]
	s_waitcnt vmcnt(0)
	v_subrev_nc_u32_e32 v10, s37, v10
	s_delay_alu instid0(VALU_DEP_1) | instskip(NEXT) | instid1(VALU_DEP_1)
	v_mul_lo_u32 v12, 0x89, v10
	v_and_b32_e32 v12, 0x1fff, v12
	v_fma_f64 v[17:18], v[13:14], v[19:20], v[17:18]
	v_fma_f64 v[19:20], v[15:16], v[19:20], v[21:22]
	s_branch .LBB72_15
.LBB72_14:                              ;   in Loop: Header=BB72_15 Depth=3
	s_or_b32 exec_lo, exec_lo, s19
	s_xor_b32 s19, s20, -1
	s_delay_alu instid0(SALU_CYCLE_1) | instskip(NEXT) | instid1(SALU_CYCLE_1)
	s_and_b32 s19, exec_lo, s19
	s_or_b32 s18, s19, s18
	s_delay_alu instid0(SALU_CYCLE_1)
	s_and_not1_b32 exec_lo, exec_lo, s18
	s_cbranch_execz .LBB72_12
.LBB72_15:                              ;   Parent Loop BB72_10 Depth=1
                                        ;     Parent Loop BB72_13 Depth=2
                                        ; =>    This Loop Header: Depth=3
                                        ;         Child Loop BB72_21 Depth 4
                                        ;         Child Loop BB72_23 Depth 4
	;; [unrolled: 1-line block ×4, first 2 shown]
	s_delay_alu instid0(VALU_DEP_3)
	v_lshl_add_u32 v21, v12, 2, 0
	s_mov_b32 s19, exec_lo
                                        ; implicit-def: $sgpr20
	ds_load_b32 v22, v21
	s_waitcnt lgkmcnt(0)
	v_cmpx_ne_u32_e64 v22, v10
	s_xor_b32 s19, exec_lo, s19
	s_cbranch_execz .LBB72_27
; %bb.16:                               ;   in Loop: Header=BB72_15 Depth=3
	s_mov_b32 s21, exec_lo
                                        ; implicit-def: $sgpr20
	v_cmpx_ne_u32_e64 s33, v22
	s_xor_b32 s21, exec_lo, s21
; %bb.17:                               ;   in Loop: Header=BB72_15 Depth=3
	v_add_nc_u32_e32 v12, 1, v12
	s_mov_b32 s20, -1
                                        ; implicit-def: $vgpr21
	s_delay_alu instid0(VALU_DEP_1)
	v_and_b32_e32 v12, 0x1fff, v12
; %bb.18:                               ;   in Loop: Header=BB72_15 Depth=3
	s_and_not1_saveexec_b32 s21, s21
	s_cbranch_execz .LBB72_26
; %bb.19:                               ;   in Loop: Header=BB72_15 Depth=3
	v_mov_b32_e32 v22, s33
	s_mov_b32 s23, -1
	s_mov_b32 s22, exec_lo
	ds_cmpstore_rtn_b32 v22, v21, v10, v22
	s_waitcnt lgkmcnt(0)
	v_cmpx_eq_u32_e64 s33, v22
	s_cbranch_execz .LBB72_25
; %bb.20:                               ;   in Loop: Header=BB72_15 Depth=3
	v_mul_lo_u32 v22, v12, 12
	s_mov_b32 s23, 0
	s_delay_alu instid0(VALU_DEP_1)
	v_add_nc_u32_e32 v27, v21, v22
	ds_load_b64 v[21:22], v27 offset:32768
.LBB72_21:                              ;   Parent Loop BB72_10 Depth=1
                                        ;     Parent Loop BB72_13 Depth=2
                                        ;       Parent Loop BB72_15 Depth=3
                                        ; =>      This Inner Loop Header: Depth=4
	s_waitcnt lgkmcnt(0)
	v_add_f64 v[28:29], v[21:22], v[17:18]
	ds_cmpstore_rtn_b64 v[28:29], v27, v[28:29], v[21:22] offset:32768
	s_waitcnt lgkmcnt(0)
	v_cmp_eq_u64_e32 vcc_lo, v[28:29], v[21:22]
	v_dual_mov_b32 v21, v28 :: v_dual_mov_b32 v22, v29
	s_or_b32 s23, vcc_lo, s23
	s_delay_alu instid0(SALU_CYCLE_1)
	s_and_not1_b32 exec_lo, exec_lo, s23
	s_cbranch_execnz .LBB72_21
; %bb.22:                               ;   in Loop: Header=BB72_15 Depth=3
	s_or_b32 exec_lo, exec_lo, s23
	ds_load_b64 v[21:22], v27 offset:32776
	s_mov_b32 s23, 0
.LBB72_23:                              ;   Parent Loop BB72_10 Depth=1
                                        ;     Parent Loop BB72_13 Depth=2
                                        ;       Parent Loop BB72_15 Depth=3
                                        ; =>      This Inner Loop Header: Depth=4
	s_waitcnt lgkmcnt(0)
	v_add_f64 v[28:29], v[21:22], v[19:20]
	ds_cmpstore_rtn_b64 v[28:29], v27, v[28:29], v[21:22] offset:32776
	s_waitcnt lgkmcnt(0)
	v_cmp_eq_u64_e32 vcc_lo, v[28:29], v[21:22]
	v_dual_mov_b32 v21, v28 :: v_dual_mov_b32 v22, v29
	s_or_b32 s23, vcc_lo, s23
	s_delay_alu instid0(SALU_CYCLE_1)
	s_and_not1_b32 exec_lo, exec_lo, s23
	s_cbranch_execnz .LBB72_23
; %bb.24:                               ;   in Loop: Header=BB72_15 Depth=3
	s_or_b32 exec_lo, exec_lo, s23
	s_delay_alu instid0(SALU_CYCLE_1)
	s_xor_b32 s23, exec_lo, -1
.LBB72_25:                              ;   in Loop: Header=BB72_15 Depth=3
	s_or_b32 exec_lo, exec_lo, s22
	s_delay_alu instid0(SALU_CYCLE_1) | instskip(SKIP_1) | instid1(SALU_CYCLE_1)
	s_and_not1_b32 s20, s20, exec_lo
	s_and_b32 s22, s23, exec_lo
	s_or_b32 s20, s20, s22
.LBB72_26:                              ;   in Loop: Header=BB72_15 Depth=3
	s_or_b32 exec_lo, exec_lo, s21
	s_delay_alu instid0(SALU_CYCLE_1)
	s_and_b32 s20, s20, exec_lo
                                        ; implicit-def: $vgpr21
.LBB72_27:                              ;   in Loop: Header=BB72_15 Depth=3
	s_and_not1_saveexec_b32 s19, s19
	s_cbranch_execz .LBB72_14
; %bb.28:                               ;   in Loop: Header=BB72_15 Depth=3
	v_mul_lo_u32 v22, v12, 12
	s_mov_b32 s21, 0
	s_delay_alu instid0(VALU_DEP_1)
	v_add_nc_u32_e32 v27, v21, v22
	ds_load_b64 v[21:22], v27 offset:32768
.LBB72_29:                              ;   Parent Loop BB72_10 Depth=1
                                        ;     Parent Loop BB72_13 Depth=2
                                        ;       Parent Loop BB72_15 Depth=3
                                        ; =>      This Inner Loop Header: Depth=4
	s_waitcnt lgkmcnt(0)
	v_add_f64 v[28:29], v[21:22], v[17:18]
	ds_cmpstore_rtn_b64 v[28:29], v27, v[28:29], v[21:22] offset:32768
	s_waitcnt lgkmcnt(0)
	v_cmp_eq_u64_e32 vcc_lo, v[28:29], v[21:22]
	v_dual_mov_b32 v21, v28 :: v_dual_mov_b32 v22, v29
	s_or_b32 s21, vcc_lo, s21
	s_delay_alu instid0(SALU_CYCLE_1)
	s_and_not1_b32 exec_lo, exec_lo, s21
	s_cbranch_execnz .LBB72_29
; %bb.30:                               ;   in Loop: Header=BB72_15 Depth=3
	s_or_b32 exec_lo, exec_lo, s21
	ds_load_b64 v[21:22], v27 offset:32776
	s_mov_b32 s21, 0
.LBB72_31:                              ;   Parent Loop BB72_10 Depth=1
                                        ;     Parent Loop BB72_13 Depth=2
                                        ;       Parent Loop BB72_15 Depth=3
                                        ; =>      This Inner Loop Header: Depth=4
	s_waitcnt lgkmcnt(0)
	v_add_f64 v[28:29], v[21:22], v[19:20]
	ds_cmpstore_rtn_b64 v[28:29], v27, v[28:29], v[21:22] offset:32776
	s_waitcnt lgkmcnt(0)
	v_cmp_eq_u64_e32 vcc_lo, v[28:29], v[21:22]
	v_dual_mov_b32 v21, v28 :: v_dual_mov_b32 v22, v29
	s_or_b32 s21, vcc_lo, s21
	s_delay_alu instid0(SALU_CYCLE_1)
	s_and_not1_b32 exec_lo, exec_lo, s21
	s_cbranch_execnz .LBB72_31
; %bb.32:                               ;   in Loop: Header=BB72_15 Depth=3
	s_or_b32 exec_lo, exec_lo, s21
	s_delay_alu instid0(SALU_CYCLE_1)
	s_and_not1_b32 s20, s20, exec_lo
	s_branch .LBB72_14
.LBB72_33:
	s_or_b32 exec_lo, exec_lo, s14
.LBB72_34:
	s_clause 0x1
	s_load_b64 s[36:37], s[0:1], 0x90
	s_load_b64 s[40:41], s[0:1], 0x80
	s_and_not1_b32 vcc_lo, exec_lo, s12
	s_cbranch_vccnz .LBB72_59
; %bb.35:
	s_load_b64 s[2:3], s[0:1], 0x68
	s_waitcnt lgkmcnt(0)
	s_ashr_i32 s35, s34, 31
	v_subrev_nc_u32_e32 v5, s39, v0
	s_lshl_b64 s[4:5], s[34:35], 2
	s_delay_alu instid0(SALU_CYCLE_1)
	s_add_u32 s2, s2, s4
	s_addc_u32 s3, s3, s5
	s_mov_b32 s5, exec_lo
	s_load_b64 s[2:3], s[2:3], 0x0
	s_waitcnt lgkmcnt(0)
	v_add_nc_u32_e32 v5, s2, v5
	s_sub_i32 s4, s3, s39
	s_delay_alu instid0(VALU_DEP_1) | instid1(SALU_CYCLE_1)
	v_cmpx_gt_i32_e64 s4, v5
	s_cbranch_execz .LBB72_58
; %bb.36:
	s_load_b128 s[0:3], s[0:1], 0x70
	s_mov_b32 s6, 0
	s_branch .LBB72_38
.LBB72_37:                              ;   in Loop: Header=BB72_38 Depth=1
	s_or_b32 exec_lo, exec_lo, s7
	v_add_nc_u32_e32 v5, 0x400, v5
	s_delay_alu instid0(VALU_DEP_1) | instskip(SKIP_1) | instid1(SALU_CYCLE_1)
	v_cmp_le_i32_e32 vcc_lo, s4, v5
	s_or_b32 s6, vcc_lo, s6
	s_and_not1_b32 exec_lo, exec_lo, s6
	s_cbranch_execz .LBB72_58
.LBB72_38:                              ; =>This Loop Header: Depth=1
                                        ;     Child Loop BB72_40 Depth 2
                                        ;       Child Loop BB72_46 Depth 3
                                        ;       Child Loop BB72_48 Depth 3
                                        ;       Child Loop BB72_54 Depth 3
                                        ;       Child Loop BB72_56 Depth 3
	v_ashrrev_i32_e32 v6, 31, v5
	s_mov_b32 s7, 0
	s_delay_alu instid0(VALU_DEP_1) | instskip(SKIP_1) | instid1(VALU_DEP_1)
	v_lshlrev_b64 v[7:8], 4, v[5:6]
	s_waitcnt lgkmcnt(0)
	v_add_co_u32 v7, vcc_lo, s2, v7
	s_delay_alu instid0(VALU_DEP_2) | instskip(SKIP_2) | instid1(VALU_DEP_1)
	v_add_co_ci_u32_e32 v8, vcc_lo, s3, v8, vcc_lo
	global_load_b128 v[8:11], v[7:8], off
	v_lshlrev_b64 v[6:7], 2, v[5:6]
	v_add_co_u32 v6, vcc_lo, s0, v6
	s_delay_alu instid0(VALU_DEP_2)
	v_add_co_ci_u32_e32 v7, vcc_lo, s1, v7, vcc_lo
	global_load_b32 v12, v[6:7], off
	s_waitcnt vmcnt(1)
	v_mul_f64 v[6:7], v[10:11], -v[1:2]
	v_mul_f64 v[10:11], v[3:4], v[10:11]
	s_waitcnt vmcnt(0)
	v_subrev_nc_u32_e32 v12, s39, v12
	s_delay_alu instid0(VALU_DEP_3) | instskip(NEXT) | instid1(VALU_DEP_3)
	v_fma_f64 v[6:7], v[3:4], v[8:9], v[6:7]
	v_fma_f64 v[8:9], v[1:2], v[8:9], v[10:11]
	s_delay_alu instid0(VALU_DEP_3) | instskip(NEXT) | instid1(VALU_DEP_1)
	v_mul_lo_u32 v10, 0x89, v12
	v_and_b32_e32 v13, 0x1fff, v10
	s_branch .LBB72_40
.LBB72_39:                              ;   in Loop: Header=BB72_40 Depth=2
	s_or_b32 exec_lo, exec_lo, s8
	s_xor_b32 s8, s9, -1
	s_delay_alu instid0(SALU_CYCLE_1) | instskip(NEXT) | instid1(SALU_CYCLE_1)
	s_and_b32 s8, exec_lo, s8
	s_or_b32 s7, s8, s7
	s_delay_alu instid0(SALU_CYCLE_1)
	s_and_not1_b32 exec_lo, exec_lo, s7
	s_cbranch_execz .LBB72_37
.LBB72_40:                              ;   Parent Loop BB72_38 Depth=1
                                        ; =>  This Loop Header: Depth=2
                                        ;       Child Loop BB72_46 Depth 3
                                        ;       Child Loop BB72_48 Depth 3
	;; [unrolled: 1-line block ×4, first 2 shown]
	s_delay_alu instid0(VALU_DEP_1)
	v_lshl_add_u32 v10, v13, 2, 0
	s_mov_b32 s8, exec_lo
                                        ; implicit-def: $sgpr9
	ds_load_b32 v11, v10
	s_waitcnt lgkmcnt(0)
	v_cmpx_ne_u32_e64 v11, v12
	s_xor_b32 s8, exec_lo, s8
	s_cbranch_execz .LBB72_52
; %bb.41:                               ;   in Loop: Header=BB72_40 Depth=2
	s_mov_b32 s10, exec_lo
                                        ; implicit-def: $sgpr9
	v_cmpx_ne_u32_e64 s33, v11
	s_xor_b32 s10, exec_lo, s10
; %bb.42:                               ;   in Loop: Header=BB72_40 Depth=2
	v_add_nc_u32_e32 v10, 1, v13
	s_mov_b32 s9, -1
	s_delay_alu instid0(VALU_DEP_1)
	v_and_b32_e32 v13, 0x1fff, v10
                                        ; implicit-def: $vgpr10
; %bb.43:                               ;   in Loop: Header=BB72_40 Depth=2
	s_and_not1_saveexec_b32 s10, s10
	s_cbranch_execz .LBB72_51
; %bb.44:                               ;   in Loop: Header=BB72_40 Depth=2
	v_mov_b32_e32 v11, s33
	s_mov_b32 s12, -1
	s_mov_b32 s11, exec_lo
	ds_cmpstore_rtn_b32 v11, v10, v12, v11
	s_waitcnt lgkmcnt(0)
	v_cmpx_eq_u32_e64 s33, v11
	s_cbranch_execz .LBB72_50
; %bb.45:                               ;   in Loop: Header=BB72_40 Depth=2
	v_mul_lo_u32 v11, v13, 12
	s_mov_b32 s12, 0
	s_delay_alu instid0(VALU_DEP_1)
	v_add_nc_u32_e32 v14, v10, v11
	ds_load_b64 v[10:11], v14 offset:32768
.LBB72_46:                              ;   Parent Loop BB72_38 Depth=1
                                        ;     Parent Loop BB72_40 Depth=2
                                        ; =>    This Inner Loop Header: Depth=3
	s_waitcnt lgkmcnt(0)
	v_add_f64 v[15:16], v[10:11], v[6:7]
	ds_cmpstore_rtn_b64 v[15:16], v14, v[15:16], v[10:11] offset:32768
	s_waitcnt lgkmcnt(0)
	v_cmp_eq_u64_e32 vcc_lo, v[15:16], v[10:11]
	v_dual_mov_b32 v10, v15 :: v_dual_mov_b32 v11, v16
	s_or_b32 s12, vcc_lo, s12
	s_delay_alu instid0(SALU_CYCLE_1)
	s_and_not1_b32 exec_lo, exec_lo, s12
	s_cbranch_execnz .LBB72_46
; %bb.47:                               ;   in Loop: Header=BB72_40 Depth=2
	s_or_b32 exec_lo, exec_lo, s12
	ds_load_b64 v[10:11], v14 offset:32776
	s_mov_b32 s12, 0
.LBB72_48:                              ;   Parent Loop BB72_38 Depth=1
                                        ;     Parent Loop BB72_40 Depth=2
                                        ; =>    This Inner Loop Header: Depth=3
	s_waitcnt lgkmcnt(0)
	v_add_f64 v[15:16], v[10:11], v[8:9]
	ds_cmpstore_rtn_b64 v[15:16], v14, v[15:16], v[10:11] offset:32776
	s_waitcnt lgkmcnt(0)
	v_cmp_eq_u64_e32 vcc_lo, v[15:16], v[10:11]
	v_dual_mov_b32 v10, v15 :: v_dual_mov_b32 v11, v16
	s_or_b32 s12, vcc_lo, s12
	s_delay_alu instid0(SALU_CYCLE_1)
	s_and_not1_b32 exec_lo, exec_lo, s12
	s_cbranch_execnz .LBB72_48
; %bb.49:                               ;   in Loop: Header=BB72_40 Depth=2
	s_or_b32 exec_lo, exec_lo, s12
	s_delay_alu instid0(SALU_CYCLE_1)
	s_xor_b32 s12, exec_lo, -1
.LBB72_50:                              ;   in Loop: Header=BB72_40 Depth=2
	s_or_b32 exec_lo, exec_lo, s11
	s_delay_alu instid0(SALU_CYCLE_1) | instskip(SKIP_1) | instid1(SALU_CYCLE_1)
	s_and_not1_b32 s9, s9, exec_lo
	s_and_b32 s11, s12, exec_lo
	s_or_b32 s9, s9, s11
.LBB72_51:                              ;   in Loop: Header=BB72_40 Depth=2
	s_or_b32 exec_lo, exec_lo, s10
	s_delay_alu instid0(SALU_CYCLE_1)
	s_and_b32 s9, s9, exec_lo
                                        ; implicit-def: $vgpr10
.LBB72_52:                              ;   in Loop: Header=BB72_40 Depth=2
	s_and_not1_saveexec_b32 s8, s8
	s_cbranch_execz .LBB72_39
; %bb.53:                               ;   in Loop: Header=BB72_40 Depth=2
	v_mul_lo_u32 v11, v13, 12
	s_mov_b32 s10, 0
	s_delay_alu instid0(VALU_DEP_1)
	v_add_nc_u32_e32 v14, v10, v11
	ds_load_b64 v[10:11], v14 offset:32768
.LBB72_54:                              ;   Parent Loop BB72_38 Depth=1
                                        ;     Parent Loop BB72_40 Depth=2
                                        ; =>    This Inner Loop Header: Depth=3
	s_waitcnt lgkmcnt(0)
	v_add_f64 v[15:16], v[10:11], v[6:7]
	ds_cmpstore_rtn_b64 v[15:16], v14, v[15:16], v[10:11] offset:32768
	s_waitcnt lgkmcnt(0)
	v_cmp_eq_u64_e32 vcc_lo, v[15:16], v[10:11]
	v_dual_mov_b32 v10, v15 :: v_dual_mov_b32 v11, v16
	s_or_b32 s10, vcc_lo, s10
	s_delay_alu instid0(SALU_CYCLE_1)
	s_and_not1_b32 exec_lo, exec_lo, s10
	s_cbranch_execnz .LBB72_54
; %bb.55:                               ;   in Loop: Header=BB72_40 Depth=2
	s_or_b32 exec_lo, exec_lo, s10
	ds_load_b64 v[10:11], v14 offset:32776
	s_mov_b32 s10, 0
.LBB72_56:                              ;   Parent Loop BB72_38 Depth=1
                                        ;     Parent Loop BB72_40 Depth=2
                                        ; =>    This Inner Loop Header: Depth=3
	s_waitcnt lgkmcnt(0)
	v_add_f64 v[15:16], v[10:11], v[8:9]
	ds_cmpstore_rtn_b64 v[15:16], v14, v[15:16], v[10:11] offset:32776
	s_waitcnt lgkmcnt(0)
	v_cmp_eq_u64_e32 vcc_lo, v[15:16], v[10:11]
	v_dual_mov_b32 v10, v15 :: v_dual_mov_b32 v11, v16
	s_or_b32 s10, vcc_lo, s10
	s_delay_alu instid0(SALU_CYCLE_1)
	s_and_not1_b32 exec_lo, exec_lo, s10
	s_cbranch_execnz .LBB72_56
; %bb.57:                               ;   in Loop: Header=BB72_40 Depth=2
	s_or_b32 exec_lo, exec_lo, s10
	s_delay_alu instid0(SALU_CYCLE_1)
	s_and_not1_b32 s9, s9, exec_lo
	s_branch .LBB72_39
.LBB72_58:
	s_or_b32 exec_lo, exec_lo, s5
.LBB72_59:
	v_mbcnt_lo_u32_b32 v1, -1, 0
	v_lshrrev_b32_e32 v2, 3, v0
	s_add_i32 s68, 0, 0x2807c
	v_cmp_eq_u32_e32 vcc_lo, 0x3ff, v0
	v_cmp_lt_u32_e64 s0, 31, v0
	v_xor_b32_e32 v1, 63, v1
	v_dual_mov_b32 v6, s68 :: v_dual_and_b32 v3, 0x7c, v2
	v_cmp_lt_u32_e64 s1, 63, v0
	v_cmp_lt_u32_e64 s2, 0x5f, v0
	s_delay_alu instid0(VALU_DEP_4) | instskip(NEXT) | instid1(VALU_DEP_4)
	v_lshrrev_b64 v[1:2], v1, -1
	v_add3_u32 v2, 0, 0x28000, v3
	v_cmp_lt_u32_e64 s3, 0x7f, v0
	v_cmp_lt_u32_e64 s4, 0x9f, v0
	;; [unrolled: 1-line block ×28, first 2 shown]
	v_add3_u32 v3, v24, 0, 0x8000
	v_or_b32_e32 v4, 0xfffffc00, v0
	v_mov_b32_e32 v5, 0
	s_mov_b32 s35, 0
	s_add_i32 s39, 0, 0x28000
	s_add_i32 s42, 0, 0x28004
	;; [unrolled: 1-line block ×31, first 2 shown]
	s_waitcnt lgkmcnt(0)
	s_barrier
	buffer_gl0_inv
	s_branch .LBB72_61
.LBB72_60:                              ;   in Loop: Header=BB72_61 Depth=1
	s_or_b32 exec_lo, exec_lo, s31
	s_waitcnt lgkmcnt(0)
	s_barrier
	buffer_gl0_inv
	ds_load_b32 v7, v6
	v_add_nc_u32_e32 v4, 0x400, v4
	v_add_nc_u32_e32 v3, 0x4000, v3
	;; [unrolled: 1-line block ×3, first 2 shown]
	s_delay_alu instid0(VALU_DEP_3) | instskip(NEXT) | instid1(VALU_DEP_1)
	v_cmp_lt_u32_e64 s31, 0x1bff, v4
	s_or_b32 s35, s31, s35
	s_waitcnt lgkmcnt(0)
	v_add_nc_u32_e32 v5, v7, v5
	s_and_not1_b32 exec_lo, exec_lo, s35
	s_cbranch_execz .LBB72_127
.LBB72_61:                              ; =>This Inner Loop Header: Depth=1
	ds_load_b32 v7, v23
	ds_load_2addr_b64 v[8:11], v3 offset1:1
	s_waitcnt lgkmcnt(1)
	v_cmp_gt_i32_e64 s31, s33, v7
	s_waitcnt lgkmcnt(0)
	scratch_store_b128 off, v[8:11], off
	s_waitcnt_vscnt null, 0x0
	s_barrier
	buffer_gl0_inv
	s_bcnt1_i32_b32 s73, s31
	s_delay_alu instid0(SALU_CYCLE_1) | instskip(NEXT) | instid1(VALU_DEP_1)
	v_dual_mov_b32 v9, s73 :: v_dual_and_b32 v8, s31, v1
	v_bcnt_u32_b32 v8, v8, 0
	ds_store_b32 v2, v9
	s_waitcnt lgkmcnt(0)
	s_barrier
	buffer_gl0_inv
	s_and_saveexec_b32 s73, s0
	s_cbranch_execnz .LBB72_94
; %bb.62:                               ;   in Loop: Header=BB72_61 Depth=1
	s_or_b32 exec_lo, exec_lo, s73
	s_and_saveexec_b32 s73, s1
	s_cbranch_execnz .LBB72_95
.LBB72_63:                              ;   in Loop: Header=BB72_61 Depth=1
	s_or_b32 exec_lo, exec_lo, s73
	s_and_saveexec_b32 s73, s2
	s_cbranch_execnz .LBB72_96
.LBB72_64:                              ;   in Loop: Header=BB72_61 Depth=1
	s_or_b32 exec_lo, exec_lo, s73
	s_and_saveexec_b32 s73, s3
	s_cbranch_execnz .LBB72_97
.LBB72_65:                              ;   in Loop: Header=BB72_61 Depth=1
	s_or_b32 exec_lo, exec_lo, s73
	s_and_saveexec_b32 s73, s4
	s_cbranch_execnz .LBB72_98
.LBB72_66:                              ;   in Loop: Header=BB72_61 Depth=1
	s_or_b32 exec_lo, exec_lo, s73
	s_and_saveexec_b32 s73, s5
	s_cbranch_execnz .LBB72_99
.LBB72_67:                              ;   in Loop: Header=BB72_61 Depth=1
	s_or_b32 exec_lo, exec_lo, s73
	s_and_saveexec_b32 s73, s6
	s_cbranch_execnz .LBB72_100
.LBB72_68:                              ;   in Loop: Header=BB72_61 Depth=1
	s_or_b32 exec_lo, exec_lo, s73
	s_and_saveexec_b32 s73, s7
	s_cbranch_execnz .LBB72_101
.LBB72_69:                              ;   in Loop: Header=BB72_61 Depth=1
	s_or_b32 exec_lo, exec_lo, s73
	s_and_saveexec_b32 s73, s8
	s_cbranch_execnz .LBB72_102
.LBB72_70:                              ;   in Loop: Header=BB72_61 Depth=1
	s_or_b32 exec_lo, exec_lo, s73
	s_and_saveexec_b32 s73, s9
	s_cbranch_execnz .LBB72_103
.LBB72_71:                              ;   in Loop: Header=BB72_61 Depth=1
	s_or_b32 exec_lo, exec_lo, s73
	s_and_saveexec_b32 s73, s10
	s_cbranch_execnz .LBB72_104
.LBB72_72:                              ;   in Loop: Header=BB72_61 Depth=1
	s_or_b32 exec_lo, exec_lo, s73
	s_and_saveexec_b32 s73, s11
	s_cbranch_execnz .LBB72_105
.LBB72_73:                              ;   in Loop: Header=BB72_61 Depth=1
	s_or_b32 exec_lo, exec_lo, s73
	s_and_saveexec_b32 s73, s12
	s_cbranch_execnz .LBB72_106
.LBB72_74:                              ;   in Loop: Header=BB72_61 Depth=1
	s_or_b32 exec_lo, exec_lo, s73
	s_and_saveexec_b32 s73, s13
	s_cbranch_execnz .LBB72_107
.LBB72_75:                              ;   in Loop: Header=BB72_61 Depth=1
	s_or_b32 exec_lo, exec_lo, s73
	s_and_saveexec_b32 s73, s14
	s_cbranch_execnz .LBB72_108
.LBB72_76:                              ;   in Loop: Header=BB72_61 Depth=1
	s_or_b32 exec_lo, exec_lo, s73
	s_and_saveexec_b32 s73, s15
	s_cbranch_execnz .LBB72_109
.LBB72_77:                              ;   in Loop: Header=BB72_61 Depth=1
	s_or_b32 exec_lo, exec_lo, s73
	s_and_saveexec_b32 s73, s16
	s_cbranch_execnz .LBB72_110
.LBB72_78:                              ;   in Loop: Header=BB72_61 Depth=1
	s_or_b32 exec_lo, exec_lo, s73
	s_and_saveexec_b32 s73, s17
	s_cbranch_execnz .LBB72_111
.LBB72_79:                              ;   in Loop: Header=BB72_61 Depth=1
	s_or_b32 exec_lo, exec_lo, s73
	s_and_saveexec_b32 s73, s18
	s_cbranch_execnz .LBB72_112
.LBB72_80:                              ;   in Loop: Header=BB72_61 Depth=1
	s_or_b32 exec_lo, exec_lo, s73
	s_and_saveexec_b32 s73, s19
	s_cbranch_execnz .LBB72_113
.LBB72_81:                              ;   in Loop: Header=BB72_61 Depth=1
	s_or_b32 exec_lo, exec_lo, s73
	s_and_saveexec_b32 s73, s20
	s_cbranch_execnz .LBB72_114
.LBB72_82:                              ;   in Loop: Header=BB72_61 Depth=1
	s_or_b32 exec_lo, exec_lo, s73
	s_and_saveexec_b32 s73, s21
	s_cbranch_execnz .LBB72_115
.LBB72_83:                              ;   in Loop: Header=BB72_61 Depth=1
	s_or_b32 exec_lo, exec_lo, s73
	s_and_saveexec_b32 s73, s22
	s_cbranch_execnz .LBB72_116
.LBB72_84:                              ;   in Loop: Header=BB72_61 Depth=1
	s_or_b32 exec_lo, exec_lo, s73
	s_and_saveexec_b32 s73, s23
	s_cbranch_execnz .LBB72_117
.LBB72_85:                              ;   in Loop: Header=BB72_61 Depth=1
	s_or_b32 exec_lo, exec_lo, s73
	s_and_saveexec_b32 s73, s24
	s_cbranch_execnz .LBB72_118
.LBB72_86:                              ;   in Loop: Header=BB72_61 Depth=1
	s_or_b32 exec_lo, exec_lo, s73
	s_and_saveexec_b32 s73, s25
	s_cbranch_execnz .LBB72_119
.LBB72_87:                              ;   in Loop: Header=BB72_61 Depth=1
	s_or_b32 exec_lo, exec_lo, s73
	s_and_saveexec_b32 s73, s26
	s_cbranch_execnz .LBB72_120
.LBB72_88:                              ;   in Loop: Header=BB72_61 Depth=1
	s_or_b32 exec_lo, exec_lo, s73
	s_and_saveexec_b32 s73, s27
	s_cbranch_execnz .LBB72_121
.LBB72_89:                              ;   in Loop: Header=BB72_61 Depth=1
	s_or_b32 exec_lo, exec_lo, s73
	s_and_saveexec_b32 s73, s28
	s_cbranch_execnz .LBB72_122
.LBB72_90:                              ;   in Loop: Header=BB72_61 Depth=1
	s_or_b32 exec_lo, exec_lo, s73
	s_and_saveexec_b32 s73, s29
	s_cbranch_execnz .LBB72_123
.LBB72_91:                              ;   in Loop: Header=BB72_61 Depth=1
	s_or_b32 exec_lo, exec_lo, s73
	s_and_saveexec_b32 s73, s30
	s_cbranch_execnz .LBB72_124
.LBB72_92:                              ;   in Loop: Header=BB72_61 Depth=1
	s_or_b32 exec_lo, exec_lo, s73
	s_and_saveexec_b32 s73, s31
	s_cbranch_execnz .LBB72_125
.LBB72_93:                              ;   in Loop: Header=BB72_61 Depth=1
	s_or_b32 exec_lo, exec_lo, s73
	s_and_saveexec_b32 s31, vcc_lo
	s_cbranch_execz .LBB72_60
	s_branch .LBB72_126
.LBB72_94:                              ;   in Loop: Header=BB72_61 Depth=1
	v_mov_b32_e32 v9, s39
	ds_load_b32 v9, v9
	s_waitcnt lgkmcnt(0)
	v_add_nc_u32_e32 v8, v9, v8
	s_or_b32 exec_lo, exec_lo, s73
	s_and_saveexec_b32 s73, s1
	s_cbranch_execz .LBB72_63
.LBB72_95:                              ;   in Loop: Header=BB72_61 Depth=1
	v_mov_b32_e32 v9, s42
	ds_load_b32 v9, v9
	s_waitcnt lgkmcnt(0)
	v_add_nc_u32_e32 v8, v9, v8
	s_or_b32 exec_lo, exec_lo, s73
	s_and_saveexec_b32 s73, s2
	s_cbranch_execz .LBB72_64
.LBB72_96:                              ;   in Loop: Header=BB72_61 Depth=1
	v_mov_b32_e32 v9, s43
	ds_load_b32 v9, v9
	s_waitcnt lgkmcnt(0)
	v_add_nc_u32_e32 v8, v9, v8
	s_or_b32 exec_lo, exec_lo, s73
	s_and_saveexec_b32 s73, s3
	s_cbranch_execz .LBB72_65
.LBB72_97:                              ;   in Loop: Header=BB72_61 Depth=1
	v_mov_b32_e32 v9, s44
	ds_load_b32 v9, v9
	s_waitcnt lgkmcnt(0)
	v_add_nc_u32_e32 v8, v9, v8
	s_or_b32 exec_lo, exec_lo, s73
	s_and_saveexec_b32 s73, s4
	s_cbranch_execz .LBB72_66
.LBB72_98:                              ;   in Loop: Header=BB72_61 Depth=1
	v_mov_b32_e32 v9, s45
	ds_load_b32 v9, v9
	s_waitcnt lgkmcnt(0)
	v_add_nc_u32_e32 v8, v9, v8
	s_or_b32 exec_lo, exec_lo, s73
	s_and_saveexec_b32 s73, s5
	s_cbranch_execz .LBB72_67
.LBB72_99:                              ;   in Loop: Header=BB72_61 Depth=1
	v_mov_b32_e32 v9, s46
	ds_load_b32 v9, v9
	s_waitcnt lgkmcnt(0)
	v_add_nc_u32_e32 v8, v9, v8
	s_or_b32 exec_lo, exec_lo, s73
	s_and_saveexec_b32 s73, s6
	s_cbranch_execz .LBB72_68
.LBB72_100:                             ;   in Loop: Header=BB72_61 Depth=1
	v_mov_b32_e32 v9, s47
	ds_load_b32 v9, v9
	s_waitcnt lgkmcnt(0)
	v_add_nc_u32_e32 v8, v9, v8
	s_or_b32 exec_lo, exec_lo, s73
	s_and_saveexec_b32 s73, s7
	s_cbranch_execz .LBB72_69
.LBB72_101:                             ;   in Loop: Header=BB72_61 Depth=1
	v_mov_b32_e32 v9, s48
	ds_load_b32 v9, v9
	s_waitcnt lgkmcnt(0)
	v_add_nc_u32_e32 v8, v9, v8
	s_or_b32 exec_lo, exec_lo, s73
	s_and_saveexec_b32 s73, s8
	s_cbranch_execz .LBB72_70
.LBB72_102:                             ;   in Loop: Header=BB72_61 Depth=1
	v_mov_b32_e32 v9, s49
	ds_load_b32 v9, v9
	s_waitcnt lgkmcnt(0)
	v_add_nc_u32_e32 v8, v9, v8
	s_or_b32 exec_lo, exec_lo, s73
	s_and_saveexec_b32 s73, s9
	s_cbranch_execz .LBB72_71
.LBB72_103:                             ;   in Loop: Header=BB72_61 Depth=1
	v_mov_b32_e32 v9, s50
	ds_load_b32 v9, v9
	s_waitcnt lgkmcnt(0)
	v_add_nc_u32_e32 v8, v9, v8
	s_or_b32 exec_lo, exec_lo, s73
	s_and_saveexec_b32 s73, s10
	s_cbranch_execz .LBB72_72
.LBB72_104:                             ;   in Loop: Header=BB72_61 Depth=1
	v_mov_b32_e32 v9, s51
	ds_load_b32 v9, v9
	s_waitcnt lgkmcnt(0)
	v_add_nc_u32_e32 v8, v9, v8
	s_or_b32 exec_lo, exec_lo, s73
	s_and_saveexec_b32 s73, s11
	s_cbranch_execz .LBB72_73
.LBB72_105:                             ;   in Loop: Header=BB72_61 Depth=1
	v_mov_b32_e32 v9, s52
	ds_load_b32 v9, v9
	s_waitcnt lgkmcnt(0)
	v_add_nc_u32_e32 v8, v9, v8
	s_or_b32 exec_lo, exec_lo, s73
	s_and_saveexec_b32 s73, s12
	s_cbranch_execz .LBB72_74
.LBB72_106:                             ;   in Loop: Header=BB72_61 Depth=1
	v_mov_b32_e32 v9, s53
	ds_load_b32 v9, v9
	s_waitcnt lgkmcnt(0)
	v_add_nc_u32_e32 v8, v9, v8
	s_or_b32 exec_lo, exec_lo, s73
	s_and_saveexec_b32 s73, s13
	s_cbranch_execz .LBB72_75
.LBB72_107:                             ;   in Loop: Header=BB72_61 Depth=1
	v_mov_b32_e32 v9, s54
	ds_load_b32 v9, v9
	s_waitcnt lgkmcnt(0)
	v_add_nc_u32_e32 v8, v9, v8
	s_or_b32 exec_lo, exec_lo, s73
	s_and_saveexec_b32 s73, s14
	s_cbranch_execz .LBB72_76
.LBB72_108:                             ;   in Loop: Header=BB72_61 Depth=1
	v_mov_b32_e32 v9, s55
	ds_load_b32 v9, v9
	s_waitcnt lgkmcnt(0)
	v_add_nc_u32_e32 v8, v9, v8
	s_or_b32 exec_lo, exec_lo, s73
	s_and_saveexec_b32 s73, s15
	s_cbranch_execz .LBB72_77
.LBB72_109:                             ;   in Loop: Header=BB72_61 Depth=1
	v_mov_b32_e32 v9, s56
	ds_load_b32 v9, v9
	s_waitcnt lgkmcnt(0)
	v_add_nc_u32_e32 v8, v9, v8
	s_or_b32 exec_lo, exec_lo, s73
	s_and_saveexec_b32 s73, s16
	s_cbranch_execz .LBB72_78
.LBB72_110:                             ;   in Loop: Header=BB72_61 Depth=1
	v_mov_b32_e32 v9, s57
	ds_load_b32 v9, v9
	s_waitcnt lgkmcnt(0)
	v_add_nc_u32_e32 v8, v9, v8
	s_or_b32 exec_lo, exec_lo, s73
	s_and_saveexec_b32 s73, s17
	s_cbranch_execz .LBB72_79
.LBB72_111:                             ;   in Loop: Header=BB72_61 Depth=1
	v_mov_b32_e32 v9, s58
	ds_load_b32 v9, v9
	s_waitcnt lgkmcnt(0)
	v_add_nc_u32_e32 v8, v9, v8
	s_or_b32 exec_lo, exec_lo, s73
	s_and_saveexec_b32 s73, s18
	s_cbranch_execz .LBB72_80
.LBB72_112:                             ;   in Loop: Header=BB72_61 Depth=1
	v_mov_b32_e32 v9, s59
	ds_load_b32 v9, v9
	s_waitcnt lgkmcnt(0)
	v_add_nc_u32_e32 v8, v9, v8
	s_or_b32 exec_lo, exec_lo, s73
	s_and_saveexec_b32 s73, s19
	s_cbranch_execz .LBB72_81
.LBB72_113:                             ;   in Loop: Header=BB72_61 Depth=1
	v_mov_b32_e32 v9, s60
	ds_load_b32 v9, v9
	s_waitcnt lgkmcnt(0)
	v_add_nc_u32_e32 v8, v9, v8
	s_or_b32 exec_lo, exec_lo, s73
	s_and_saveexec_b32 s73, s20
	s_cbranch_execz .LBB72_82
.LBB72_114:                             ;   in Loop: Header=BB72_61 Depth=1
	v_mov_b32_e32 v9, s61
	ds_load_b32 v9, v9
	s_waitcnt lgkmcnt(0)
	v_add_nc_u32_e32 v8, v9, v8
	s_or_b32 exec_lo, exec_lo, s73
	s_and_saveexec_b32 s73, s21
	s_cbranch_execz .LBB72_83
.LBB72_115:                             ;   in Loop: Header=BB72_61 Depth=1
	v_mov_b32_e32 v9, s62
	ds_load_b32 v9, v9
	s_waitcnt lgkmcnt(0)
	v_add_nc_u32_e32 v8, v9, v8
	s_or_b32 exec_lo, exec_lo, s73
	s_and_saveexec_b32 s73, s22
	s_cbranch_execz .LBB72_84
.LBB72_116:                             ;   in Loop: Header=BB72_61 Depth=1
	v_mov_b32_e32 v9, s63
	ds_load_b32 v9, v9
	s_waitcnt lgkmcnt(0)
	v_add_nc_u32_e32 v8, v9, v8
	s_or_b32 exec_lo, exec_lo, s73
	s_and_saveexec_b32 s73, s23
	s_cbranch_execz .LBB72_85
.LBB72_117:                             ;   in Loop: Header=BB72_61 Depth=1
	v_mov_b32_e32 v9, s64
	ds_load_b32 v9, v9
	s_waitcnt lgkmcnt(0)
	v_add_nc_u32_e32 v8, v9, v8
	s_or_b32 exec_lo, exec_lo, s73
	s_and_saveexec_b32 s73, s24
	s_cbranch_execz .LBB72_86
.LBB72_118:                             ;   in Loop: Header=BB72_61 Depth=1
	v_mov_b32_e32 v9, s65
	ds_load_b32 v9, v9
	s_waitcnt lgkmcnt(0)
	v_add_nc_u32_e32 v8, v9, v8
	s_or_b32 exec_lo, exec_lo, s73
	s_and_saveexec_b32 s73, s25
	s_cbranch_execz .LBB72_87
.LBB72_119:                             ;   in Loop: Header=BB72_61 Depth=1
	v_mov_b32_e32 v9, s66
	ds_load_b32 v9, v9
	s_waitcnt lgkmcnt(0)
	v_add_nc_u32_e32 v8, v9, v8
	s_or_b32 exec_lo, exec_lo, s73
	s_and_saveexec_b32 s73, s26
	s_cbranch_execz .LBB72_88
.LBB72_120:                             ;   in Loop: Header=BB72_61 Depth=1
	v_mov_b32_e32 v9, s67
	ds_load_b32 v9, v9
	s_waitcnt lgkmcnt(0)
	v_add_nc_u32_e32 v8, v9, v8
	s_or_b32 exec_lo, exec_lo, s73
	s_and_saveexec_b32 s73, s27
	s_cbranch_execz .LBB72_89
.LBB72_121:                             ;   in Loop: Header=BB72_61 Depth=1
	v_mov_b32_e32 v9, s69
	ds_load_b32 v9, v9
	s_waitcnt lgkmcnt(0)
	v_add_nc_u32_e32 v8, v9, v8
	s_or_b32 exec_lo, exec_lo, s73
	s_and_saveexec_b32 s73, s28
	s_cbranch_execz .LBB72_90
.LBB72_122:                             ;   in Loop: Header=BB72_61 Depth=1
	v_mov_b32_e32 v9, s70
	ds_load_b32 v9, v9
	s_waitcnt lgkmcnt(0)
	v_add_nc_u32_e32 v8, v9, v8
	s_or_b32 exec_lo, exec_lo, s73
	s_and_saveexec_b32 s73, s29
	s_cbranch_execz .LBB72_91
.LBB72_123:                             ;   in Loop: Header=BB72_61 Depth=1
	v_mov_b32_e32 v9, s71
	ds_load_b32 v9, v9
	s_waitcnt lgkmcnt(0)
	v_add_nc_u32_e32 v8, v9, v8
	s_or_b32 exec_lo, exec_lo, s73
	s_and_saveexec_b32 s73, s30
	s_cbranch_execz .LBB72_92
.LBB72_124:                             ;   in Loop: Header=BB72_61 Depth=1
	v_mov_b32_e32 v9, s72
	ds_load_b32 v9, v9
	s_waitcnt lgkmcnt(0)
	v_add_nc_u32_e32 v8, v9, v8
	s_or_b32 exec_lo, exec_lo, s73
	s_and_saveexec_b32 s73, s31
	s_cbranch_execz .LBB72_93
.LBB72_125:                             ;   in Loop: Header=BB72_61 Depth=1
	scratch_load_b128 v[9:12], off, off
	v_add3_u32 v13, v5, -1, v8
	s_delay_alu instid0(VALU_DEP_1) | instskip(SKIP_1) | instid1(VALU_DEP_2)
	v_lshlrev_b32_e32 v14, 4, v13
	v_lshl_add_u32 v13, v13, 2, 0
	v_add3_u32 v14, 0, v14, 0x8000
	ds_store_b32 v13, v7
	s_waitcnt vmcnt(0)
	ds_store_2addr_b64 v14, v[9:10], v[11:12] offset1:1
	s_or_b32 exec_lo, exec_lo, s73
	s_and_saveexec_b32 s31, vcc_lo
	s_cbranch_execz .LBB72_60
.LBB72_126:                             ;   in Loop: Header=BB72_61 Depth=1
	v_mov_b32_e32 v7, s68
	ds_store_b32 v7, v8
	s_branch .LBB72_60
.LBB72_127:
	s_or_b32 exec_lo, exec_lo, s35
	s_ashr_i32 s35, s34, 31
	s_mov_b32 s3, exec_lo
	s_lshl_b64 s[0:1], s[34:35], 2
	s_delay_alu instid0(SALU_CYCLE_1) | instskip(SKIP_4) | instid1(SALU_CYCLE_1)
	s_add_u32 s0, s40, s0
	s_addc_u32 s1, s41, s1
	s_load_b64 s[0:1], s[0:1], 0x0
	s_waitcnt lgkmcnt(0)
	s_sub_i32 s2, s1, s0
	v_cmpx_gt_i32_e64 s2, v0
	s_cbranch_execz .LBB72_137
; %bb.128:
	s_sub_i32 s3, s0, s38
	s_sub_i32 s0, s0, s1
	s_and_b32 s1, s2, 7
	s_cmp_lt_u32 s0, -7
	s_mov_b32 s7, 0
	s_cselect_b32 s4, -1, 0
	s_and_b32 s5, s2, -8
	s_cmp_lg_u32 s1, 0
	s_cselect_b32 s6, -1, 0
	s_branch .LBB72_130
.LBB72_129:                             ;   in Loop: Header=BB72_130 Depth=1
	s_waitcnt lgkmcnt(0)
	v_mul_lo_u32 v3, v0, 12
	v_add_nc_u32_e32 v0, 0x400, v0
	s_delay_alu instid0(VALU_DEP_1) | instskip(NEXT) | instid1(VALU_DEP_3)
	v_cmp_le_i32_e32 vcc_lo, s2, v0
	v_add3_u32 v2, v2, v3, 0x8000
	s_or_b32 s7, vcc_lo, s7
	ds_load_2addr_b64 v[3:6], v2 offset1:1
	v_ashrrev_i32_e32 v2, 31, v1
	s_delay_alu instid0(VALU_DEP_1) | instskip(NEXT) | instid1(VALU_DEP_1)
	v_lshlrev_b64 v[1:2], 4, v[1:2]
	v_add_co_u32 v1, s0, s36, v1
	s_delay_alu instid0(VALU_DEP_1)
	v_add_co_ci_u32_e64 v2, s0, s37, v2, s0
	s_waitcnt lgkmcnt(0)
	global_store_b128 v[1:2], v[3:6], off
	s_and_not1_b32 exec_lo, exec_lo, s7
	s_cbranch_execz .LBB72_137
.LBB72_130:                             ; =>This Loop Header: Depth=1
                                        ;     Child Loop BB72_132 Depth 2
                                        ;     Child Loop BB72_136 Depth 2
	v_lshl_add_u32 v2, v0, 2, 0
	v_mov_b32_e32 v1, s3
	s_and_not1_b32 vcc_lo, exec_lo, s4
	s_mov_b32 s0, 0
	ds_load_b32 v3, v2
	s_cbranch_vccnz .LBB72_134
; %bb.131:                              ;   in Loop: Header=BB72_130 Depth=1
	v_mov_b32_e32 v1, s3
	s_mov_b32 s8, 0
	s_set_inst_prefetch_distance 0x1
	.p2align	6
.LBB72_132:                             ;   Parent Loop BB72_130 Depth=1
                                        ; =>  This Inner Loop Header: Depth=2
	v_mov_b32_e32 v10, s8
	s_add_i32 s0, s0, 8
	s_add_i32 s8, s8, 32
	s_cmp_eq_u32 s5, s0
	ds_load_2addr_b32 v[4:5], v10 offset1:1
	ds_load_2addr_b32 v[6:7], v10 offset0:2 offset1:3
	ds_load_2addr_b32 v[8:9], v10 offset0:4 offset1:5
	;; [unrolled: 1-line block ×3, first 2 shown]
	s_waitcnt lgkmcnt(3)
	v_cmp_gt_i32_e32 vcc_lo, v3, v4
	v_cndmask_b32_e64 v4, 0, 1, vcc_lo
	s_waitcnt lgkmcnt(2)
	v_cmp_gt_i32_e32 vcc_lo, v3, v6
	v_cndmask_b32_e64 v6, 0, 1, vcc_lo
	v_cmp_gt_i32_e32 vcc_lo, v3, v5
	v_add_co_ci_u32_e32 v1, vcc_lo, v1, v4, vcc_lo
	s_waitcnt lgkmcnt(1)
	v_cmp_gt_i32_e32 vcc_lo, v3, v8
	v_cndmask_b32_e64 v4, 0, 1, vcc_lo
	v_cmp_gt_i32_e32 vcc_lo, v3, v7
	v_add_co_ci_u32_e32 v1, vcc_lo, v1, v6, vcc_lo
	s_waitcnt lgkmcnt(0)
	v_cmp_gt_i32_e32 vcc_lo, v3, v10
	v_cndmask_b32_e64 v5, 0, 1, vcc_lo
	v_cmp_gt_i32_e32 vcc_lo, v3, v9
	v_add_co_ci_u32_e32 v1, vcc_lo, v1, v4, vcc_lo
	v_cmp_gt_i32_e32 vcc_lo, v3, v11
	s_delay_alu instid0(VALU_DEP_2)
	v_add_co_ci_u32_e32 v1, vcc_lo, v1, v5, vcc_lo
	s_cbranch_scc0 .LBB72_132
; %bb.133:                              ;   in Loop: Header=BB72_130 Depth=1
	s_set_inst_prefetch_distance 0x2
	s_mov_b32 s0, s5
.LBB72_134:                             ;   in Loop: Header=BB72_130 Depth=1
	s_and_not1_b32 vcc_lo, exec_lo, s6
	s_cbranch_vccnz .LBB72_129
; %bb.135:                              ;   in Loop: Header=BB72_130 Depth=1
	s_lshl_b32 s0, s0, 2
	s_mov_b32 s8, s1
	s_add_i32 s0, s0, 0
.LBB72_136:                             ;   Parent Loop BB72_130 Depth=1
                                        ; =>  This Inner Loop Header: Depth=2
	s_delay_alu instid0(SALU_CYCLE_1)
	v_mov_b32_e32 v4, s0
	s_add_i32 s8, s8, -1
	s_add_i32 s0, s0, 4
	s_cmp_lg_u32 s8, 0
	ds_load_b32 v4, v4
	s_waitcnt lgkmcnt(0)
	v_cmp_gt_i32_e32 vcc_lo, v3, v4
	v_add_co_ci_u32_e32 v1, vcc_lo, 0, v1, vcc_lo
	s_cbranch_scc1 .LBB72_136
	s_branch .LBB72_129
.LBB72_137:
	s_nop 0
	s_sendmsg sendmsg(MSG_DEALLOC_VGPRS)
	s_endpgm
	.section	.rodata,"a",@progbits
	.p2align	6, 0x0
	.amdhsa_kernel _ZN9rocsparseL41csrgemm_numeric_fill_block_per_row_kernelILj1024ELj64ELj8192ELj137ELj32Eii21rocsparse_complex_numIdEEEvT5_PKS3_S5_NS_24const_host_device_scalarIT6_EEPKT4_S5_PKS7_SB_S5_SD_S8_SB_S5_SD_SB_S5_PS7_21rocsparse_index_base_SF_SF_SF_bbb
		.amdhsa_group_segment_fixed_size 0
		.amdhsa_private_segment_fixed_size 40
		.amdhsa_kernarg_size 172
		.amdhsa_user_sgpr_count 15
		.amdhsa_user_sgpr_dispatch_ptr 0
		.amdhsa_user_sgpr_queue_ptr 0
		.amdhsa_user_sgpr_kernarg_segment_ptr 1
		.amdhsa_user_sgpr_dispatch_id 0
		.amdhsa_user_sgpr_private_segment_size 0
		.amdhsa_wavefront_size32 1
		.amdhsa_uses_dynamic_stack 0
		.amdhsa_enable_private_segment 1
		.amdhsa_system_sgpr_workgroup_id_x 1
		.amdhsa_system_sgpr_workgroup_id_y 0
		.amdhsa_system_sgpr_workgroup_id_z 0
		.amdhsa_system_sgpr_workgroup_info 0
		.amdhsa_system_vgpr_workitem_id 0
		.amdhsa_next_free_vgpr 30
		.amdhsa_next_free_sgpr 74
		.amdhsa_reserve_vcc 1
		.amdhsa_float_round_mode_32 0
		.amdhsa_float_round_mode_16_64 0
		.amdhsa_float_denorm_mode_32 3
		.amdhsa_float_denorm_mode_16_64 3
		.amdhsa_dx10_clamp 1
		.amdhsa_ieee_mode 1
		.amdhsa_fp16_overflow 0
		.amdhsa_workgroup_processor_mode 1
		.amdhsa_memory_ordered 1
		.amdhsa_forward_progress 0
		.amdhsa_shared_vgpr_count 0
		.amdhsa_exception_fp_ieee_invalid_op 0
		.amdhsa_exception_fp_denorm_src 0
		.amdhsa_exception_fp_ieee_div_zero 0
		.amdhsa_exception_fp_ieee_overflow 0
		.amdhsa_exception_fp_ieee_underflow 0
		.amdhsa_exception_fp_ieee_inexact 0
		.amdhsa_exception_int_div_zero 0
	.end_amdhsa_kernel
	.section	.text._ZN9rocsparseL41csrgemm_numeric_fill_block_per_row_kernelILj1024ELj64ELj8192ELj137ELj32Eii21rocsparse_complex_numIdEEEvT5_PKS3_S5_NS_24const_host_device_scalarIT6_EEPKT4_S5_PKS7_SB_S5_SD_S8_SB_S5_SD_SB_S5_PS7_21rocsparse_index_base_SF_SF_SF_bbb,"axG",@progbits,_ZN9rocsparseL41csrgemm_numeric_fill_block_per_row_kernelILj1024ELj64ELj8192ELj137ELj32Eii21rocsparse_complex_numIdEEEvT5_PKS3_S5_NS_24const_host_device_scalarIT6_EEPKT4_S5_PKS7_SB_S5_SD_S8_SB_S5_SD_SB_S5_PS7_21rocsparse_index_base_SF_SF_SF_bbb,comdat
.Lfunc_end72:
	.size	_ZN9rocsparseL41csrgemm_numeric_fill_block_per_row_kernelILj1024ELj64ELj8192ELj137ELj32Eii21rocsparse_complex_numIdEEEvT5_PKS3_S5_NS_24const_host_device_scalarIT6_EEPKT4_S5_PKS7_SB_S5_SD_S8_SB_S5_SD_SB_S5_PS7_21rocsparse_index_base_SF_SF_SF_bbb, .Lfunc_end72-_ZN9rocsparseL41csrgemm_numeric_fill_block_per_row_kernelILj1024ELj64ELj8192ELj137ELj32Eii21rocsparse_complex_numIdEEEvT5_PKS3_S5_NS_24const_host_device_scalarIT6_EEPKT4_S5_PKS7_SB_S5_SD_S8_SB_S5_SD_SB_S5_PS7_21rocsparse_index_base_SF_SF_SF_bbb
                                        ; -- End function
	.section	.AMDGPU.csdata,"",@progbits
; Kernel info:
; codeLenInByte = 5448
; NumSgprs: 76
; NumVgprs: 30
; ScratchSize: 40
; MemoryBound: 0
; FloatMode: 240
; IeeeMode: 1
; LDSByteSize: 0 bytes/workgroup (compile time only)
; SGPRBlocks: 9
; VGPRBlocks: 3
; NumSGPRsForWavesPerEU: 76
; NumVGPRsForWavesPerEU: 30
; Occupancy: 16
; WaveLimiterHint : 1
; COMPUTE_PGM_RSRC2:SCRATCH_EN: 1
; COMPUTE_PGM_RSRC2:USER_SGPR: 15
; COMPUTE_PGM_RSRC2:TRAP_HANDLER: 0
; COMPUTE_PGM_RSRC2:TGID_X_EN: 1
; COMPUTE_PGM_RSRC2:TGID_Y_EN: 0
; COMPUTE_PGM_RSRC2:TGID_Z_EN: 0
; COMPUTE_PGM_RSRC2:TIDIG_COMP_CNT: 0
	.section	.text._ZN9rocsparseL41csrgemm_numeric_fill_block_per_row_kernelILj1024ELj64ELj8192ELj137ELj64Eii21rocsparse_complex_numIdEEEvT5_PKS3_S5_NS_24const_host_device_scalarIT6_EEPKT4_S5_PKS7_SB_S5_SD_S8_SB_S5_SD_SB_S5_PS7_21rocsparse_index_base_SF_SF_SF_bbb,"axG",@progbits,_ZN9rocsparseL41csrgemm_numeric_fill_block_per_row_kernelILj1024ELj64ELj8192ELj137ELj64Eii21rocsparse_complex_numIdEEEvT5_PKS3_S5_NS_24const_host_device_scalarIT6_EEPKT4_S5_PKS7_SB_S5_SD_S8_SB_S5_SD_SB_S5_PS7_21rocsparse_index_base_SF_SF_SF_bbb,comdat
	.globl	_ZN9rocsparseL41csrgemm_numeric_fill_block_per_row_kernelILj1024ELj64ELj8192ELj137ELj64Eii21rocsparse_complex_numIdEEEvT5_PKS3_S5_NS_24const_host_device_scalarIT6_EEPKT4_S5_PKS7_SB_S5_SD_S8_SB_S5_SD_SB_S5_PS7_21rocsparse_index_base_SF_SF_SF_bbb ; -- Begin function _ZN9rocsparseL41csrgemm_numeric_fill_block_per_row_kernelILj1024ELj64ELj8192ELj137ELj64Eii21rocsparse_complex_numIdEEEvT5_PKS3_S5_NS_24const_host_device_scalarIT6_EEPKT4_S5_PKS7_SB_S5_SD_S8_SB_S5_SD_SB_S5_PS7_21rocsparse_index_base_SF_SF_SF_bbb
	.p2align	8
	.type	_ZN9rocsparseL41csrgemm_numeric_fill_block_per_row_kernelILj1024ELj64ELj8192ELj137ELj64Eii21rocsparse_complex_numIdEEEvT5_PKS3_S5_NS_24const_host_device_scalarIT6_EEPKT4_S5_PKS7_SB_S5_SD_S8_SB_S5_SD_SB_S5_PS7_21rocsparse_index_base_SF_SF_SF_bbb,@function
_ZN9rocsparseL41csrgemm_numeric_fill_block_per_row_kernelILj1024ELj64ELj8192ELj137ELj64Eii21rocsparse_complex_numIdEEEvT5_PKS3_S5_NS_24const_host_device_scalarIT6_EEPKT4_S5_PKS7_SB_S5_SD_S8_SB_S5_SD_SB_S5_PS7_21rocsparse_index_base_SF_SF_SF_bbb: ; @_ZN9rocsparseL41csrgemm_numeric_fill_block_per_row_kernelILj1024ELj64ELj8192ELj137ELj64Eii21rocsparse_complex_numIdEEEvT5_PKS3_S5_NS_24const_host_device_scalarIT6_EEPKT4_S5_PKS7_SB_S5_SD_S8_SB_S5_SD_SB_S5_PS7_21rocsparse_index_base_SF_SF_SF_bbb
; %bb.0:
	s_clause 0x3
	s_load_b32 s14, s[0:1], 0xa8
	s_load_b256 s[4:11], s[0:1], 0x8
	s_load_b128 s[20:23], s[0:1], 0x58
	s_load_b128 s[16:19], s[0:1], 0x98
	v_mov_b32_e32 v1, 0
	v_mov_b32_e32 v2, 0
	s_waitcnt lgkmcnt(0)
	s_bitcmp1_b32 s14, 0
	v_mov_b32_e32 v3, s8
	s_cselect_b32 s3, -1, 0
	s_bitcmp1_b32 s14, 16
	v_dual_mov_b32 v6, v2 :: v_dual_mov_b32 v5, v1
	s_cselect_b32 s2, -1, 0
	v_mov_b32_e32 v4, s9
	s_xor_b32 s13, s2, -1
	v_dual_mov_b32 v9, s20 :: v_dual_mov_b32 v10, s21
	v_cndmask_b32_e64 v7, 0, 1, s13
	s_bitcmp0_b32 s14, 0
	s_clause 0x1
	scratch_store_b64 off, v[3:4], off offset:16
	scratch_store_b64 off, v[9:10], off offset:24
	v_cmp_ne_u32_e32 vcc_lo, 1, v7
	v_dual_mov_b32 v8, v2 :: v_dual_mov_b32 v7, v1
	s_cbranch_scc1 .LBB73_3
; %bb.1:
	s_mov_b64 s[24:25], src_private_base
	s_and_b32 s12, s2, exec_lo
	s_cselect_b32 s12, s25, s9
	s_delay_alu instid0(SALU_CYCLE_1) | instskip(SKIP_2) | instid1(VALU_DEP_2)
	v_dual_mov_b32 v3, 16 :: v_dual_mov_b32 v4, s12
	v_dual_mov_b32 v7, s10 :: v_dual_mov_b32 v8, s11
	s_and_b32 vcc_lo, exec_lo, vcc_lo
	v_cndmask_b32_e64 v3, s8, v3, s2
	flat_load_b64 v[5:6], v[3:4]
	s_cbranch_vccnz .LBB73_3
; %bb.2:
	v_dual_mov_b32 v3, s8 :: v_dual_mov_b32 v4, s9
	flat_load_b64 v[7:8], v[3:4] offset:8
.LBB73_3:
	s_bitcmp1_b32 s14, 8
	v_dual_mov_b32 v4, v2 :: v_dual_mov_b32 v3, v1
	s_cselect_b32 s12, -1, 0
	s_bfe_u32 s8, s14, 0x10008
	s_delay_alu instid0(SALU_CYCLE_1)
	s_cmp_eq_u32 s8, 0
	s_cbranch_scc1 .LBB73_6
; %bb.4:
	s_mov_b64 s[8:9], src_private_base
	s_and_b32 s8, s2, exec_lo
	s_cselect_b32 s8, s9, s21
	s_delay_alu instid0(SALU_CYCLE_1) | instskip(SKIP_1) | instid1(VALU_DEP_1)
	v_dual_mov_b32 v1, 24 :: v_dual_mov_b32 v2, s8
	s_and_not1_b32 vcc_lo, exec_lo, s13
	v_cndmask_b32_e64 v1, s20, v1, s2
	flat_load_b64 v[3:4], v[1:2]
	v_dual_mov_b32 v1, s22 :: v_dual_mov_b32 v2, s23
	s_cbranch_vccnz .LBB73_6
; %bb.5:
	v_dual_mov_b32 v1, s20 :: v_dual_mov_b32 v2, s21
	flat_load_b64 v[1:2], v[1:2] offset:8
.LBB73_6:
	s_load_b32 s24, s[0:1], 0x0
	s_mov_b32 s8, 0
	v_lshl_add_u32 v23, v0, 2, 0
	s_mov_b32 s9, s8
	v_lshlrev_b32_e32 v24, 4, v0
	s_mov_b32 s10, s8
	s_mov_b32 s11, s8
	v_dual_mov_b32 v10, s9 :: v_dual_mov_b32 v9, s8
	s_delay_alu instid0(VALU_DEP_2) | instskip(SKIP_2) | instid1(VALU_DEP_3)
	v_add3_u32 v14, 0, 0x8000, v24
	v_mad_u32_u24 v13, v0, 12, v23
	v_dual_mov_b32 v12, s11 :: v_dual_mov_b32 v11, s10
	v_add_nc_u32_e32 v17, 0x8000, v14
	s_delay_alu instid0(VALU_DEP_3)
	v_add_nc_u32_e32 v15, 0x8000, v13
	v_mad_i32_i24 v13, v0, -12, v13
	s_waitcnt lgkmcnt(0)
	v_dual_mov_b32 v19, s24 :: v_dual_add_nc_u32 v16, 0x4000, v14
	v_mov_b32_e32 v18, s24
	v_dual_mov_b32 v20, s24 :: v_dual_mov_b32 v21, s24
	v_dual_mov_b32 v22, s24 :: v_dual_mov_b32 v25, s24
	ds_store_b32 v23, v18
	ds_store_2addr_b64 v15, v[9:10], v[11:12] offset1:1
	ds_store_2addr_stride64_b32 v13, v19, v20 offset0:16 offset1:32
	ds_store_2addr_b64 v16, v[9:10], v[11:12] offset1:1
	ds_store_2addr_b64 v17, v[9:10], v[11:12] offset1:1
	v_add_nc_u32_e32 v15, 0xc000, v14
	v_dual_mov_b32 v17, s24 :: v_dual_add_nc_u32 v16, 0x10000, v14
	v_add_nc_u32_e32 v18, 0x14000, v14
	v_add_nc_u32_e32 v20, 0x18000, v14
	v_add_nc_u32_e32 v14, 0x1c000, v14
	ds_store_2addr_stride64_b32 v13, v21, v22 offset0:48 offset1:64
	ds_store_2addr_b64 v15, v[9:10], v[11:12] offset1:1
	ds_store_2addr_b64 v16, v[9:10], v[11:12] offset1:1
	ds_store_2addr_stride64_b32 v13, v17, v19 offset0:80 offset1:96
	ds_store_2addr_b64 v18, v[9:10], v[11:12] offset1:1
	ds_store_2addr_b64 v20, v[9:10], v[11:12] offset1:1
	ds_store_b32 v13, v25 offset:28672
	ds_store_2addr_b64 v14, v[9:10], v[11:12] offset1:1
	s_waitcnt vmcnt(0) lgkmcnt(0)
	s_waitcnt_vscnt null, 0x0
	s_barrier
	buffer_gl0_inv
	s_load_b32 s2, s[4:5], 0x0
	s_mov_b32 s5, s8
	v_lshrrev_b32_e32 v25, 6, v0
	s_waitcnt lgkmcnt(0)
	s_add_i32 s4, s2, s15
	s_delay_alu instid0(SALU_CYCLE_1) | instskip(NEXT) | instid1(SALU_CYCLE_1)
	s_lshl_b64 s[4:5], s[4:5], 2
	s_add_u32 s4, s6, s4
	s_addc_u32 s5, s7, s5
	s_and_not1_b32 vcc_lo, exec_lo, s3
	s_load_b32 s20, s[4:5], 0x0
	s_cbranch_vccnz .LBB73_34
; %bb.7:
	s_load_b64 s[2:3], s[0:1], 0x28
	s_waitcnt lgkmcnt(0)
	s_ashr_i32 s21, s20, 31
	v_subrev_nc_u32_e32 v9, s16, v25
	s_lshl_b64 s[4:5], s[20:21], 2
	s_mov_b32 s14, exec_lo
	s_add_u32 s2, s2, s4
	s_addc_u32 s3, s3, s5
	s_load_b64 s[2:3], s[2:3], 0x0
	s_waitcnt lgkmcnt(0)
	v_add_nc_u32_e32 v9, s2, v9
	s_sub_i32 s13, s3, s16
	s_delay_alu instid0(VALU_DEP_1) | instid1(SALU_CYCLE_1)
	v_cmpx_gt_i32_e64 s13, v9
	s_cbranch_execz .LBB73_33
; %bb.8:
	s_clause 0x1
	s_load_b64 s[2:3], s[0:1], 0x50
	s_load_b256 s[4:11], s[0:1], 0x30
	v_and_b32_e32 v10, 63, v0
	s_mov_b32 s15, 0
	s_delay_alu instid0(VALU_DEP_1)
	v_subrev_nc_u32_e32 v26, s17, v10
	s_branch .LBB73_10
.LBB73_9:                               ;   in Loop: Header=BB73_10 Depth=1
	s_or_b32 exec_lo, exec_lo, s21
	v_add_nc_u32_e32 v9, 16, v9
	s_delay_alu instid0(VALU_DEP_1) | instskip(SKIP_1) | instid1(SALU_CYCLE_1)
	v_cmp_le_i32_e32 vcc_lo, s13, v9
	s_or_b32 s15, vcc_lo, s15
	s_and_not1_b32 exec_lo, exec_lo, s15
	s_cbranch_execz .LBB73_33
.LBB73_10:                              ; =>This Loop Header: Depth=1
                                        ;     Child Loop BB73_13 Depth 2
                                        ;       Child Loop BB73_15 Depth 3
                                        ;         Child Loop BB73_21 Depth 4
                                        ;         Child Loop BB73_23 Depth 4
	;; [unrolled: 1-line block ×4, first 2 shown]
	v_ashrrev_i32_e32 v10, 31, v9
	s_mov_b32 s21, exec_lo
	s_delay_alu instid0(VALU_DEP_1) | instskip(SKIP_1) | instid1(VALU_DEP_1)
	v_lshlrev_b64 v[11:12], 2, v[9:10]
	s_waitcnt lgkmcnt(0)
	v_add_co_u32 v11, vcc_lo, s4, v11
	s_delay_alu instid0(VALU_DEP_2) | instskip(SKIP_3) | instid1(VALU_DEP_1)
	v_add_co_ci_u32_e32 v12, vcc_lo, s5, v12, vcc_lo
	global_load_b32 v11, v[11:12], off
	s_waitcnt vmcnt(0)
	v_subrev_nc_u32_e32 v11, s16, v11
	v_ashrrev_i32_e32 v12, 31, v11
	s_delay_alu instid0(VALU_DEP_1) | instskip(NEXT) | instid1(VALU_DEP_1)
	v_lshlrev_b64 v[11:12], 2, v[11:12]
	v_add_co_u32 v11, vcc_lo, s8, v11
	s_delay_alu instid0(VALU_DEP_2) | instskip(SKIP_4) | instid1(VALU_DEP_1)
	v_add_co_ci_u32_e32 v12, vcc_lo, s9, v12, vcc_lo
	global_load_b64 v[11:12], v[11:12], off
	s_waitcnt vmcnt(0)
	v_subrev_nc_u32_e32 v27, s17, v12
	v_add_nc_u32_e32 v11, v11, v26
	v_cmpx_lt_i32_e64 v11, v27
	s_cbranch_execz .LBB73_9
; %bb.11:                               ;   in Loop: Header=BB73_10 Depth=1
	v_lshlrev_b64 v[12:13], 4, v[9:10]
	s_mov_b32 s22, 0
	s_delay_alu instid0(VALU_DEP_1) | instskip(NEXT) | instid1(VALU_DEP_2)
	v_add_co_u32 v12, vcc_lo, s6, v12
	v_add_co_ci_u32_e32 v13, vcc_lo, s7, v13, vcc_lo
	global_load_b128 v[15:18], v[12:13], off
	s_waitcnt vmcnt(0)
	v_mul_f64 v[12:13], v[17:18], -v[7:8]
	v_mul_f64 v[17:18], v[5:6], v[17:18]
	s_delay_alu instid0(VALU_DEP_2) | instskip(NEXT) | instid1(VALU_DEP_2)
	v_fma_f64 v[13:14], v[5:6], v[15:16], v[12:13]
	v_fma_f64 v[15:16], v[7:8], v[15:16], v[17:18]
	s_branch .LBB73_13
.LBB73_12:                              ;   in Loop: Header=BB73_13 Depth=2
	s_or_b32 exec_lo, exec_lo, s23
	v_add_nc_u32_e32 v11, 64, v11
	s_delay_alu instid0(VALU_DEP_1) | instskip(SKIP_1) | instid1(SALU_CYCLE_1)
	v_cmp_ge_i32_e32 vcc_lo, v11, v27
	s_or_b32 s22, vcc_lo, s22
	s_and_not1_b32 exec_lo, exec_lo, s22
	s_cbranch_execz .LBB73_9
.LBB73_13:                              ;   Parent Loop BB73_10 Depth=1
                                        ; =>  This Loop Header: Depth=2
                                        ;       Child Loop BB73_15 Depth 3
                                        ;         Child Loop BB73_21 Depth 4
                                        ;         Child Loop BB73_23 Depth 4
	;; [unrolled: 1-line block ×4, first 2 shown]
	v_ashrrev_i32_e32 v12, 31, v11
	s_mov_b32 s23, 0
	s_delay_alu instid0(VALU_DEP_1) | instskip(NEXT) | instid1(VALU_DEP_1)
	v_lshlrev_b64 v[17:18], 4, v[11:12]
	v_add_co_u32 v17, vcc_lo, s2, v17
	s_delay_alu instid0(VALU_DEP_2) | instskip(SKIP_2) | instid1(VALU_DEP_1)
	v_add_co_ci_u32_e32 v18, vcc_lo, s3, v18, vcc_lo
	global_load_b128 v[19:22], v[17:18], off
	v_lshlrev_b64 v[17:18], 2, v[11:12]
	v_add_co_u32 v17, vcc_lo, s10, v17
	s_delay_alu instid0(VALU_DEP_2)
	v_add_co_ci_u32_e32 v18, vcc_lo, s11, v18, vcc_lo
	global_load_b32 v10, v[17:18], off
	s_waitcnt vmcnt(1)
	v_mul_f64 v[17:18], v[21:22], -v[15:16]
	v_mul_f64 v[21:22], v[13:14], v[21:22]
	s_waitcnt vmcnt(0)
	v_subrev_nc_u32_e32 v10, s17, v10
	s_delay_alu instid0(VALU_DEP_1) | instskip(NEXT) | instid1(VALU_DEP_1)
	v_mul_lo_u32 v12, 0x89, v10
	v_and_b32_e32 v12, 0x1fff, v12
	v_fma_f64 v[17:18], v[13:14], v[19:20], v[17:18]
	v_fma_f64 v[19:20], v[15:16], v[19:20], v[21:22]
	s_branch .LBB73_15
.LBB73_14:                              ;   in Loop: Header=BB73_15 Depth=3
	s_or_b32 exec_lo, exec_lo, s25
	s_xor_b32 s25, s26, -1
	s_delay_alu instid0(SALU_CYCLE_1) | instskip(NEXT) | instid1(SALU_CYCLE_1)
	s_and_b32 s25, exec_lo, s25
	s_or_b32 s23, s25, s23
	s_delay_alu instid0(SALU_CYCLE_1)
	s_and_not1_b32 exec_lo, exec_lo, s23
	s_cbranch_execz .LBB73_12
.LBB73_15:                              ;   Parent Loop BB73_10 Depth=1
                                        ;     Parent Loop BB73_13 Depth=2
                                        ; =>    This Loop Header: Depth=3
                                        ;         Child Loop BB73_21 Depth 4
                                        ;         Child Loop BB73_23 Depth 4
	;; [unrolled: 1-line block ×4, first 2 shown]
	s_delay_alu instid0(VALU_DEP_3)
	v_lshl_add_u32 v21, v12, 2, 0
	s_mov_b32 s25, exec_lo
                                        ; implicit-def: $sgpr26
	ds_load_b32 v22, v21
	s_waitcnt lgkmcnt(0)
	v_cmpx_ne_u32_e64 v22, v10
	s_xor_b32 s25, exec_lo, s25
	s_cbranch_execz .LBB73_27
; %bb.16:                               ;   in Loop: Header=BB73_15 Depth=3
	s_mov_b32 s27, exec_lo
                                        ; implicit-def: $sgpr26
	v_cmpx_ne_u32_e64 s24, v22
	s_xor_b32 s27, exec_lo, s27
; %bb.17:                               ;   in Loop: Header=BB73_15 Depth=3
	v_add_nc_u32_e32 v12, 1, v12
	s_mov_b32 s26, -1
                                        ; implicit-def: $vgpr21
	s_delay_alu instid0(VALU_DEP_1)
	v_and_b32_e32 v12, 0x1fff, v12
; %bb.18:                               ;   in Loop: Header=BB73_15 Depth=3
	s_and_not1_saveexec_b32 s27, s27
	s_cbranch_execz .LBB73_26
; %bb.19:                               ;   in Loop: Header=BB73_15 Depth=3
	v_mov_b32_e32 v22, s24
	s_mov_b32 s29, -1
	s_mov_b32 s28, exec_lo
	ds_cmpstore_rtn_b32 v22, v21, v10, v22
	s_waitcnt lgkmcnt(0)
	v_cmpx_eq_u32_e64 s24, v22
	s_cbranch_execz .LBB73_25
; %bb.20:                               ;   in Loop: Header=BB73_15 Depth=3
	v_mul_lo_u32 v22, v12, 12
	s_mov_b32 s29, 0
	s_delay_alu instid0(VALU_DEP_1)
	v_add_nc_u32_e32 v28, v21, v22
	ds_load_b64 v[21:22], v28 offset:32768
.LBB73_21:                              ;   Parent Loop BB73_10 Depth=1
                                        ;     Parent Loop BB73_13 Depth=2
                                        ;       Parent Loop BB73_15 Depth=3
                                        ; =>      This Inner Loop Header: Depth=4
	s_waitcnt lgkmcnt(0)
	v_add_f64 v[29:30], v[21:22], v[17:18]
	ds_cmpstore_rtn_b64 v[29:30], v28, v[29:30], v[21:22] offset:32768
	s_waitcnt lgkmcnt(0)
	v_cmp_eq_u64_e32 vcc_lo, v[29:30], v[21:22]
	v_dual_mov_b32 v21, v29 :: v_dual_mov_b32 v22, v30
	s_or_b32 s29, vcc_lo, s29
	s_delay_alu instid0(SALU_CYCLE_1)
	s_and_not1_b32 exec_lo, exec_lo, s29
	s_cbranch_execnz .LBB73_21
; %bb.22:                               ;   in Loop: Header=BB73_15 Depth=3
	s_or_b32 exec_lo, exec_lo, s29
	ds_load_b64 v[21:22], v28 offset:32776
	s_mov_b32 s29, 0
.LBB73_23:                              ;   Parent Loop BB73_10 Depth=1
                                        ;     Parent Loop BB73_13 Depth=2
                                        ;       Parent Loop BB73_15 Depth=3
                                        ; =>      This Inner Loop Header: Depth=4
	s_waitcnt lgkmcnt(0)
	v_add_f64 v[29:30], v[21:22], v[19:20]
	ds_cmpstore_rtn_b64 v[29:30], v28, v[29:30], v[21:22] offset:32776
	s_waitcnt lgkmcnt(0)
	v_cmp_eq_u64_e32 vcc_lo, v[29:30], v[21:22]
	v_dual_mov_b32 v21, v29 :: v_dual_mov_b32 v22, v30
	s_or_b32 s29, vcc_lo, s29
	s_delay_alu instid0(SALU_CYCLE_1)
	s_and_not1_b32 exec_lo, exec_lo, s29
	s_cbranch_execnz .LBB73_23
; %bb.24:                               ;   in Loop: Header=BB73_15 Depth=3
	s_or_b32 exec_lo, exec_lo, s29
	s_delay_alu instid0(SALU_CYCLE_1)
	s_xor_b32 s29, exec_lo, -1
.LBB73_25:                              ;   in Loop: Header=BB73_15 Depth=3
	s_or_b32 exec_lo, exec_lo, s28
	s_delay_alu instid0(SALU_CYCLE_1) | instskip(SKIP_1) | instid1(SALU_CYCLE_1)
	s_and_not1_b32 s26, s26, exec_lo
	s_and_b32 s28, s29, exec_lo
	s_or_b32 s26, s26, s28
.LBB73_26:                              ;   in Loop: Header=BB73_15 Depth=3
	s_or_b32 exec_lo, exec_lo, s27
	s_delay_alu instid0(SALU_CYCLE_1)
	s_and_b32 s26, s26, exec_lo
                                        ; implicit-def: $vgpr21
.LBB73_27:                              ;   in Loop: Header=BB73_15 Depth=3
	s_and_not1_saveexec_b32 s25, s25
	s_cbranch_execz .LBB73_14
; %bb.28:                               ;   in Loop: Header=BB73_15 Depth=3
	v_mul_lo_u32 v22, v12, 12
	s_mov_b32 s27, 0
	s_delay_alu instid0(VALU_DEP_1)
	v_add_nc_u32_e32 v28, v21, v22
	ds_load_b64 v[21:22], v28 offset:32768
.LBB73_29:                              ;   Parent Loop BB73_10 Depth=1
                                        ;     Parent Loop BB73_13 Depth=2
                                        ;       Parent Loop BB73_15 Depth=3
                                        ; =>      This Inner Loop Header: Depth=4
	s_waitcnt lgkmcnt(0)
	v_add_f64 v[29:30], v[21:22], v[17:18]
	ds_cmpstore_rtn_b64 v[29:30], v28, v[29:30], v[21:22] offset:32768
	s_waitcnt lgkmcnt(0)
	v_cmp_eq_u64_e32 vcc_lo, v[29:30], v[21:22]
	v_dual_mov_b32 v21, v29 :: v_dual_mov_b32 v22, v30
	s_or_b32 s27, vcc_lo, s27
	s_delay_alu instid0(SALU_CYCLE_1)
	s_and_not1_b32 exec_lo, exec_lo, s27
	s_cbranch_execnz .LBB73_29
; %bb.30:                               ;   in Loop: Header=BB73_15 Depth=3
	s_or_b32 exec_lo, exec_lo, s27
	ds_load_b64 v[21:22], v28 offset:32776
	s_mov_b32 s27, 0
.LBB73_31:                              ;   Parent Loop BB73_10 Depth=1
                                        ;     Parent Loop BB73_13 Depth=2
                                        ;       Parent Loop BB73_15 Depth=3
                                        ; =>      This Inner Loop Header: Depth=4
	s_waitcnt lgkmcnt(0)
	v_add_f64 v[29:30], v[21:22], v[19:20]
	ds_cmpstore_rtn_b64 v[29:30], v28, v[29:30], v[21:22] offset:32776
	s_waitcnt lgkmcnt(0)
	v_cmp_eq_u64_e32 vcc_lo, v[29:30], v[21:22]
	v_dual_mov_b32 v21, v29 :: v_dual_mov_b32 v22, v30
	s_or_b32 s27, vcc_lo, s27
	s_delay_alu instid0(SALU_CYCLE_1)
	s_and_not1_b32 exec_lo, exec_lo, s27
	s_cbranch_execnz .LBB73_31
; %bb.32:                               ;   in Loop: Header=BB73_15 Depth=3
	s_or_b32 exec_lo, exec_lo, s27
	s_delay_alu instid0(SALU_CYCLE_1)
	s_and_not1_b32 s26, s26, exec_lo
	s_branch .LBB73_14
.LBB73_33:
	s_or_b32 exec_lo, exec_lo, s14
.LBB73_34:
	s_clause 0x1
	s_load_b64 s[16:17], s[0:1], 0x90
	s_load_b64 s[22:23], s[0:1], 0x80
	s_and_not1_b32 vcc_lo, exec_lo, s12
	s_cbranch_vccnz .LBB73_59
; %bb.35:
	s_load_b64 s[2:3], s[0:1], 0x68
	s_waitcnt lgkmcnt(0)
	s_ashr_i32 s21, s20, 31
	v_subrev_nc_u32_e32 v5, s19, v0
	s_lshl_b64 s[4:5], s[20:21], 2
	s_delay_alu instid0(SALU_CYCLE_1)
	s_add_u32 s2, s2, s4
	s_addc_u32 s3, s3, s5
	s_mov_b32 s5, exec_lo
	s_load_b64 s[2:3], s[2:3], 0x0
	s_waitcnt lgkmcnt(0)
	v_add_nc_u32_e32 v5, s2, v5
	s_sub_i32 s4, s3, s19
	s_delay_alu instid0(VALU_DEP_1) | instid1(SALU_CYCLE_1)
	v_cmpx_gt_i32_e64 s4, v5
	s_cbranch_execz .LBB73_58
; %bb.36:
	s_load_b128 s[0:3], s[0:1], 0x70
	s_mov_b32 s6, 0
	s_branch .LBB73_38
.LBB73_37:                              ;   in Loop: Header=BB73_38 Depth=1
	s_or_b32 exec_lo, exec_lo, s7
	v_add_nc_u32_e32 v5, 0x400, v5
	s_delay_alu instid0(VALU_DEP_1) | instskip(SKIP_1) | instid1(SALU_CYCLE_1)
	v_cmp_le_i32_e32 vcc_lo, s4, v5
	s_or_b32 s6, vcc_lo, s6
	s_and_not1_b32 exec_lo, exec_lo, s6
	s_cbranch_execz .LBB73_58
.LBB73_38:                              ; =>This Loop Header: Depth=1
                                        ;     Child Loop BB73_40 Depth 2
                                        ;       Child Loop BB73_46 Depth 3
                                        ;       Child Loop BB73_48 Depth 3
	;; [unrolled: 1-line block ×4, first 2 shown]
	v_ashrrev_i32_e32 v6, 31, v5
	s_mov_b32 s7, 0
	s_delay_alu instid0(VALU_DEP_1) | instskip(SKIP_1) | instid1(VALU_DEP_1)
	v_lshlrev_b64 v[7:8], 4, v[5:6]
	s_waitcnt lgkmcnt(0)
	v_add_co_u32 v7, vcc_lo, s2, v7
	s_delay_alu instid0(VALU_DEP_2) | instskip(SKIP_2) | instid1(VALU_DEP_1)
	v_add_co_ci_u32_e32 v8, vcc_lo, s3, v8, vcc_lo
	global_load_b128 v[8:11], v[7:8], off
	v_lshlrev_b64 v[6:7], 2, v[5:6]
	v_add_co_u32 v6, vcc_lo, s0, v6
	s_delay_alu instid0(VALU_DEP_2)
	v_add_co_ci_u32_e32 v7, vcc_lo, s1, v7, vcc_lo
	global_load_b32 v12, v[6:7], off
	s_waitcnt vmcnt(1)
	v_mul_f64 v[6:7], v[10:11], -v[1:2]
	v_mul_f64 v[10:11], v[3:4], v[10:11]
	s_waitcnt vmcnt(0)
	v_subrev_nc_u32_e32 v12, s19, v12
	s_delay_alu instid0(VALU_DEP_3) | instskip(NEXT) | instid1(VALU_DEP_3)
	v_fma_f64 v[6:7], v[3:4], v[8:9], v[6:7]
	v_fma_f64 v[8:9], v[1:2], v[8:9], v[10:11]
	s_delay_alu instid0(VALU_DEP_3) | instskip(NEXT) | instid1(VALU_DEP_1)
	v_mul_lo_u32 v10, 0x89, v12
	v_and_b32_e32 v13, 0x1fff, v10
	s_branch .LBB73_40
.LBB73_39:                              ;   in Loop: Header=BB73_40 Depth=2
	s_or_b32 exec_lo, exec_lo, s8
	s_xor_b32 s8, s9, -1
	s_delay_alu instid0(SALU_CYCLE_1) | instskip(NEXT) | instid1(SALU_CYCLE_1)
	s_and_b32 s8, exec_lo, s8
	s_or_b32 s7, s8, s7
	s_delay_alu instid0(SALU_CYCLE_1)
	s_and_not1_b32 exec_lo, exec_lo, s7
	s_cbranch_execz .LBB73_37
.LBB73_40:                              ;   Parent Loop BB73_38 Depth=1
                                        ; =>  This Loop Header: Depth=2
                                        ;       Child Loop BB73_46 Depth 3
                                        ;       Child Loop BB73_48 Depth 3
	;; [unrolled: 1-line block ×4, first 2 shown]
	s_delay_alu instid0(VALU_DEP_1)
	v_lshl_add_u32 v10, v13, 2, 0
	s_mov_b32 s8, exec_lo
                                        ; implicit-def: $sgpr9
	ds_load_b32 v11, v10
	s_waitcnt lgkmcnt(0)
	v_cmpx_ne_u32_e64 v11, v12
	s_xor_b32 s8, exec_lo, s8
	s_cbranch_execz .LBB73_52
; %bb.41:                               ;   in Loop: Header=BB73_40 Depth=2
	s_mov_b32 s10, exec_lo
                                        ; implicit-def: $sgpr9
	v_cmpx_ne_u32_e64 s24, v11
	s_xor_b32 s10, exec_lo, s10
; %bb.42:                               ;   in Loop: Header=BB73_40 Depth=2
	v_add_nc_u32_e32 v10, 1, v13
	s_mov_b32 s9, -1
	s_delay_alu instid0(VALU_DEP_1)
	v_and_b32_e32 v13, 0x1fff, v10
                                        ; implicit-def: $vgpr10
; %bb.43:                               ;   in Loop: Header=BB73_40 Depth=2
	s_and_not1_saveexec_b32 s10, s10
	s_cbranch_execz .LBB73_51
; %bb.44:                               ;   in Loop: Header=BB73_40 Depth=2
	v_mov_b32_e32 v11, s24
	s_mov_b32 s12, -1
	s_mov_b32 s11, exec_lo
	ds_cmpstore_rtn_b32 v11, v10, v12, v11
	s_waitcnt lgkmcnt(0)
	v_cmpx_eq_u32_e64 s24, v11
	s_cbranch_execz .LBB73_50
; %bb.45:                               ;   in Loop: Header=BB73_40 Depth=2
	v_mul_lo_u32 v11, v13, 12
	s_mov_b32 s12, 0
	s_delay_alu instid0(VALU_DEP_1)
	v_add_nc_u32_e32 v14, v10, v11
	ds_load_b64 v[10:11], v14 offset:32768
.LBB73_46:                              ;   Parent Loop BB73_38 Depth=1
                                        ;     Parent Loop BB73_40 Depth=2
                                        ; =>    This Inner Loop Header: Depth=3
	s_waitcnt lgkmcnt(0)
	v_add_f64 v[15:16], v[10:11], v[6:7]
	ds_cmpstore_rtn_b64 v[15:16], v14, v[15:16], v[10:11] offset:32768
	s_waitcnt lgkmcnt(0)
	v_cmp_eq_u64_e32 vcc_lo, v[15:16], v[10:11]
	v_dual_mov_b32 v10, v15 :: v_dual_mov_b32 v11, v16
	s_or_b32 s12, vcc_lo, s12
	s_delay_alu instid0(SALU_CYCLE_1)
	s_and_not1_b32 exec_lo, exec_lo, s12
	s_cbranch_execnz .LBB73_46
; %bb.47:                               ;   in Loop: Header=BB73_40 Depth=2
	s_or_b32 exec_lo, exec_lo, s12
	ds_load_b64 v[10:11], v14 offset:32776
	s_mov_b32 s12, 0
.LBB73_48:                              ;   Parent Loop BB73_38 Depth=1
                                        ;     Parent Loop BB73_40 Depth=2
                                        ; =>    This Inner Loop Header: Depth=3
	s_waitcnt lgkmcnt(0)
	v_add_f64 v[15:16], v[10:11], v[8:9]
	ds_cmpstore_rtn_b64 v[15:16], v14, v[15:16], v[10:11] offset:32776
	s_waitcnt lgkmcnt(0)
	v_cmp_eq_u64_e32 vcc_lo, v[15:16], v[10:11]
	v_dual_mov_b32 v10, v15 :: v_dual_mov_b32 v11, v16
	s_or_b32 s12, vcc_lo, s12
	s_delay_alu instid0(SALU_CYCLE_1)
	s_and_not1_b32 exec_lo, exec_lo, s12
	s_cbranch_execnz .LBB73_48
; %bb.49:                               ;   in Loop: Header=BB73_40 Depth=2
	s_or_b32 exec_lo, exec_lo, s12
	s_delay_alu instid0(SALU_CYCLE_1)
	s_xor_b32 s12, exec_lo, -1
.LBB73_50:                              ;   in Loop: Header=BB73_40 Depth=2
	s_or_b32 exec_lo, exec_lo, s11
	s_delay_alu instid0(SALU_CYCLE_1) | instskip(SKIP_1) | instid1(SALU_CYCLE_1)
	s_and_not1_b32 s9, s9, exec_lo
	s_and_b32 s11, s12, exec_lo
	s_or_b32 s9, s9, s11
.LBB73_51:                              ;   in Loop: Header=BB73_40 Depth=2
	s_or_b32 exec_lo, exec_lo, s10
	s_delay_alu instid0(SALU_CYCLE_1)
	s_and_b32 s9, s9, exec_lo
                                        ; implicit-def: $vgpr10
.LBB73_52:                              ;   in Loop: Header=BB73_40 Depth=2
	s_and_not1_saveexec_b32 s8, s8
	s_cbranch_execz .LBB73_39
; %bb.53:                               ;   in Loop: Header=BB73_40 Depth=2
	v_mul_lo_u32 v11, v13, 12
	s_mov_b32 s10, 0
	s_delay_alu instid0(VALU_DEP_1)
	v_add_nc_u32_e32 v14, v10, v11
	ds_load_b64 v[10:11], v14 offset:32768
.LBB73_54:                              ;   Parent Loop BB73_38 Depth=1
                                        ;     Parent Loop BB73_40 Depth=2
                                        ; =>    This Inner Loop Header: Depth=3
	s_waitcnt lgkmcnt(0)
	v_add_f64 v[15:16], v[10:11], v[6:7]
	ds_cmpstore_rtn_b64 v[15:16], v14, v[15:16], v[10:11] offset:32768
	s_waitcnt lgkmcnt(0)
	v_cmp_eq_u64_e32 vcc_lo, v[15:16], v[10:11]
	v_dual_mov_b32 v10, v15 :: v_dual_mov_b32 v11, v16
	s_or_b32 s10, vcc_lo, s10
	s_delay_alu instid0(SALU_CYCLE_1)
	s_and_not1_b32 exec_lo, exec_lo, s10
	s_cbranch_execnz .LBB73_54
; %bb.55:                               ;   in Loop: Header=BB73_40 Depth=2
	s_or_b32 exec_lo, exec_lo, s10
	ds_load_b64 v[10:11], v14 offset:32776
	s_mov_b32 s10, 0
.LBB73_56:                              ;   Parent Loop BB73_38 Depth=1
                                        ;     Parent Loop BB73_40 Depth=2
                                        ; =>    This Inner Loop Header: Depth=3
	s_waitcnt lgkmcnt(0)
	v_add_f64 v[15:16], v[10:11], v[8:9]
	ds_cmpstore_rtn_b64 v[15:16], v14, v[15:16], v[10:11] offset:32776
	s_waitcnt lgkmcnt(0)
	v_cmp_eq_u64_e32 vcc_lo, v[15:16], v[10:11]
	v_dual_mov_b32 v10, v15 :: v_dual_mov_b32 v11, v16
	s_or_b32 s10, vcc_lo, s10
	s_delay_alu instid0(SALU_CYCLE_1)
	s_and_not1_b32 exec_lo, exec_lo, s10
	s_cbranch_execnz .LBB73_56
; %bb.57:                               ;   in Loop: Header=BB73_40 Depth=2
	s_or_b32 exec_lo, exec_lo, s10
	s_delay_alu instid0(SALU_CYCLE_1)
	s_and_not1_b32 s9, s9, exec_lo
	s_branch .LBB73_39
.LBB73_58:
	s_or_b32 exec_lo, exec_lo, s5
.LBB73_59:
	v_mbcnt_lo_u32_b32 v1, -1, 0
	v_dual_mov_b32 v5, 0 :: v_dual_lshlrev_b32 v2, 2, v25
	s_add_i32 s36, 0, 0x2803c
	v_cmp_eq_u32_e32 vcc_lo, 0x3ff, v0
	s_delay_alu instid0(VALU_DEP_3) | instskip(NEXT) | instid1(VALU_DEP_3)
	v_xor_b32_e32 v1, 63, v1
	v_add3_u32 v3, 0, 0x28000, v2
	v_cmp_lt_u32_e64 s0, 63, v0
	v_cmp_lt_u32_e64 s1, 0x7f, v0
	v_cmp_lt_u32_e64 s2, 0xbf, v0
	v_lshrrev_b64 v[1:2], v1, -1
	v_cmp_lt_u32_e64 s3, 0xff, v0
	v_cmp_lt_u32_e64 s4, 0x13f, v0
	;; [unrolled: 1-line block ×12, first 2 shown]
	v_add3_u32 v2, v24, 0, 0x8000
	v_or_b32_e32 v4, 0xfffffc00, v0
	v_mov_b32_e32 v6, s36
	s_mov_b32 s19, 0
	s_add_i32 s21, 0, 0x28000
	s_add_i32 s25, 0, 0x28004
	;; [unrolled: 1-line block ×15, first 2 shown]
	s_waitcnt lgkmcnt(0)
	s_barrier
	buffer_gl0_inv
	s_branch .LBB73_61
.LBB73_60:                              ;   in Loop: Header=BB73_61 Depth=1
	s_or_b32 exec_lo, exec_lo, s15
	s_waitcnt lgkmcnt(0)
	s_barrier
	buffer_gl0_inv
	ds_load_b32 v7, v6
	v_add_nc_u32_e32 v4, 0x400, v4
	v_add_nc_u32_e32 v2, 0x4000, v2
	;; [unrolled: 1-line block ×3, first 2 shown]
	s_delay_alu instid0(VALU_DEP_3) | instskip(NEXT) | instid1(VALU_DEP_1)
	v_cmp_lt_u32_e64 s15, 0x1bff, v4
	s_or_b32 s19, s15, s19
	s_waitcnt lgkmcnt(0)
	v_add_nc_u32_e32 v5, v7, v5
	s_and_not1_b32 exec_lo, exec_lo, s19
	s_cbranch_execz .LBB73_95
.LBB73_61:                              ; =>This Inner Loop Header: Depth=1
	ds_load_b32 v7, v23
	ds_load_2addr_b64 v[8:11], v2 offset1:1
	s_waitcnt lgkmcnt(1)
	v_cmp_gt_i32_e64 s15, s24, v7
	s_waitcnt lgkmcnt(0)
	scratch_store_b128 off, v[8:11], off
	s_waitcnt_vscnt null, 0x0
	s_barrier
	buffer_gl0_inv
	s_bcnt1_i32_b32 s41, s15
	s_delay_alu instid0(SALU_CYCLE_1) | instskip(NEXT) | instid1(VALU_DEP_1)
	v_dual_mov_b32 v9, s41 :: v_dual_and_b32 v8, s15, v1
	v_bcnt_u32_b32 v8, v8, 0
	ds_store_b32 v3, v9
	s_waitcnt lgkmcnt(0)
	s_barrier
	buffer_gl0_inv
	s_and_saveexec_b32 s41, s0
	s_cbranch_execnz .LBB73_78
; %bb.62:                               ;   in Loop: Header=BB73_61 Depth=1
	s_or_b32 exec_lo, exec_lo, s41
	s_and_saveexec_b32 s41, s1
	s_cbranch_execnz .LBB73_79
.LBB73_63:                              ;   in Loop: Header=BB73_61 Depth=1
	s_or_b32 exec_lo, exec_lo, s41
	s_and_saveexec_b32 s41, s2
	s_cbranch_execnz .LBB73_80
.LBB73_64:                              ;   in Loop: Header=BB73_61 Depth=1
	s_or_b32 exec_lo, exec_lo, s41
	s_and_saveexec_b32 s41, s3
	s_cbranch_execnz .LBB73_81
.LBB73_65:                              ;   in Loop: Header=BB73_61 Depth=1
	s_or_b32 exec_lo, exec_lo, s41
	s_and_saveexec_b32 s41, s4
	s_cbranch_execnz .LBB73_82
.LBB73_66:                              ;   in Loop: Header=BB73_61 Depth=1
	s_or_b32 exec_lo, exec_lo, s41
	s_and_saveexec_b32 s41, s5
	s_cbranch_execnz .LBB73_83
.LBB73_67:                              ;   in Loop: Header=BB73_61 Depth=1
	s_or_b32 exec_lo, exec_lo, s41
	s_and_saveexec_b32 s41, s6
	s_cbranch_execnz .LBB73_84
.LBB73_68:                              ;   in Loop: Header=BB73_61 Depth=1
	s_or_b32 exec_lo, exec_lo, s41
	s_and_saveexec_b32 s41, s7
	s_cbranch_execnz .LBB73_85
.LBB73_69:                              ;   in Loop: Header=BB73_61 Depth=1
	s_or_b32 exec_lo, exec_lo, s41
	s_and_saveexec_b32 s41, s8
	s_cbranch_execnz .LBB73_86
.LBB73_70:                              ;   in Loop: Header=BB73_61 Depth=1
	s_or_b32 exec_lo, exec_lo, s41
	s_and_saveexec_b32 s41, s9
	s_cbranch_execnz .LBB73_87
.LBB73_71:                              ;   in Loop: Header=BB73_61 Depth=1
	s_or_b32 exec_lo, exec_lo, s41
	s_and_saveexec_b32 s41, s10
	s_cbranch_execnz .LBB73_88
.LBB73_72:                              ;   in Loop: Header=BB73_61 Depth=1
	s_or_b32 exec_lo, exec_lo, s41
	s_and_saveexec_b32 s41, s11
	s_cbranch_execnz .LBB73_89
.LBB73_73:                              ;   in Loop: Header=BB73_61 Depth=1
	s_or_b32 exec_lo, exec_lo, s41
	s_and_saveexec_b32 s41, s12
	s_cbranch_execnz .LBB73_90
.LBB73_74:                              ;   in Loop: Header=BB73_61 Depth=1
	s_or_b32 exec_lo, exec_lo, s41
	s_and_saveexec_b32 s41, s13
	s_cbranch_execnz .LBB73_91
.LBB73_75:                              ;   in Loop: Header=BB73_61 Depth=1
	s_or_b32 exec_lo, exec_lo, s41
	s_and_saveexec_b32 s41, s14
	s_cbranch_execnz .LBB73_92
.LBB73_76:                              ;   in Loop: Header=BB73_61 Depth=1
	s_or_b32 exec_lo, exec_lo, s41
	s_and_saveexec_b32 s41, s15
	s_cbranch_execnz .LBB73_93
.LBB73_77:                              ;   in Loop: Header=BB73_61 Depth=1
	s_or_b32 exec_lo, exec_lo, s41
	s_and_saveexec_b32 s15, vcc_lo
	s_cbranch_execz .LBB73_60
	s_branch .LBB73_94
.LBB73_78:                              ;   in Loop: Header=BB73_61 Depth=1
	v_mov_b32_e32 v9, s21
	ds_load_b32 v9, v9
	s_waitcnt lgkmcnt(0)
	v_add_nc_u32_e32 v8, v9, v8
	s_or_b32 exec_lo, exec_lo, s41
	s_and_saveexec_b32 s41, s1
	s_cbranch_execz .LBB73_63
.LBB73_79:                              ;   in Loop: Header=BB73_61 Depth=1
	v_mov_b32_e32 v9, s25
	ds_load_b32 v9, v9
	s_waitcnt lgkmcnt(0)
	v_add_nc_u32_e32 v8, v9, v8
	s_or_b32 exec_lo, exec_lo, s41
	s_and_saveexec_b32 s41, s2
	s_cbranch_execz .LBB73_64
.LBB73_80:                              ;   in Loop: Header=BB73_61 Depth=1
	v_mov_b32_e32 v9, s26
	ds_load_b32 v9, v9
	s_waitcnt lgkmcnt(0)
	v_add_nc_u32_e32 v8, v9, v8
	s_or_b32 exec_lo, exec_lo, s41
	s_and_saveexec_b32 s41, s3
	s_cbranch_execz .LBB73_65
.LBB73_81:                              ;   in Loop: Header=BB73_61 Depth=1
	v_mov_b32_e32 v9, s27
	ds_load_b32 v9, v9
	s_waitcnt lgkmcnt(0)
	v_add_nc_u32_e32 v8, v9, v8
	s_or_b32 exec_lo, exec_lo, s41
	s_and_saveexec_b32 s41, s4
	s_cbranch_execz .LBB73_66
.LBB73_82:                              ;   in Loop: Header=BB73_61 Depth=1
	v_mov_b32_e32 v9, s28
	ds_load_b32 v9, v9
	s_waitcnt lgkmcnt(0)
	v_add_nc_u32_e32 v8, v9, v8
	s_or_b32 exec_lo, exec_lo, s41
	s_and_saveexec_b32 s41, s5
	s_cbranch_execz .LBB73_67
.LBB73_83:                              ;   in Loop: Header=BB73_61 Depth=1
	v_mov_b32_e32 v9, s29
	ds_load_b32 v9, v9
	s_waitcnt lgkmcnt(0)
	v_add_nc_u32_e32 v8, v9, v8
	s_or_b32 exec_lo, exec_lo, s41
	s_and_saveexec_b32 s41, s6
	s_cbranch_execz .LBB73_68
.LBB73_84:                              ;   in Loop: Header=BB73_61 Depth=1
	v_mov_b32_e32 v9, s30
	ds_load_b32 v9, v9
	s_waitcnt lgkmcnt(0)
	v_add_nc_u32_e32 v8, v9, v8
	s_or_b32 exec_lo, exec_lo, s41
	s_and_saveexec_b32 s41, s7
	s_cbranch_execz .LBB73_69
.LBB73_85:                              ;   in Loop: Header=BB73_61 Depth=1
	v_mov_b32_e32 v9, s31
	ds_load_b32 v9, v9
	s_waitcnt lgkmcnt(0)
	v_add_nc_u32_e32 v8, v9, v8
	s_or_b32 exec_lo, exec_lo, s41
	s_and_saveexec_b32 s41, s8
	s_cbranch_execz .LBB73_70
.LBB73_86:                              ;   in Loop: Header=BB73_61 Depth=1
	v_mov_b32_e32 v9, s33
	ds_load_b32 v9, v9
	s_waitcnt lgkmcnt(0)
	v_add_nc_u32_e32 v8, v9, v8
	s_or_b32 exec_lo, exec_lo, s41
	s_and_saveexec_b32 s41, s9
	s_cbranch_execz .LBB73_71
.LBB73_87:                              ;   in Loop: Header=BB73_61 Depth=1
	v_mov_b32_e32 v9, s34
	ds_load_b32 v9, v9
	s_waitcnt lgkmcnt(0)
	v_add_nc_u32_e32 v8, v9, v8
	s_or_b32 exec_lo, exec_lo, s41
	s_and_saveexec_b32 s41, s10
	s_cbranch_execz .LBB73_72
.LBB73_88:                              ;   in Loop: Header=BB73_61 Depth=1
	v_mov_b32_e32 v9, s35
	ds_load_b32 v9, v9
	s_waitcnt lgkmcnt(0)
	v_add_nc_u32_e32 v8, v9, v8
	s_or_b32 exec_lo, exec_lo, s41
	s_and_saveexec_b32 s41, s11
	s_cbranch_execz .LBB73_73
.LBB73_89:                              ;   in Loop: Header=BB73_61 Depth=1
	v_mov_b32_e32 v9, s37
	ds_load_b32 v9, v9
	s_waitcnt lgkmcnt(0)
	v_add_nc_u32_e32 v8, v9, v8
	s_or_b32 exec_lo, exec_lo, s41
	s_and_saveexec_b32 s41, s12
	s_cbranch_execz .LBB73_74
.LBB73_90:                              ;   in Loop: Header=BB73_61 Depth=1
	v_mov_b32_e32 v9, s38
	ds_load_b32 v9, v9
	s_waitcnt lgkmcnt(0)
	v_add_nc_u32_e32 v8, v9, v8
	s_or_b32 exec_lo, exec_lo, s41
	s_and_saveexec_b32 s41, s13
	s_cbranch_execz .LBB73_75
.LBB73_91:                              ;   in Loop: Header=BB73_61 Depth=1
	v_mov_b32_e32 v9, s39
	ds_load_b32 v9, v9
	s_waitcnt lgkmcnt(0)
	v_add_nc_u32_e32 v8, v9, v8
	s_or_b32 exec_lo, exec_lo, s41
	s_and_saveexec_b32 s41, s14
	s_cbranch_execz .LBB73_76
.LBB73_92:                              ;   in Loop: Header=BB73_61 Depth=1
	v_mov_b32_e32 v9, s40
	ds_load_b32 v9, v9
	s_waitcnt lgkmcnt(0)
	v_add_nc_u32_e32 v8, v9, v8
	s_or_b32 exec_lo, exec_lo, s41
	s_and_saveexec_b32 s41, s15
	s_cbranch_execz .LBB73_77
.LBB73_93:                              ;   in Loop: Header=BB73_61 Depth=1
	scratch_load_b128 v[9:12], off, off
	v_add3_u32 v13, v5, -1, v8
	s_delay_alu instid0(VALU_DEP_1) | instskip(SKIP_1) | instid1(VALU_DEP_2)
	v_lshlrev_b32_e32 v14, 4, v13
	v_lshl_add_u32 v13, v13, 2, 0
	v_add3_u32 v14, 0, v14, 0x8000
	ds_store_b32 v13, v7
	s_waitcnt vmcnt(0)
	ds_store_2addr_b64 v14, v[9:10], v[11:12] offset1:1
	s_or_b32 exec_lo, exec_lo, s41
	s_and_saveexec_b32 s15, vcc_lo
	s_cbranch_execz .LBB73_60
.LBB73_94:                              ;   in Loop: Header=BB73_61 Depth=1
	v_mov_b32_e32 v7, s36
	ds_store_b32 v7, v8
	s_branch .LBB73_60
.LBB73_95:
	s_or_b32 exec_lo, exec_lo, s19
	s_ashr_i32 s21, s20, 31
	s_mov_b32 s3, exec_lo
	s_lshl_b64 s[0:1], s[20:21], 2
	s_delay_alu instid0(SALU_CYCLE_1) | instskip(SKIP_4) | instid1(SALU_CYCLE_1)
	s_add_u32 s0, s22, s0
	s_addc_u32 s1, s23, s1
	s_load_b64 s[0:1], s[0:1], 0x0
	s_waitcnt lgkmcnt(0)
	s_sub_i32 s2, s1, s0
	v_cmpx_gt_i32_e64 s2, v0
	s_cbranch_execz .LBB73_105
; %bb.96:
	s_sub_i32 s3, s0, s18
	s_sub_i32 s0, s0, s1
	s_and_b32 s1, s2, 7
	s_cmp_lt_u32 s0, -7
	s_mov_b32 s7, 0
	s_cselect_b32 s4, -1, 0
	s_and_b32 s5, s2, -8
	s_cmp_lg_u32 s1, 0
	s_cselect_b32 s6, -1, 0
	s_branch .LBB73_98
.LBB73_97:                              ;   in Loop: Header=BB73_98 Depth=1
	s_waitcnt lgkmcnt(0)
	v_mul_lo_u32 v3, v0, 12
	v_add_nc_u32_e32 v0, 0x400, v0
	s_delay_alu instid0(VALU_DEP_1) | instskip(NEXT) | instid1(VALU_DEP_3)
	v_cmp_le_i32_e32 vcc_lo, s2, v0
	v_add3_u32 v2, v2, v3, 0x8000
	s_or_b32 s7, vcc_lo, s7
	ds_load_2addr_b64 v[3:6], v2 offset1:1
	v_ashrrev_i32_e32 v2, 31, v1
	s_delay_alu instid0(VALU_DEP_1) | instskip(NEXT) | instid1(VALU_DEP_1)
	v_lshlrev_b64 v[1:2], 4, v[1:2]
	v_add_co_u32 v1, s0, s16, v1
	s_delay_alu instid0(VALU_DEP_1)
	v_add_co_ci_u32_e64 v2, s0, s17, v2, s0
	s_waitcnt lgkmcnt(0)
	global_store_b128 v[1:2], v[3:6], off
	s_and_not1_b32 exec_lo, exec_lo, s7
	s_cbranch_execz .LBB73_105
.LBB73_98:                              ; =>This Loop Header: Depth=1
                                        ;     Child Loop BB73_100 Depth 2
                                        ;     Child Loop BB73_104 Depth 2
	v_lshl_add_u32 v2, v0, 2, 0
	v_mov_b32_e32 v1, s3
	s_and_not1_b32 vcc_lo, exec_lo, s4
	s_mov_b32 s0, 0
	ds_load_b32 v3, v2
	s_cbranch_vccnz .LBB73_102
; %bb.99:                               ;   in Loop: Header=BB73_98 Depth=1
	v_mov_b32_e32 v1, s3
	s_mov_b32 s8, 0
	s_set_inst_prefetch_distance 0x1
	.p2align	6
.LBB73_100:                             ;   Parent Loop BB73_98 Depth=1
                                        ; =>  This Inner Loop Header: Depth=2
	v_mov_b32_e32 v10, s8
	s_add_i32 s0, s0, 8
	s_add_i32 s8, s8, 32
	s_cmp_eq_u32 s5, s0
	ds_load_2addr_b32 v[4:5], v10 offset1:1
	ds_load_2addr_b32 v[6:7], v10 offset0:2 offset1:3
	ds_load_2addr_b32 v[8:9], v10 offset0:4 offset1:5
	;; [unrolled: 1-line block ×3, first 2 shown]
	s_waitcnt lgkmcnt(3)
	v_cmp_gt_i32_e32 vcc_lo, v3, v4
	v_cndmask_b32_e64 v4, 0, 1, vcc_lo
	s_waitcnt lgkmcnt(2)
	v_cmp_gt_i32_e32 vcc_lo, v3, v6
	v_cndmask_b32_e64 v6, 0, 1, vcc_lo
	v_cmp_gt_i32_e32 vcc_lo, v3, v5
	v_add_co_ci_u32_e32 v1, vcc_lo, v1, v4, vcc_lo
	s_waitcnt lgkmcnt(1)
	v_cmp_gt_i32_e32 vcc_lo, v3, v8
	v_cndmask_b32_e64 v4, 0, 1, vcc_lo
	v_cmp_gt_i32_e32 vcc_lo, v3, v7
	v_add_co_ci_u32_e32 v1, vcc_lo, v1, v6, vcc_lo
	;; [unrolled: 5-line block ×3, first 2 shown]
	v_cmp_gt_i32_e32 vcc_lo, v3, v11
	s_delay_alu instid0(VALU_DEP_2)
	v_add_co_ci_u32_e32 v1, vcc_lo, v1, v5, vcc_lo
	s_cbranch_scc0 .LBB73_100
; %bb.101:                              ;   in Loop: Header=BB73_98 Depth=1
	s_set_inst_prefetch_distance 0x2
	s_mov_b32 s0, s5
.LBB73_102:                             ;   in Loop: Header=BB73_98 Depth=1
	s_and_not1_b32 vcc_lo, exec_lo, s6
	s_cbranch_vccnz .LBB73_97
; %bb.103:                              ;   in Loop: Header=BB73_98 Depth=1
	s_lshl_b32 s0, s0, 2
	s_mov_b32 s8, s1
	s_add_i32 s0, s0, 0
.LBB73_104:                             ;   Parent Loop BB73_98 Depth=1
                                        ; =>  This Inner Loop Header: Depth=2
	s_delay_alu instid0(SALU_CYCLE_1)
	v_mov_b32_e32 v4, s0
	s_add_i32 s8, s8, -1
	s_add_i32 s0, s0, 4
	s_cmp_lg_u32 s8, 0
	ds_load_b32 v4, v4
	s_waitcnt lgkmcnt(0)
	v_cmp_gt_i32_e32 vcc_lo, v3, v4
	v_add_co_ci_u32_e32 v1, vcc_lo, 0, v1, vcc_lo
	s_cbranch_scc1 .LBB73_104
	s_branch .LBB73_97
.LBB73_105:
	s_nop 0
	s_sendmsg sendmsg(MSG_DEALLOC_VGPRS)
	s_endpgm
	.section	.rodata,"a",@progbits
	.p2align	6, 0x0
	.amdhsa_kernel _ZN9rocsparseL41csrgemm_numeric_fill_block_per_row_kernelILj1024ELj64ELj8192ELj137ELj64Eii21rocsparse_complex_numIdEEEvT5_PKS3_S5_NS_24const_host_device_scalarIT6_EEPKT4_S5_PKS7_SB_S5_SD_S8_SB_S5_SD_SB_S5_PS7_21rocsparse_index_base_SF_SF_SF_bbb
		.amdhsa_group_segment_fixed_size 0
		.amdhsa_private_segment_fixed_size 40
		.amdhsa_kernarg_size 172
		.amdhsa_user_sgpr_count 15
		.amdhsa_user_sgpr_dispatch_ptr 0
		.amdhsa_user_sgpr_queue_ptr 0
		.amdhsa_user_sgpr_kernarg_segment_ptr 1
		.amdhsa_user_sgpr_dispatch_id 0
		.amdhsa_user_sgpr_private_segment_size 0
		.amdhsa_wavefront_size32 1
		.amdhsa_uses_dynamic_stack 0
		.amdhsa_enable_private_segment 1
		.amdhsa_system_sgpr_workgroup_id_x 1
		.amdhsa_system_sgpr_workgroup_id_y 0
		.amdhsa_system_sgpr_workgroup_id_z 0
		.amdhsa_system_sgpr_workgroup_info 0
		.amdhsa_system_vgpr_workitem_id 0
		.amdhsa_next_free_vgpr 31
		.amdhsa_next_free_sgpr 42
		.amdhsa_reserve_vcc 1
		.amdhsa_float_round_mode_32 0
		.amdhsa_float_round_mode_16_64 0
		.amdhsa_float_denorm_mode_32 3
		.amdhsa_float_denorm_mode_16_64 3
		.amdhsa_dx10_clamp 1
		.amdhsa_ieee_mode 1
		.amdhsa_fp16_overflow 0
		.amdhsa_workgroup_processor_mode 1
		.amdhsa_memory_ordered 1
		.amdhsa_forward_progress 0
		.amdhsa_shared_vgpr_count 0
		.amdhsa_exception_fp_ieee_invalid_op 0
		.amdhsa_exception_fp_denorm_src 0
		.amdhsa_exception_fp_ieee_div_zero 0
		.amdhsa_exception_fp_ieee_overflow 0
		.amdhsa_exception_fp_ieee_underflow 0
		.amdhsa_exception_fp_ieee_inexact 0
		.amdhsa_exception_int_div_zero 0
	.end_amdhsa_kernel
	.section	.text._ZN9rocsparseL41csrgemm_numeric_fill_block_per_row_kernelILj1024ELj64ELj8192ELj137ELj64Eii21rocsparse_complex_numIdEEEvT5_PKS3_S5_NS_24const_host_device_scalarIT6_EEPKT4_S5_PKS7_SB_S5_SD_S8_SB_S5_SD_SB_S5_PS7_21rocsparse_index_base_SF_SF_SF_bbb,"axG",@progbits,_ZN9rocsparseL41csrgemm_numeric_fill_block_per_row_kernelILj1024ELj64ELj8192ELj137ELj64Eii21rocsparse_complex_numIdEEEvT5_PKS3_S5_NS_24const_host_device_scalarIT6_EEPKT4_S5_PKS7_SB_S5_SD_S8_SB_S5_SD_SB_S5_PS7_21rocsparse_index_base_SF_SF_SF_bbb,comdat
.Lfunc_end73:
	.size	_ZN9rocsparseL41csrgemm_numeric_fill_block_per_row_kernelILj1024ELj64ELj8192ELj137ELj64Eii21rocsparse_complex_numIdEEEvT5_PKS3_S5_NS_24const_host_device_scalarIT6_EEPKT4_S5_PKS7_SB_S5_SD_S8_SB_S5_SD_SB_S5_PS7_21rocsparse_index_base_SF_SF_SF_bbb, .Lfunc_end73-_ZN9rocsparseL41csrgemm_numeric_fill_block_per_row_kernelILj1024ELj64ELj8192ELj137ELj64Eii21rocsparse_complex_numIdEEEvT5_PKS3_S5_NS_24const_host_device_scalarIT6_EEPKT4_S5_PKS7_SB_S5_SD_S8_SB_S5_SD_SB_S5_PS7_21rocsparse_index_base_SF_SF_SF_bbb
                                        ; -- End function
	.section	.AMDGPU.csdata,"",@progbits
; Kernel info:
; codeLenInByte = 4416
; NumSgprs: 44
; NumVgprs: 31
; ScratchSize: 40
; MemoryBound: 0
; FloatMode: 240
; IeeeMode: 1
; LDSByteSize: 0 bytes/workgroup (compile time only)
; SGPRBlocks: 5
; VGPRBlocks: 3
; NumSGPRsForWavesPerEU: 44
; NumVGPRsForWavesPerEU: 31
; Occupancy: 16
; WaveLimiterHint : 1
; COMPUTE_PGM_RSRC2:SCRATCH_EN: 1
; COMPUTE_PGM_RSRC2:USER_SGPR: 15
; COMPUTE_PGM_RSRC2:TRAP_HANDLER: 0
; COMPUTE_PGM_RSRC2:TGID_X_EN: 1
; COMPUTE_PGM_RSRC2:TGID_Y_EN: 0
; COMPUTE_PGM_RSRC2:TGID_Z_EN: 0
; COMPUTE_PGM_RSRC2:TIDIG_COMP_CNT: 0
	.section	.text._ZN9rocsparseL41csrgemm_numeric_fill_block_per_row_kernelILj1024ELj64ELj16384ELj137ELj32Eii21rocsparse_complex_numIdEEEvT5_PKS3_S5_NS_24const_host_device_scalarIT6_EEPKT4_S5_PKS7_SB_S5_SD_S8_SB_S5_SD_SB_S5_PS7_21rocsparse_index_base_SF_SF_SF_bbb,"axG",@progbits,_ZN9rocsparseL41csrgemm_numeric_fill_block_per_row_kernelILj1024ELj64ELj16384ELj137ELj32Eii21rocsparse_complex_numIdEEEvT5_PKS3_S5_NS_24const_host_device_scalarIT6_EEPKT4_S5_PKS7_SB_S5_SD_S8_SB_S5_SD_SB_S5_PS7_21rocsparse_index_base_SF_SF_SF_bbb,comdat
	.globl	_ZN9rocsparseL41csrgemm_numeric_fill_block_per_row_kernelILj1024ELj64ELj16384ELj137ELj32Eii21rocsparse_complex_numIdEEEvT5_PKS3_S5_NS_24const_host_device_scalarIT6_EEPKT4_S5_PKS7_SB_S5_SD_S8_SB_S5_SD_SB_S5_PS7_21rocsparse_index_base_SF_SF_SF_bbb ; -- Begin function _ZN9rocsparseL41csrgemm_numeric_fill_block_per_row_kernelILj1024ELj64ELj16384ELj137ELj32Eii21rocsparse_complex_numIdEEEvT5_PKS3_S5_NS_24const_host_device_scalarIT6_EEPKT4_S5_PKS7_SB_S5_SD_S8_SB_S5_SD_SB_S5_PS7_21rocsparse_index_base_SF_SF_SF_bbb
	.p2align	8
	.type	_ZN9rocsparseL41csrgemm_numeric_fill_block_per_row_kernelILj1024ELj64ELj16384ELj137ELj32Eii21rocsparse_complex_numIdEEEvT5_PKS3_S5_NS_24const_host_device_scalarIT6_EEPKT4_S5_PKS7_SB_S5_SD_S8_SB_S5_SD_SB_S5_PS7_21rocsparse_index_base_SF_SF_SF_bbb,@function
_ZN9rocsparseL41csrgemm_numeric_fill_block_per_row_kernelILj1024ELj64ELj16384ELj137ELj32Eii21rocsparse_complex_numIdEEEvT5_PKS3_S5_NS_24const_host_device_scalarIT6_EEPKT4_S5_PKS7_SB_S5_SD_S8_SB_S5_SD_SB_S5_PS7_21rocsparse_index_base_SF_SF_SF_bbb: ; @_ZN9rocsparseL41csrgemm_numeric_fill_block_per_row_kernelILj1024ELj64ELj16384ELj137ELj32Eii21rocsparse_complex_numIdEEEvT5_PKS3_S5_NS_24const_host_device_scalarIT6_EEPKT4_S5_PKS7_SB_S5_SD_S8_SB_S5_SD_SB_S5_PS7_21rocsparse_index_base_SF_SF_SF_bbb
; %bb.0:
	s_clause 0x3
	s_load_b32 s14, s[0:1], 0xa8
	s_load_b128 s[4:7], s[0:1], 0x18
	s_load_b128 s[20:23], s[0:1], 0x58
	;; [unrolled: 1-line block ×3, first 2 shown]
	v_mov_b32_e32 v1, 0
	v_mov_b32_e32 v2, 0
	s_waitcnt lgkmcnt(0)
	s_bitcmp1_b32 s14, 0
	v_mov_b32_e32 v3, s4
	s_cselect_b32 s12, -1, 0
	s_bitcmp1_b32 s14, 16
	v_dual_mov_b32 v6, v2 :: v_dual_mov_b32 v5, v1
	s_cselect_b32 s2, -1, 0
	v_mov_b32_e32 v4, s5
	s_xor_b32 s13, s2, -1
	v_dual_mov_b32 v9, s20 :: v_dual_mov_b32 v10, s21
	v_cndmask_b32_e64 v7, 0, 1, s13
	s_bitcmp0_b32 s14, 0
	s_clause 0x1
	scratch_store_b64 off, v[3:4], off offset:16
	scratch_store_b64 off, v[9:10], off offset:24
	v_cmp_ne_u32_e32 vcc_lo, 1, v7
	v_dual_mov_b32 v8, v2 :: v_dual_mov_b32 v7, v1
	s_cbranch_scc1 .LBB74_3
; %bb.1:
	s_mov_b64 s[8:9], src_private_base
	s_and_b32 s3, s2, exec_lo
	s_cselect_b32 s3, s9, s5
	s_delay_alu instid0(SALU_CYCLE_1) | instskip(SKIP_2) | instid1(VALU_DEP_2)
	v_dual_mov_b32 v3, 16 :: v_dual_mov_b32 v4, s3
	v_dual_mov_b32 v8, s7 :: v_dual_mov_b32 v7, s6
	s_and_b32 vcc_lo, exec_lo, vcc_lo
	v_cndmask_b32_e64 v3, s4, v3, s2
	flat_load_b64 v[5:6], v[3:4]
	s_cbranch_vccnz .LBB74_3
; %bb.2:
	v_dual_mov_b32 v3, s4 :: v_dual_mov_b32 v4, s5
	flat_load_b64 v[7:8], v[3:4] offset:8
.LBB74_3:
	s_clause 0x4
	s_load_b64 s[34:35], s[0:1], 0x90
	s_load_b256 s[36:43], s[0:1], 0x68
	s_load_b128 s[16:19], s[0:1], 0x48
	s_load_b128 s[24:27], s[0:1], 0x8
	s_load_b256 s[4:11], s[0:1], 0x28
	s_bitcmp1_b32 s14, 8
	v_dual_mov_b32 v4, v2 :: v_dual_mov_b32 v3, v1
	s_cselect_b32 s3, -1, 0
	s_bfe_u32 s14, s14, 0x10008
	s_delay_alu instid0(SALU_CYCLE_1)
	s_cmp_eq_u32 s14, 0
	s_cbranch_scc1 .LBB74_6
; %bb.4:
	s_mov_b64 s[28:29], src_private_base
	s_and_b32 s14, s2, exec_lo
	s_cselect_b32 s14, s29, s21
	s_delay_alu instid0(SALU_CYCLE_1) | instskip(SKIP_1) | instid1(VALU_DEP_1)
	v_dual_mov_b32 v1, 24 :: v_dual_mov_b32 v2, s14
	s_and_not1_b32 vcc_lo, exec_lo, s13
	v_cndmask_b32_e64 v1, s20, v1, s2
	flat_load_b64 v[3:4], v[1:2]
	v_dual_mov_b32 v1, s22 :: v_dual_mov_b32 v2, s23
	s_cbranch_vccnz .LBB74_6
; %bb.5:
	v_dual_mov_b32 v1, s20 :: v_dual_mov_b32 v2, s21
	flat_load_b64 v[1:2], v[1:2] offset:8
.LBB74_6:
	s_load_b32 s33, s[0:1], 0x0
	s_mov_b32 s0, 0
	v_or_b32_e32 v23, 0xfffffc00, v0
	v_lshl_add_u32 v24, v0, 2, 0
	s_mov_b32 s1, s0
	s_delay_alu instid0(SALU_CYCLE_1)
	v_dual_mov_b32 v10, s1 :: v_dual_lshlrev_b32 v25, 4, v0
	s_mov_b32 s20, s0
	s_mov_b32 s21, s0
	v_dual_mov_b32 v11, s20 :: v_dual_mov_b32 v14, v24
	v_dual_mov_b32 v9, s0 :: v_dual_mov_b32 v12, s21
	v_add3_u32 v13, v25, 0, 0x10008
	s_waitcnt lgkmcnt(0)
	v_dual_mov_b32 v16, v23 :: v_dual_mov_b32 v15, s33
.LBB74_7:                               ; =>This Inner Loop Header: Depth=1
	s_delay_alu instid0(VALU_DEP_1)
	v_add_nc_u32_e32 v16, 0x400, v16
	ds_store_b32 v14, v15
	v_add_nc_u32_e32 v17, -8, v13
	v_add_nc_u32_e32 v13, 0x4000, v13
	v_add_nc_u32_e32 v14, 0x1000, v14
	v_cmp_lt_u32_e32 vcc_lo, 0x3bff, v16
	ds_store_2addr_b64 v17, v[9:10], v[11:12] offset1:1
	s_or_b32 s0, vcc_lo, s0
	s_delay_alu instid0(SALU_CYCLE_1)
	s_and_not1_b32 exec_lo, exec_lo, s0
	s_cbranch_execnz .LBB74_7
; %bb.8:
	s_or_b32 exec_lo, exec_lo, s0
	s_waitcnt vmcnt(0) lgkmcnt(0)
	s_waitcnt_vscnt null, 0x0
	s_barrier
	buffer_gl0_inv
	s_load_b32 s0, s[24:25], 0x0
	s_mov_b32 s1, 0
	s_waitcnt lgkmcnt(0)
	s_add_i32 s0, s0, s15
	s_delay_alu instid0(SALU_CYCLE_1) | instskip(NEXT) | instid1(SALU_CYCLE_1)
	s_lshl_b64 s[0:1], s[0:1], 2
	s_add_u32 s0, s26, s0
	s_addc_u32 s1, s27, s1
	s_and_b32 vcc_lo, exec_lo, s12
	s_load_b32 s48, s[0:1], 0x0
	s_cbranch_vccz .LBB74_36
; %bb.9:
	s_waitcnt lgkmcnt(0)
	s_ashr_i32 s49, s48, 31
	v_lshrrev_b32_e32 v9, 6, v0
	s_lshl_b64 s[0:1], s[48:49], 2
	s_delay_alu instid0(SALU_CYCLE_1) | instskip(SKIP_1) | instid1(VALU_DEP_1)
	s_add_u32 s0, s4, s0
	s_addc_u32 s1, s5, s1
	v_subrev_nc_u32_e32 v9, s44, v9
	s_load_b64 s[0:1], s[0:1], 0x0
	s_waitcnt lgkmcnt(0)
	s_delay_alu instid0(VALU_DEP_1) | instskip(SKIP_2) | instid1(VALU_DEP_1)
	v_add_nc_u32_e32 v9, s0, v9
	s_sub_i32 s0, s1, s44
	s_mov_b32 s1, exec_lo
	v_cmpx_gt_i32_e64 s0, v9
	s_cbranch_execz .LBB74_35
; %bb.10:
	v_and_b32_e32 v10, 63, v0
	s_mov_b32 s2, 0
	s_delay_alu instid0(VALU_DEP_1)
	v_subrev_nc_u32_e32 v26, s45, v10
	s_branch .LBB74_12
.LBB74_11:                              ;   in Loop: Header=BB74_12 Depth=1
	s_or_b32 exec_lo, exec_lo, s4
	v_add_nc_u32_e32 v9, 16, v9
	s_delay_alu instid0(VALU_DEP_1) | instskip(SKIP_1) | instid1(SALU_CYCLE_1)
	v_cmp_le_i32_e32 vcc_lo, s0, v9
	s_or_b32 s2, vcc_lo, s2
	s_and_not1_b32 exec_lo, exec_lo, s2
	s_cbranch_execz .LBB74_35
.LBB74_12:                              ; =>This Loop Header: Depth=1
                                        ;     Child Loop BB74_15 Depth 2
                                        ;       Child Loop BB74_17 Depth 3
                                        ;         Child Loop BB74_23 Depth 4
                                        ;         Child Loop BB74_25 Depth 4
	;; [unrolled: 1-line block ×4, first 2 shown]
	v_ashrrev_i32_e32 v10, 31, v9
	s_mov_b32 s4, exec_lo
	s_delay_alu instid0(VALU_DEP_1) | instskip(NEXT) | instid1(VALU_DEP_1)
	v_lshlrev_b64 v[11:12], 2, v[9:10]
	v_add_co_u32 v11, vcc_lo, s6, v11
	s_delay_alu instid0(VALU_DEP_2) | instskip(SKIP_3) | instid1(VALU_DEP_1)
	v_add_co_ci_u32_e32 v12, vcc_lo, s7, v12, vcc_lo
	global_load_b32 v11, v[11:12], off
	s_waitcnt vmcnt(0)
	v_subrev_nc_u32_e32 v11, s44, v11
	v_ashrrev_i32_e32 v12, 31, v11
	s_delay_alu instid0(VALU_DEP_1) | instskip(NEXT) | instid1(VALU_DEP_1)
	v_lshlrev_b64 v[11:12], 2, v[11:12]
	v_add_co_u32 v11, vcc_lo, s10, v11
	s_delay_alu instid0(VALU_DEP_2) | instskip(SKIP_4) | instid1(VALU_DEP_1)
	v_add_co_ci_u32_e32 v12, vcc_lo, s11, v12, vcc_lo
	global_load_b64 v[11:12], v[11:12], off
	s_waitcnt vmcnt(0)
	v_subrev_nc_u32_e32 v27, s45, v12
	v_add_nc_u32_e32 v11, v11, v26
	v_cmpx_lt_i32_e64 v11, v27
	s_cbranch_execz .LBB74_11
; %bb.13:                               ;   in Loop: Header=BB74_12 Depth=1
	v_lshlrev_b64 v[12:13], 4, v[9:10]
	s_mov_b32 s5, 0
	s_delay_alu instid0(VALU_DEP_1) | instskip(NEXT) | instid1(VALU_DEP_2)
	v_add_co_u32 v12, vcc_lo, s8, v12
	v_add_co_ci_u32_e32 v13, vcc_lo, s9, v13, vcc_lo
	global_load_b128 v[15:18], v[12:13], off
	s_waitcnt vmcnt(0)
	v_mul_f64 v[12:13], v[17:18], -v[7:8]
	v_mul_f64 v[17:18], v[5:6], v[17:18]
	s_delay_alu instid0(VALU_DEP_2) | instskip(NEXT) | instid1(VALU_DEP_2)
	v_fma_f64 v[13:14], v[5:6], v[15:16], v[12:13]
	v_fma_f64 v[15:16], v[7:8], v[15:16], v[17:18]
	s_branch .LBB74_15
.LBB74_14:                              ;   in Loop: Header=BB74_15 Depth=2
	s_or_b32 exec_lo, exec_lo, s12
	v_add_nc_u32_e32 v11, 64, v11
	s_delay_alu instid0(VALU_DEP_1) | instskip(SKIP_1) | instid1(SALU_CYCLE_1)
	v_cmp_ge_i32_e32 vcc_lo, v11, v27
	s_or_b32 s5, vcc_lo, s5
	s_and_not1_b32 exec_lo, exec_lo, s5
	s_cbranch_execz .LBB74_11
.LBB74_15:                              ;   Parent Loop BB74_12 Depth=1
                                        ; =>  This Loop Header: Depth=2
                                        ;       Child Loop BB74_17 Depth 3
                                        ;         Child Loop BB74_23 Depth 4
                                        ;         Child Loop BB74_25 Depth 4
	;; [unrolled: 1-line block ×4, first 2 shown]
	v_ashrrev_i32_e32 v12, 31, v11
	s_mov_b32 s12, 0
	s_delay_alu instid0(VALU_DEP_1) | instskip(NEXT) | instid1(VALU_DEP_1)
	v_lshlrev_b64 v[17:18], 4, v[11:12]
	v_add_co_u32 v17, vcc_lo, s18, v17
	s_delay_alu instid0(VALU_DEP_2) | instskip(SKIP_2) | instid1(VALU_DEP_1)
	v_add_co_ci_u32_e32 v18, vcc_lo, s19, v18, vcc_lo
	global_load_b128 v[19:22], v[17:18], off
	v_lshlrev_b64 v[17:18], 2, v[11:12]
	v_add_co_u32 v17, vcc_lo, s16, v17
	s_delay_alu instid0(VALU_DEP_2)
	v_add_co_ci_u32_e32 v18, vcc_lo, s17, v18, vcc_lo
	global_load_b32 v10, v[17:18], off
	s_waitcnt vmcnt(1)
	v_mul_f64 v[17:18], v[21:22], -v[15:16]
	v_mul_f64 v[21:22], v[13:14], v[21:22]
	s_waitcnt vmcnt(0)
	v_subrev_nc_u32_e32 v10, s45, v10
	s_delay_alu instid0(VALU_DEP_1) | instskip(NEXT) | instid1(VALU_DEP_1)
	v_mul_lo_u32 v12, 0x89, v10
	v_and_b32_e32 v12, 0x3fff, v12
	v_fma_f64 v[17:18], v[13:14], v[19:20], v[17:18]
	v_fma_f64 v[19:20], v[15:16], v[19:20], v[21:22]
	s_branch .LBB74_17
.LBB74_16:                              ;   in Loop: Header=BB74_17 Depth=3
	s_or_b32 exec_lo, exec_lo, s13
	s_xor_b32 s13, s14, -1
	s_delay_alu instid0(SALU_CYCLE_1) | instskip(NEXT) | instid1(SALU_CYCLE_1)
	s_and_b32 s13, exec_lo, s13
	s_or_b32 s12, s13, s12
	s_delay_alu instid0(SALU_CYCLE_1)
	s_and_not1_b32 exec_lo, exec_lo, s12
	s_cbranch_execz .LBB74_14
.LBB74_17:                              ;   Parent Loop BB74_12 Depth=1
                                        ;     Parent Loop BB74_15 Depth=2
                                        ; =>    This Loop Header: Depth=3
                                        ;         Child Loop BB74_23 Depth 4
                                        ;         Child Loop BB74_25 Depth 4
	;; [unrolled: 1-line block ×4, first 2 shown]
	s_delay_alu instid0(VALU_DEP_3)
	v_lshl_add_u32 v21, v12, 2, 0
	s_mov_b32 s13, exec_lo
                                        ; implicit-def: $sgpr14
	ds_load_b32 v22, v21
	s_waitcnt lgkmcnt(0)
	v_cmpx_ne_u32_e64 v22, v10
	s_xor_b32 s13, exec_lo, s13
	s_cbranch_execz .LBB74_29
; %bb.18:                               ;   in Loop: Header=BB74_17 Depth=3
	s_mov_b32 s15, exec_lo
                                        ; implicit-def: $sgpr14
	v_cmpx_ne_u32_e64 s33, v22
	s_xor_b32 s15, exec_lo, s15
; %bb.19:                               ;   in Loop: Header=BB74_17 Depth=3
	v_add_nc_u32_e32 v12, 1, v12
	s_mov_b32 s14, -1
                                        ; implicit-def: $vgpr21
	s_delay_alu instid0(VALU_DEP_1)
	v_and_b32_e32 v12, 0x3fff, v12
; %bb.20:                               ;   in Loop: Header=BB74_17 Depth=3
	s_and_not1_saveexec_b32 s15, s15
	s_cbranch_execz .LBB74_28
; %bb.21:                               ;   in Loop: Header=BB74_17 Depth=3
	v_mov_b32_e32 v22, s33
	s_mov_b32 s21, -1
	s_mov_b32 s20, exec_lo
	ds_cmpstore_rtn_b32 v21, v21, v10, v22
	s_waitcnt lgkmcnt(0)
	v_cmpx_eq_u32_e64 s33, v21
	s_cbranch_execz .LBB74_27
; %bb.22:                               ;   in Loop: Header=BB74_17 Depth=3
	v_lshlrev_b32_e32 v21, 4, v12
	s_mov_b32 s21, 0
	s_delay_alu instid0(VALU_DEP_1)
	v_add3_u32 v28, 0, v21, 0x10000
	ds_load_b64 v[21:22], v28
.LBB74_23:                              ;   Parent Loop BB74_12 Depth=1
                                        ;     Parent Loop BB74_15 Depth=2
                                        ;       Parent Loop BB74_17 Depth=3
                                        ; =>      This Inner Loop Header: Depth=4
	s_waitcnt lgkmcnt(0)
	v_add_f64 v[29:30], v[21:22], v[17:18]
	ds_cmpstore_rtn_b64 v[29:30], v28, v[29:30], v[21:22]
	s_waitcnt lgkmcnt(0)
	v_cmp_eq_u64_e32 vcc_lo, v[29:30], v[21:22]
	v_dual_mov_b32 v21, v29 :: v_dual_mov_b32 v22, v30
	s_or_b32 s21, vcc_lo, s21
	s_delay_alu instid0(SALU_CYCLE_1)
	s_and_not1_b32 exec_lo, exec_lo, s21
	s_cbranch_execnz .LBB74_23
; %bb.24:                               ;   in Loop: Header=BB74_17 Depth=3
	s_or_b32 exec_lo, exec_lo, s21
	ds_load_b64 v[21:22], v28 offset:8
	s_mov_b32 s21, 0
.LBB74_25:                              ;   Parent Loop BB74_12 Depth=1
                                        ;     Parent Loop BB74_15 Depth=2
                                        ;       Parent Loop BB74_17 Depth=3
                                        ; =>      This Inner Loop Header: Depth=4
	s_waitcnt lgkmcnt(0)
	v_add_f64 v[29:30], v[21:22], v[19:20]
	ds_cmpstore_rtn_b64 v[29:30], v28, v[29:30], v[21:22] offset:8
	s_waitcnt lgkmcnt(0)
	v_cmp_eq_u64_e32 vcc_lo, v[29:30], v[21:22]
	v_dual_mov_b32 v21, v29 :: v_dual_mov_b32 v22, v30
	s_or_b32 s21, vcc_lo, s21
	s_delay_alu instid0(SALU_CYCLE_1)
	s_and_not1_b32 exec_lo, exec_lo, s21
	s_cbranch_execnz .LBB74_25
; %bb.26:                               ;   in Loop: Header=BB74_17 Depth=3
	s_or_b32 exec_lo, exec_lo, s21
	s_delay_alu instid0(SALU_CYCLE_1)
	s_xor_b32 s21, exec_lo, -1
.LBB74_27:                              ;   in Loop: Header=BB74_17 Depth=3
	s_or_b32 exec_lo, exec_lo, s20
	s_delay_alu instid0(SALU_CYCLE_1) | instskip(SKIP_1) | instid1(SALU_CYCLE_1)
	s_and_not1_b32 s14, s14, exec_lo
	s_and_b32 s20, s21, exec_lo
	s_or_b32 s14, s14, s20
.LBB74_28:                              ;   in Loop: Header=BB74_17 Depth=3
	s_or_b32 exec_lo, exec_lo, s15
	s_delay_alu instid0(SALU_CYCLE_1)
	s_and_b32 s14, s14, exec_lo
.LBB74_29:                              ;   in Loop: Header=BB74_17 Depth=3
	s_and_not1_saveexec_b32 s13, s13
	s_cbranch_execz .LBB74_16
; %bb.30:                               ;   in Loop: Header=BB74_17 Depth=3
	v_lshlrev_b32_e32 v21, 4, v12
	s_mov_b32 s15, 0
	s_delay_alu instid0(VALU_DEP_1)
	v_add3_u32 v28, 0, v21, 0x10000
	ds_load_b64 v[21:22], v28
.LBB74_31:                              ;   Parent Loop BB74_12 Depth=1
                                        ;     Parent Loop BB74_15 Depth=2
                                        ;       Parent Loop BB74_17 Depth=3
                                        ; =>      This Inner Loop Header: Depth=4
	s_waitcnt lgkmcnt(0)
	v_add_f64 v[29:30], v[21:22], v[17:18]
	ds_cmpstore_rtn_b64 v[29:30], v28, v[29:30], v[21:22]
	s_waitcnt lgkmcnt(0)
	v_cmp_eq_u64_e32 vcc_lo, v[29:30], v[21:22]
	v_dual_mov_b32 v21, v29 :: v_dual_mov_b32 v22, v30
	s_or_b32 s15, vcc_lo, s15
	s_delay_alu instid0(SALU_CYCLE_1)
	s_and_not1_b32 exec_lo, exec_lo, s15
	s_cbranch_execnz .LBB74_31
; %bb.32:                               ;   in Loop: Header=BB74_17 Depth=3
	s_or_b32 exec_lo, exec_lo, s15
	ds_load_b64 v[21:22], v28 offset:8
	s_mov_b32 s15, 0
.LBB74_33:                              ;   Parent Loop BB74_12 Depth=1
                                        ;     Parent Loop BB74_15 Depth=2
                                        ;       Parent Loop BB74_17 Depth=3
                                        ; =>      This Inner Loop Header: Depth=4
	s_waitcnt lgkmcnt(0)
	v_add_f64 v[29:30], v[21:22], v[19:20]
	ds_cmpstore_rtn_b64 v[29:30], v28, v[29:30], v[21:22] offset:8
	s_waitcnt lgkmcnt(0)
	v_cmp_eq_u64_e32 vcc_lo, v[29:30], v[21:22]
	v_dual_mov_b32 v21, v29 :: v_dual_mov_b32 v22, v30
	s_or_b32 s15, vcc_lo, s15
	s_delay_alu instid0(SALU_CYCLE_1)
	s_and_not1_b32 exec_lo, exec_lo, s15
	s_cbranch_execnz .LBB74_33
; %bb.34:                               ;   in Loop: Header=BB74_17 Depth=3
	s_or_b32 exec_lo, exec_lo, s15
	s_delay_alu instid0(SALU_CYCLE_1)
	s_and_not1_b32 s14, s14, exec_lo
	s_branch .LBB74_16
.LBB74_35:
	s_or_b32 exec_lo, exec_lo, s1
.LBB74_36:
	s_delay_alu instid0(SALU_CYCLE_1)
	s_and_not1_b32 vcc_lo, exec_lo, s3
	s_cbranch_vccnz .LBB74_61
; %bb.37:
	s_waitcnt lgkmcnt(0)
	s_ashr_i32 s49, s48, 31
	v_subrev_nc_u32_e32 v5, s47, v0
	s_lshl_b64 s[0:1], s[48:49], 2
	s_delay_alu instid0(SALU_CYCLE_1)
	s_add_u32 s0, s36, s0
	s_addc_u32 s1, s37, s1
	s_load_b64 s[0:1], s[0:1], 0x0
	s_waitcnt lgkmcnt(0)
	v_add_nc_u32_e32 v5, s0, v5
	s_sub_i32 s0, s1, s47
	s_mov_b32 s1, exec_lo
	s_delay_alu instid0(VALU_DEP_1)
	v_cmpx_gt_i32_e64 s0, v5
	s_cbranch_execz .LBB74_60
; %bb.38:
	s_mov_b32 s2, 0
	s_branch .LBB74_40
.LBB74_39:                              ;   in Loop: Header=BB74_40 Depth=1
	s_or_b32 exec_lo, exec_lo, s3
	v_add_nc_u32_e32 v5, 0x400, v5
	s_delay_alu instid0(VALU_DEP_1) | instskip(SKIP_1) | instid1(SALU_CYCLE_1)
	v_cmp_le_i32_e32 vcc_lo, s0, v5
	s_or_b32 s2, vcc_lo, s2
	s_and_not1_b32 exec_lo, exec_lo, s2
	s_cbranch_execz .LBB74_60
.LBB74_40:                              ; =>This Loop Header: Depth=1
                                        ;     Child Loop BB74_42 Depth 2
                                        ;       Child Loop BB74_48 Depth 3
                                        ;       Child Loop BB74_50 Depth 3
	;; [unrolled: 1-line block ×4, first 2 shown]
	v_ashrrev_i32_e32 v6, 31, v5
	s_mov_b32 s3, 0
	s_delay_alu instid0(VALU_DEP_1) | instskip(NEXT) | instid1(VALU_DEP_1)
	v_lshlrev_b64 v[7:8], 4, v[5:6]
	v_add_co_u32 v7, vcc_lo, s40, v7
	s_delay_alu instid0(VALU_DEP_2) | instskip(SKIP_2) | instid1(VALU_DEP_1)
	v_add_co_ci_u32_e32 v8, vcc_lo, s41, v8, vcc_lo
	global_load_b128 v[8:11], v[7:8], off
	v_lshlrev_b64 v[6:7], 2, v[5:6]
	v_add_co_u32 v6, vcc_lo, s38, v6
	s_delay_alu instid0(VALU_DEP_2)
	v_add_co_ci_u32_e32 v7, vcc_lo, s39, v7, vcc_lo
	global_load_b32 v12, v[6:7], off
	s_waitcnt vmcnt(1)
	v_mul_f64 v[6:7], v[10:11], -v[1:2]
	v_mul_f64 v[10:11], v[3:4], v[10:11]
	s_waitcnt vmcnt(0)
	v_subrev_nc_u32_e32 v12, s47, v12
	s_delay_alu instid0(VALU_DEP_3) | instskip(NEXT) | instid1(VALU_DEP_3)
	v_fma_f64 v[6:7], v[3:4], v[8:9], v[6:7]
	v_fma_f64 v[8:9], v[1:2], v[8:9], v[10:11]
	s_delay_alu instid0(VALU_DEP_3) | instskip(NEXT) | instid1(VALU_DEP_1)
	v_mul_lo_u32 v10, 0x89, v12
	v_and_b32_e32 v13, 0x3fff, v10
	s_branch .LBB74_42
.LBB74_41:                              ;   in Loop: Header=BB74_42 Depth=2
	s_or_b32 exec_lo, exec_lo, s4
	s_xor_b32 s4, s5, -1
	s_delay_alu instid0(SALU_CYCLE_1) | instskip(NEXT) | instid1(SALU_CYCLE_1)
	s_and_b32 s4, exec_lo, s4
	s_or_b32 s3, s4, s3
	s_delay_alu instid0(SALU_CYCLE_1)
	s_and_not1_b32 exec_lo, exec_lo, s3
	s_cbranch_execz .LBB74_39
.LBB74_42:                              ;   Parent Loop BB74_40 Depth=1
                                        ; =>  This Loop Header: Depth=2
                                        ;       Child Loop BB74_48 Depth 3
                                        ;       Child Loop BB74_50 Depth 3
	;; [unrolled: 1-line block ×4, first 2 shown]
	s_delay_alu instid0(VALU_DEP_1)
	v_lshl_add_u32 v10, v13, 2, 0
	s_mov_b32 s4, exec_lo
                                        ; implicit-def: $sgpr5
	ds_load_b32 v11, v10
	s_waitcnt lgkmcnt(0)
	v_cmpx_ne_u32_e64 v11, v12
	s_xor_b32 s4, exec_lo, s4
	s_cbranch_execz .LBB74_54
; %bb.43:                               ;   in Loop: Header=BB74_42 Depth=2
	s_mov_b32 s6, exec_lo
                                        ; implicit-def: $sgpr5
	v_cmpx_ne_u32_e64 s33, v11
	s_xor_b32 s6, exec_lo, s6
; %bb.44:                               ;   in Loop: Header=BB74_42 Depth=2
	v_add_nc_u32_e32 v10, 1, v13
	s_mov_b32 s5, -1
	s_delay_alu instid0(VALU_DEP_1)
	v_and_b32_e32 v13, 0x3fff, v10
                                        ; implicit-def: $vgpr10
; %bb.45:                               ;   in Loop: Header=BB74_42 Depth=2
	s_and_not1_saveexec_b32 s6, s6
	s_cbranch_execz .LBB74_53
; %bb.46:                               ;   in Loop: Header=BB74_42 Depth=2
	v_mov_b32_e32 v11, s33
	s_mov_b32 s8, -1
	s_mov_b32 s7, exec_lo
	ds_cmpstore_rtn_b32 v10, v10, v12, v11
	s_waitcnt lgkmcnt(0)
	v_cmpx_eq_u32_e64 s33, v10
	s_cbranch_execz .LBB74_52
; %bb.47:                               ;   in Loop: Header=BB74_42 Depth=2
	v_lshlrev_b32_e32 v10, 4, v13
	s_mov_b32 s8, 0
	s_delay_alu instid0(VALU_DEP_1)
	v_add3_u32 v14, 0, v10, 0x10000
	ds_load_b64 v[10:11], v14
.LBB74_48:                              ;   Parent Loop BB74_40 Depth=1
                                        ;     Parent Loop BB74_42 Depth=2
                                        ; =>    This Inner Loop Header: Depth=3
	s_waitcnt lgkmcnt(0)
	v_add_f64 v[15:16], v[10:11], v[6:7]
	ds_cmpstore_rtn_b64 v[15:16], v14, v[15:16], v[10:11]
	s_waitcnt lgkmcnt(0)
	v_cmp_eq_u64_e32 vcc_lo, v[15:16], v[10:11]
	v_dual_mov_b32 v10, v15 :: v_dual_mov_b32 v11, v16
	s_or_b32 s8, vcc_lo, s8
	s_delay_alu instid0(SALU_CYCLE_1)
	s_and_not1_b32 exec_lo, exec_lo, s8
	s_cbranch_execnz .LBB74_48
; %bb.49:                               ;   in Loop: Header=BB74_42 Depth=2
	s_or_b32 exec_lo, exec_lo, s8
	ds_load_b64 v[10:11], v14 offset:8
	s_mov_b32 s8, 0
.LBB74_50:                              ;   Parent Loop BB74_40 Depth=1
                                        ;     Parent Loop BB74_42 Depth=2
                                        ; =>    This Inner Loop Header: Depth=3
	s_waitcnt lgkmcnt(0)
	v_add_f64 v[15:16], v[10:11], v[8:9]
	ds_cmpstore_rtn_b64 v[15:16], v14, v[15:16], v[10:11] offset:8
	s_waitcnt lgkmcnt(0)
	v_cmp_eq_u64_e32 vcc_lo, v[15:16], v[10:11]
	v_dual_mov_b32 v10, v15 :: v_dual_mov_b32 v11, v16
	s_or_b32 s8, vcc_lo, s8
	s_delay_alu instid0(SALU_CYCLE_1)
	s_and_not1_b32 exec_lo, exec_lo, s8
	s_cbranch_execnz .LBB74_50
; %bb.51:                               ;   in Loop: Header=BB74_42 Depth=2
	s_or_b32 exec_lo, exec_lo, s8
	s_delay_alu instid0(SALU_CYCLE_1)
	s_xor_b32 s8, exec_lo, -1
.LBB74_52:                              ;   in Loop: Header=BB74_42 Depth=2
	s_or_b32 exec_lo, exec_lo, s7
	s_delay_alu instid0(SALU_CYCLE_1) | instskip(SKIP_1) | instid1(SALU_CYCLE_1)
	s_and_not1_b32 s5, s5, exec_lo
	s_and_b32 s7, s8, exec_lo
	s_or_b32 s5, s5, s7
.LBB74_53:                              ;   in Loop: Header=BB74_42 Depth=2
	s_or_b32 exec_lo, exec_lo, s6
	s_delay_alu instid0(SALU_CYCLE_1)
	s_and_b32 s5, s5, exec_lo
.LBB74_54:                              ;   in Loop: Header=BB74_42 Depth=2
	s_and_not1_saveexec_b32 s4, s4
	s_cbranch_execz .LBB74_41
; %bb.55:                               ;   in Loop: Header=BB74_42 Depth=2
	v_lshlrev_b32_e32 v10, 4, v13
	s_mov_b32 s6, 0
	s_delay_alu instid0(VALU_DEP_1)
	v_add3_u32 v14, 0, v10, 0x10000
	ds_load_b64 v[10:11], v14
.LBB74_56:                              ;   Parent Loop BB74_40 Depth=1
                                        ;     Parent Loop BB74_42 Depth=2
                                        ; =>    This Inner Loop Header: Depth=3
	s_waitcnt lgkmcnt(0)
	v_add_f64 v[15:16], v[10:11], v[6:7]
	ds_cmpstore_rtn_b64 v[15:16], v14, v[15:16], v[10:11]
	s_waitcnt lgkmcnt(0)
	v_cmp_eq_u64_e32 vcc_lo, v[15:16], v[10:11]
	v_dual_mov_b32 v10, v15 :: v_dual_mov_b32 v11, v16
	s_or_b32 s6, vcc_lo, s6
	s_delay_alu instid0(SALU_CYCLE_1)
	s_and_not1_b32 exec_lo, exec_lo, s6
	s_cbranch_execnz .LBB74_56
; %bb.57:                               ;   in Loop: Header=BB74_42 Depth=2
	s_or_b32 exec_lo, exec_lo, s6
	ds_load_b64 v[10:11], v14 offset:8
	s_mov_b32 s6, 0
.LBB74_58:                              ;   Parent Loop BB74_40 Depth=1
                                        ;     Parent Loop BB74_42 Depth=2
                                        ; =>    This Inner Loop Header: Depth=3
	s_waitcnt lgkmcnt(0)
	v_add_f64 v[15:16], v[10:11], v[8:9]
	ds_cmpstore_rtn_b64 v[15:16], v14, v[15:16], v[10:11] offset:8
	s_waitcnt lgkmcnt(0)
	v_cmp_eq_u64_e32 vcc_lo, v[15:16], v[10:11]
	v_dual_mov_b32 v10, v15 :: v_dual_mov_b32 v11, v16
	s_or_b32 s6, vcc_lo, s6
	s_delay_alu instid0(SALU_CYCLE_1)
	s_and_not1_b32 exec_lo, exec_lo, s6
	s_cbranch_execnz .LBB74_58
; %bb.59:                               ;   in Loop: Header=BB74_42 Depth=2
	s_or_b32 exec_lo, exec_lo, s6
	s_delay_alu instid0(SALU_CYCLE_1)
	s_and_not1_b32 s5, s5, exec_lo
	s_branch .LBB74_41
.LBB74_60:
	s_or_b32 exec_lo, exec_lo, s1
.LBB74_61:
	v_mbcnt_lo_u32_b32 v1, -1, 0
	v_lshrrev_b32_e32 v2, 3, v0
	s_add_i32 s68, 0, 0x5007c
	v_cmp_eq_u32_e32 vcc_lo, 0x3ff, v0
	v_cmp_lt_u32_e64 s0, 31, v0
	v_xor_b32_e32 v1, 63, v1
	v_dual_mov_b32 v4, 0 :: v_dual_and_b32 v3, 0x7c, v2
	v_cmp_lt_u32_e64 s1, 63, v0
	v_cmp_lt_u32_e64 s2, 0x5f, v0
	s_delay_alu instid0(VALU_DEP_4) | instskip(NEXT) | instid1(VALU_DEP_4)
	v_lshrrev_b64 v[1:2], v1, -1
	v_add3_u32 v2, 0, 0x50000, v3
	v_cmp_lt_u32_e64 s3, 0x7f, v0
	v_cmp_lt_u32_e64 s4, 0x9f, v0
	;; [unrolled: 1-line block ×28, first 2 shown]
	v_add3_u32 v3, v25, 0, 0x10000
	v_mov_b32_e32 v5, s68
	s_mov_b32 s36, 0
	s_add_i32 s37, 0, 0x50000
	s_add_i32 s38, 0, 0x50004
	;; [unrolled: 1-line block ×31, first 2 shown]
	s_waitcnt lgkmcnt(0)
	s_barrier
	buffer_gl0_inv
	s_branch .LBB74_63
.LBB74_62:                              ;   in Loop: Header=BB74_63 Depth=1
	s_or_b32 exec_lo, exec_lo, s31
	s_waitcnt lgkmcnt(0)
	s_barrier
	buffer_gl0_inv
	ds_load_b32 v6, v5
	v_add_nc_u32_e32 v23, 0x400, v23
	v_add_nc_u32_e32 v3, 0x4000, v3
	;; [unrolled: 1-line block ×3, first 2 shown]
	s_delay_alu instid0(VALU_DEP_3) | instskip(NEXT) | instid1(VALU_DEP_1)
	v_cmp_lt_u32_e64 s31, 0x3bff, v23
	s_or_b32 s36, s31, s36
	s_waitcnt lgkmcnt(0)
	v_add_nc_u32_e32 v4, v6, v4
	s_and_not1_b32 exec_lo, exec_lo, s36
	s_cbranch_execz .LBB74_129
.LBB74_63:                              ; =>This Inner Loop Header: Depth=1
	ds_load_b32 v6, v24
	ds_load_2addr_b64 v[7:10], v3 offset1:1
	s_waitcnt lgkmcnt(1)
	v_cmp_gt_i32_e64 s31, s33, v6
	s_waitcnt lgkmcnt(0)
	scratch_store_b128 off, v[7:10], off
	s_waitcnt_vscnt null, 0x0
	s_barrier
	buffer_gl0_inv
	s_bcnt1_i32_b32 s73, s31
	s_delay_alu instid0(SALU_CYCLE_1) | instskip(NEXT) | instid1(VALU_DEP_1)
	v_dual_mov_b32 v8, s73 :: v_dual_and_b32 v7, s31, v1
	v_bcnt_u32_b32 v7, v7, 0
	ds_store_b32 v2, v8
	s_waitcnt lgkmcnt(0)
	s_barrier
	buffer_gl0_inv
	s_and_saveexec_b32 s73, s0
	s_cbranch_execnz .LBB74_96
; %bb.64:                               ;   in Loop: Header=BB74_63 Depth=1
	s_or_b32 exec_lo, exec_lo, s73
	s_and_saveexec_b32 s73, s1
	s_cbranch_execnz .LBB74_97
.LBB74_65:                              ;   in Loop: Header=BB74_63 Depth=1
	s_or_b32 exec_lo, exec_lo, s73
	s_and_saveexec_b32 s73, s2
	s_cbranch_execnz .LBB74_98
.LBB74_66:                              ;   in Loop: Header=BB74_63 Depth=1
	s_or_b32 exec_lo, exec_lo, s73
	s_and_saveexec_b32 s73, s3
	s_cbranch_execnz .LBB74_99
.LBB74_67:                              ;   in Loop: Header=BB74_63 Depth=1
	s_or_b32 exec_lo, exec_lo, s73
	s_and_saveexec_b32 s73, s4
	s_cbranch_execnz .LBB74_100
.LBB74_68:                              ;   in Loop: Header=BB74_63 Depth=1
	s_or_b32 exec_lo, exec_lo, s73
	s_and_saveexec_b32 s73, s5
	s_cbranch_execnz .LBB74_101
.LBB74_69:                              ;   in Loop: Header=BB74_63 Depth=1
	s_or_b32 exec_lo, exec_lo, s73
	s_and_saveexec_b32 s73, s6
	s_cbranch_execnz .LBB74_102
.LBB74_70:                              ;   in Loop: Header=BB74_63 Depth=1
	s_or_b32 exec_lo, exec_lo, s73
	s_and_saveexec_b32 s73, s7
	s_cbranch_execnz .LBB74_103
.LBB74_71:                              ;   in Loop: Header=BB74_63 Depth=1
	s_or_b32 exec_lo, exec_lo, s73
	s_and_saveexec_b32 s73, s8
	s_cbranch_execnz .LBB74_104
.LBB74_72:                              ;   in Loop: Header=BB74_63 Depth=1
	s_or_b32 exec_lo, exec_lo, s73
	s_and_saveexec_b32 s73, s9
	s_cbranch_execnz .LBB74_105
.LBB74_73:                              ;   in Loop: Header=BB74_63 Depth=1
	s_or_b32 exec_lo, exec_lo, s73
	s_and_saveexec_b32 s73, s10
	s_cbranch_execnz .LBB74_106
.LBB74_74:                              ;   in Loop: Header=BB74_63 Depth=1
	s_or_b32 exec_lo, exec_lo, s73
	s_and_saveexec_b32 s73, s11
	s_cbranch_execnz .LBB74_107
.LBB74_75:                              ;   in Loop: Header=BB74_63 Depth=1
	s_or_b32 exec_lo, exec_lo, s73
	s_and_saveexec_b32 s73, s12
	s_cbranch_execnz .LBB74_108
.LBB74_76:                              ;   in Loop: Header=BB74_63 Depth=1
	s_or_b32 exec_lo, exec_lo, s73
	s_and_saveexec_b32 s73, s13
	s_cbranch_execnz .LBB74_109
.LBB74_77:                              ;   in Loop: Header=BB74_63 Depth=1
	s_or_b32 exec_lo, exec_lo, s73
	s_and_saveexec_b32 s73, s14
	s_cbranch_execnz .LBB74_110
.LBB74_78:                              ;   in Loop: Header=BB74_63 Depth=1
	s_or_b32 exec_lo, exec_lo, s73
	s_and_saveexec_b32 s73, s15
	s_cbranch_execnz .LBB74_111
.LBB74_79:                              ;   in Loop: Header=BB74_63 Depth=1
	s_or_b32 exec_lo, exec_lo, s73
	s_and_saveexec_b32 s73, s16
	s_cbranch_execnz .LBB74_112
.LBB74_80:                              ;   in Loop: Header=BB74_63 Depth=1
	s_or_b32 exec_lo, exec_lo, s73
	s_and_saveexec_b32 s73, s17
	s_cbranch_execnz .LBB74_113
.LBB74_81:                              ;   in Loop: Header=BB74_63 Depth=1
	s_or_b32 exec_lo, exec_lo, s73
	s_and_saveexec_b32 s73, s18
	s_cbranch_execnz .LBB74_114
.LBB74_82:                              ;   in Loop: Header=BB74_63 Depth=1
	s_or_b32 exec_lo, exec_lo, s73
	s_and_saveexec_b32 s73, s19
	s_cbranch_execnz .LBB74_115
.LBB74_83:                              ;   in Loop: Header=BB74_63 Depth=1
	s_or_b32 exec_lo, exec_lo, s73
	s_and_saveexec_b32 s73, s20
	s_cbranch_execnz .LBB74_116
.LBB74_84:                              ;   in Loop: Header=BB74_63 Depth=1
	s_or_b32 exec_lo, exec_lo, s73
	s_and_saveexec_b32 s73, s21
	s_cbranch_execnz .LBB74_117
.LBB74_85:                              ;   in Loop: Header=BB74_63 Depth=1
	s_or_b32 exec_lo, exec_lo, s73
	s_and_saveexec_b32 s73, s22
	s_cbranch_execnz .LBB74_118
.LBB74_86:                              ;   in Loop: Header=BB74_63 Depth=1
	s_or_b32 exec_lo, exec_lo, s73
	s_and_saveexec_b32 s73, s23
	s_cbranch_execnz .LBB74_119
.LBB74_87:                              ;   in Loop: Header=BB74_63 Depth=1
	s_or_b32 exec_lo, exec_lo, s73
	s_and_saveexec_b32 s73, s24
	s_cbranch_execnz .LBB74_120
.LBB74_88:                              ;   in Loop: Header=BB74_63 Depth=1
	s_or_b32 exec_lo, exec_lo, s73
	s_and_saveexec_b32 s73, s25
	s_cbranch_execnz .LBB74_121
.LBB74_89:                              ;   in Loop: Header=BB74_63 Depth=1
	s_or_b32 exec_lo, exec_lo, s73
	s_and_saveexec_b32 s73, s26
	s_cbranch_execnz .LBB74_122
.LBB74_90:                              ;   in Loop: Header=BB74_63 Depth=1
	s_or_b32 exec_lo, exec_lo, s73
	s_and_saveexec_b32 s73, s27
	s_cbranch_execnz .LBB74_123
.LBB74_91:                              ;   in Loop: Header=BB74_63 Depth=1
	s_or_b32 exec_lo, exec_lo, s73
	s_and_saveexec_b32 s73, s28
	s_cbranch_execnz .LBB74_124
.LBB74_92:                              ;   in Loop: Header=BB74_63 Depth=1
	s_or_b32 exec_lo, exec_lo, s73
	s_and_saveexec_b32 s73, s29
	s_cbranch_execnz .LBB74_125
.LBB74_93:                              ;   in Loop: Header=BB74_63 Depth=1
	s_or_b32 exec_lo, exec_lo, s73
	s_and_saveexec_b32 s73, s30
	s_cbranch_execnz .LBB74_126
.LBB74_94:                              ;   in Loop: Header=BB74_63 Depth=1
	s_or_b32 exec_lo, exec_lo, s73
	s_and_saveexec_b32 s73, s31
	s_cbranch_execnz .LBB74_127
.LBB74_95:                              ;   in Loop: Header=BB74_63 Depth=1
	s_or_b32 exec_lo, exec_lo, s73
	s_and_saveexec_b32 s31, vcc_lo
	s_cbranch_execz .LBB74_62
	s_branch .LBB74_128
.LBB74_96:                              ;   in Loop: Header=BB74_63 Depth=1
	v_mov_b32_e32 v8, s37
	ds_load_b32 v8, v8
	s_waitcnt lgkmcnt(0)
	v_add_nc_u32_e32 v7, v8, v7
	s_or_b32 exec_lo, exec_lo, s73
	s_and_saveexec_b32 s73, s1
	s_cbranch_execz .LBB74_65
.LBB74_97:                              ;   in Loop: Header=BB74_63 Depth=1
	v_mov_b32_e32 v8, s38
	ds_load_b32 v8, v8
	s_waitcnt lgkmcnt(0)
	v_add_nc_u32_e32 v7, v8, v7
	s_or_b32 exec_lo, exec_lo, s73
	s_and_saveexec_b32 s73, s2
	s_cbranch_execz .LBB74_66
.LBB74_98:                              ;   in Loop: Header=BB74_63 Depth=1
	v_mov_b32_e32 v8, s39
	ds_load_b32 v8, v8
	s_waitcnt lgkmcnt(0)
	v_add_nc_u32_e32 v7, v8, v7
	s_or_b32 exec_lo, exec_lo, s73
	s_and_saveexec_b32 s73, s3
	s_cbranch_execz .LBB74_67
.LBB74_99:                              ;   in Loop: Header=BB74_63 Depth=1
	v_mov_b32_e32 v8, s40
	ds_load_b32 v8, v8
	s_waitcnt lgkmcnt(0)
	v_add_nc_u32_e32 v7, v8, v7
	s_or_b32 exec_lo, exec_lo, s73
	s_and_saveexec_b32 s73, s4
	s_cbranch_execz .LBB74_68
.LBB74_100:                             ;   in Loop: Header=BB74_63 Depth=1
	v_mov_b32_e32 v8, s41
	ds_load_b32 v8, v8
	s_waitcnt lgkmcnt(0)
	v_add_nc_u32_e32 v7, v8, v7
	s_or_b32 exec_lo, exec_lo, s73
	s_and_saveexec_b32 s73, s5
	s_cbranch_execz .LBB74_69
.LBB74_101:                             ;   in Loop: Header=BB74_63 Depth=1
	v_mov_b32_e32 v8, s44
	ds_load_b32 v8, v8
	s_waitcnt lgkmcnt(0)
	v_add_nc_u32_e32 v7, v8, v7
	s_or_b32 exec_lo, exec_lo, s73
	s_and_saveexec_b32 s73, s6
	s_cbranch_execz .LBB74_70
.LBB74_102:                             ;   in Loop: Header=BB74_63 Depth=1
	v_mov_b32_e32 v8, s45
	ds_load_b32 v8, v8
	s_waitcnt lgkmcnt(0)
	v_add_nc_u32_e32 v7, v8, v7
	s_or_b32 exec_lo, exec_lo, s73
	s_and_saveexec_b32 s73, s7
	s_cbranch_execz .LBB74_71
.LBB74_103:                             ;   in Loop: Header=BB74_63 Depth=1
	v_mov_b32_e32 v8, s47
	ds_load_b32 v8, v8
	s_waitcnt lgkmcnt(0)
	v_add_nc_u32_e32 v7, v8, v7
	s_or_b32 exec_lo, exec_lo, s73
	s_and_saveexec_b32 s73, s8
	s_cbranch_execz .LBB74_72
.LBB74_104:                             ;   in Loop: Header=BB74_63 Depth=1
	v_mov_b32_e32 v8, s49
	ds_load_b32 v8, v8
	s_waitcnt lgkmcnt(0)
	v_add_nc_u32_e32 v7, v8, v7
	s_or_b32 exec_lo, exec_lo, s73
	s_and_saveexec_b32 s73, s9
	s_cbranch_execz .LBB74_73
.LBB74_105:                             ;   in Loop: Header=BB74_63 Depth=1
	v_mov_b32_e32 v8, s50
	ds_load_b32 v8, v8
	s_waitcnt lgkmcnt(0)
	v_add_nc_u32_e32 v7, v8, v7
	s_or_b32 exec_lo, exec_lo, s73
	s_and_saveexec_b32 s73, s10
	s_cbranch_execz .LBB74_74
.LBB74_106:                             ;   in Loop: Header=BB74_63 Depth=1
	v_mov_b32_e32 v8, s51
	ds_load_b32 v8, v8
	s_waitcnt lgkmcnt(0)
	v_add_nc_u32_e32 v7, v8, v7
	s_or_b32 exec_lo, exec_lo, s73
	s_and_saveexec_b32 s73, s11
	s_cbranch_execz .LBB74_75
.LBB74_107:                             ;   in Loop: Header=BB74_63 Depth=1
	v_mov_b32_e32 v8, s52
	ds_load_b32 v8, v8
	s_waitcnt lgkmcnt(0)
	v_add_nc_u32_e32 v7, v8, v7
	s_or_b32 exec_lo, exec_lo, s73
	s_and_saveexec_b32 s73, s12
	s_cbranch_execz .LBB74_76
.LBB74_108:                             ;   in Loop: Header=BB74_63 Depth=1
	v_mov_b32_e32 v8, s53
	ds_load_b32 v8, v8
	s_waitcnt lgkmcnt(0)
	v_add_nc_u32_e32 v7, v8, v7
	s_or_b32 exec_lo, exec_lo, s73
	s_and_saveexec_b32 s73, s13
	s_cbranch_execz .LBB74_77
.LBB74_109:                             ;   in Loop: Header=BB74_63 Depth=1
	v_mov_b32_e32 v8, s54
	ds_load_b32 v8, v8
	s_waitcnt lgkmcnt(0)
	v_add_nc_u32_e32 v7, v8, v7
	s_or_b32 exec_lo, exec_lo, s73
	s_and_saveexec_b32 s73, s14
	s_cbranch_execz .LBB74_78
.LBB74_110:                             ;   in Loop: Header=BB74_63 Depth=1
	v_mov_b32_e32 v8, s55
	ds_load_b32 v8, v8
	s_waitcnt lgkmcnt(0)
	v_add_nc_u32_e32 v7, v8, v7
	s_or_b32 exec_lo, exec_lo, s73
	s_and_saveexec_b32 s73, s15
	s_cbranch_execz .LBB74_79
.LBB74_111:                             ;   in Loop: Header=BB74_63 Depth=1
	v_mov_b32_e32 v8, s56
	ds_load_b32 v8, v8
	s_waitcnt lgkmcnt(0)
	v_add_nc_u32_e32 v7, v8, v7
	s_or_b32 exec_lo, exec_lo, s73
	s_and_saveexec_b32 s73, s16
	s_cbranch_execz .LBB74_80
.LBB74_112:                             ;   in Loop: Header=BB74_63 Depth=1
	v_mov_b32_e32 v8, s57
	ds_load_b32 v8, v8
	s_waitcnt lgkmcnt(0)
	v_add_nc_u32_e32 v7, v8, v7
	s_or_b32 exec_lo, exec_lo, s73
	s_and_saveexec_b32 s73, s17
	s_cbranch_execz .LBB74_81
.LBB74_113:                             ;   in Loop: Header=BB74_63 Depth=1
	v_mov_b32_e32 v8, s58
	ds_load_b32 v8, v8
	s_waitcnt lgkmcnt(0)
	v_add_nc_u32_e32 v7, v8, v7
	s_or_b32 exec_lo, exec_lo, s73
	s_and_saveexec_b32 s73, s18
	s_cbranch_execz .LBB74_82
.LBB74_114:                             ;   in Loop: Header=BB74_63 Depth=1
	v_mov_b32_e32 v8, s59
	ds_load_b32 v8, v8
	s_waitcnt lgkmcnt(0)
	v_add_nc_u32_e32 v7, v8, v7
	s_or_b32 exec_lo, exec_lo, s73
	s_and_saveexec_b32 s73, s19
	s_cbranch_execz .LBB74_83
.LBB74_115:                             ;   in Loop: Header=BB74_63 Depth=1
	v_mov_b32_e32 v8, s60
	ds_load_b32 v8, v8
	s_waitcnt lgkmcnt(0)
	v_add_nc_u32_e32 v7, v8, v7
	s_or_b32 exec_lo, exec_lo, s73
	s_and_saveexec_b32 s73, s20
	s_cbranch_execz .LBB74_84
.LBB74_116:                             ;   in Loop: Header=BB74_63 Depth=1
	v_mov_b32_e32 v8, s61
	ds_load_b32 v8, v8
	s_waitcnt lgkmcnt(0)
	v_add_nc_u32_e32 v7, v8, v7
	s_or_b32 exec_lo, exec_lo, s73
	s_and_saveexec_b32 s73, s21
	s_cbranch_execz .LBB74_85
.LBB74_117:                             ;   in Loop: Header=BB74_63 Depth=1
	v_mov_b32_e32 v8, s62
	ds_load_b32 v8, v8
	s_waitcnt lgkmcnt(0)
	v_add_nc_u32_e32 v7, v8, v7
	s_or_b32 exec_lo, exec_lo, s73
	s_and_saveexec_b32 s73, s22
	s_cbranch_execz .LBB74_86
.LBB74_118:                             ;   in Loop: Header=BB74_63 Depth=1
	v_mov_b32_e32 v8, s63
	ds_load_b32 v8, v8
	s_waitcnt lgkmcnt(0)
	v_add_nc_u32_e32 v7, v8, v7
	s_or_b32 exec_lo, exec_lo, s73
	s_and_saveexec_b32 s73, s23
	s_cbranch_execz .LBB74_87
.LBB74_119:                             ;   in Loop: Header=BB74_63 Depth=1
	v_mov_b32_e32 v8, s64
	ds_load_b32 v8, v8
	s_waitcnt lgkmcnt(0)
	v_add_nc_u32_e32 v7, v8, v7
	s_or_b32 exec_lo, exec_lo, s73
	s_and_saveexec_b32 s73, s24
	s_cbranch_execz .LBB74_88
.LBB74_120:                             ;   in Loop: Header=BB74_63 Depth=1
	v_mov_b32_e32 v8, s65
	ds_load_b32 v8, v8
	s_waitcnt lgkmcnt(0)
	v_add_nc_u32_e32 v7, v8, v7
	s_or_b32 exec_lo, exec_lo, s73
	s_and_saveexec_b32 s73, s25
	s_cbranch_execz .LBB74_89
.LBB74_121:                             ;   in Loop: Header=BB74_63 Depth=1
	v_mov_b32_e32 v8, s66
	ds_load_b32 v8, v8
	s_waitcnt lgkmcnt(0)
	v_add_nc_u32_e32 v7, v8, v7
	s_or_b32 exec_lo, exec_lo, s73
	s_and_saveexec_b32 s73, s26
	s_cbranch_execz .LBB74_90
.LBB74_122:                             ;   in Loop: Header=BB74_63 Depth=1
	v_mov_b32_e32 v8, s67
	ds_load_b32 v8, v8
	s_waitcnt lgkmcnt(0)
	v_add_nc_u32_e32 v7, v8, v7
	s_or_b32 exec_lo, exec_lo, s73
	s_and_saveexec_b32 s73, s27
	s_cbranch_execz .LBB74_91
.LBB74_123:                             ;   in Loop: Header=BB74_63 Depth=1
	v_mov_b32_e32 v8, s69
	ds_load_b32 v8, v8
	s_waitcnt lgkmcnt(0)
	v_add_nc_u32_e32 v7, v8, v7
	s_or_b32 exec_lo, exec_lo, s73
	s_and_saveexec_b32 s73, s28
	s_cbranch_execz .LBB74_92
.LBB74_124:                             ;   in Loop: Header=BB74_63 Depth=1
	v_mov_b32_e32 v8, s70
	ds_load_b32 v8, v8
	s_waitcnt lgkmcnt(0)
	v_add_nc_u32_e32 v7, v8, v7
	s_or_b32 exec_lo, exec_lo, s73
	s_and_saveexec_b32 s73, s29
	s_cbranch_execz .LBB74_93
.LBB74_125:                             ;   in Loop: Header=BB74_63 Depth=1
	v_mov_b32_e32 v8, s71
	ds_load_b32 v8, v8
	s_waitcnt lgkmcnt(0)
	v_add_nc_u32_e32 v7, v8, v7
	s_or_b32 exec_lo, exec_lo, s73
	s_and_saveexec_b32 s73, s30
	s_cbranch_execz .LBB74_94
.LBB74_126:                             ;   in Loop: Header=BB74_63 Depth=1
	v_mov_b32_e32 v8, s72
	ds_load_b32 v8, v8
	s_waitcnt lgkmcnt(0)
	v_add_nc_u32_e32 v7, v8, v7
	s_or_b32 exec_lo, exec_lo, s73
	s_and_saveexec_b32 s73, s31
	s_cbranch_execz .LBB74_95
.LBB74_127:                             ;   in Loop: Header=BB74_63 Depth=1
	scratch_load_b128 v[8:11], off, off
	v_add3_u32 v12, v4, -1, v7
	s_delay_alu instid0(VALU_DEP_1) | instskip(SKIP_1) | instid1(VALU_DEP_2)
	v_lshlrev_b32_e32 v13, 4, v12
	v_lshl_add_u32 v12, v12, 2, 0
	v_add3_u32 v13, 0, v13, 0x10000
	ds_store_b32 v12, v6
	s_waitcnt vmcnt(0)
	ds_store_2addr_b64 v13, v[8:9], v[10:11] offset1:1
	s_or_b32 exec_lo, exec_lo, s73
	s_and_saveexec_b32 s31, vcc_lo
	s_cbranch_execz .LBB74_62
.LBB74_128:                             ;   in Loop: Header=BB74_63 Depth=1
	v_mov_b32_e32 v6, s68
	ds_store_b32 v6, v7
	s_branch .LBB74_62
.LBB74_129:
	s_or_b32 exec_lo, exec_lo, s36
	s_ashr_i32 s49, s48, 31
	s_mov_b32 s3, exec_lo
	s_lshl_b64 s[0:1], s[48:49], 2
	s_delay_alu instid0(SALU_CYCLE_1) | instskip(SKIP_4) | instid1(SALU_CYCLE_1)
	s_add_u32 s0, s42, s0
	s_addc_u32 s1, s43, s1
	s_load_b64 s[0:1], s[0:1], 0x0
	s_waitcnt lgkmcnt(0)
	s_sub_i32 s2, s1, s0
	v_cmpx_gt_i32_e64 s2, v0
	s_cbranch_execz .LBB74_139
; %bb.130:
	s_sub_i32 s3, s0, s46
	s_sub_i32 s0, s0, s1
	s_and_b32 s1, s2, 7
	s_cmp_lt_u32 s0, -7
	s_mov_b32 s7, 0
	s_cselect_b32 s4, -1, 0
	s_and_b32 s5, s2, -8
	s_cmp_lg_u32 s1, 0
	s_cselect_b32 s6, -1, 0
	s_branch .LBB74_132
.LBB74_131:                             ;   in Loop: Header=BB74_132 Depth=1
	s_waitcnt lgkmcnt(0)
	v_lshlrev_b32_e32 v2, 4, v0
	v_add_nc_u32_e32 v0, 0x400, v0
	s_delay_alu instid0(VALU_DEP_2) | instskip(NEXT) | instid1(VALU_DEP_2)
	v_add3_u32 v2, 0, v2, 0x10000
	v_cmp_le_i32_e32 vcc_lo, s2, v0
	ds_load_2addr_b64 v[3:6], v2 offset1:1
	v_ashrrev_i32_e32 v2, 31, v1
	s_or_b32 s7, vcc_lo, s7
	s_delay_alu instid0(VALU_DEP_1) | instskip(NEXT) | instid1(VALU_DEP_1)
	v_lshlrev_b64 v[1:2], 4, v[1:2]
	v_add_co_u32 v1, s0, s34, v1
	s_delay_alu instid0(VALU_DEP_1)
	v_add_co_ci_u32_e64 v2, s0, s35, v2, s0
	s_waitcnt lgkmcnt(0)
	global_store_b128 v[1:2], v[3:6], off
	s_and_not1_b32 exec_lo, exec_lo, s7
	s_cbranch_execz .LBB74_139
.LBB74_132:                             ; =>This Loop Header: Depth=1
                                        ;     Child Loop BB74_134 Depth 2
                                        ;     Child Loop BB74_138 Depth 2
	v_lshl_add_u32 v1, v0, 2, 0
	s_and_not1_b32 vcc_lo, exec_lo, s4
	s_mov_b32 s0, 0
	ds_load_b32 v2, v1
	v_mov_b32_e32 v1, s3
	s_cbranch_vccnz .LBB74_136
; %bb.133:                              ;   in Loop: Header=BB74_132 Depth=1
	v_mov_b32_e32 v1, s3
	s_mov_b32 s8, 0
	s_set_inst_prefetch_distance 0x1
	.p2align	6
.LBB74_134:                             ;   Parent Loop BB74_132 Depth=1
                                        ; =>  This Inner Loop Header: Depth=2
	v_mov_b32_e32 v9, s8
	s_add_i32 s0, s0, 8
	s_add_i32 s8, s8, 32
	s_cmp_eq_u32 s5, s0
	ds_load_2addr_b32 v[3:4], v9 offset1:1
	ds_load_2addr_b32 v[5:6], v9 offset0:2 offset1:3
	ds_load_2addr_b32 v[7:8], v9 offset0:4 offset1:5
	;; [unrolled: 1-line block ×3, first 2 shown]
	s_waitcnt lgkmcnt(3)
	v_cmp_gt_i32_e32 vcc_lo, v2, v3
	v_cndmask_b32_e64 v3, 0, 1, vcc_lo
	s_waitcnt lgkmcnt(2)
	v_cmp_gt_i32_e32 vcc_lo, v2, v5
	v_cndmask_b32_e64 v5, 0, 1, vcc_lo
	v_cmp_gt_i32_e32 vcc_lo, v2, v4
	v_add_co_ci_u32_e32 v1, vcc_lo, v1, v3, vcc_lo
	s_waitcnt lgkmcnt(1)
	v_cmp_gt_i32_e32 vcc_lo, v2, v7
	v_cndmask_b32_e64 v3, 0, 1, vcc_lo
	v_cmp_gt_i32_e32 vcc_lo, v2, v6
	v_add_co_ci_u32_e32 v1, vcc_lo, v1, v5, vcc_lo
	;; [unrolled: 5-line block ×3, first 2 shown]
	v_cmp_gt_i32_e32 vcc_lo, v2, v10
	s_delay_alu instid0(VALU_DEP_2)
	v_add_co_ci_u32_e32 v1, vcc_lo, v1, v4, vcc_lo
	s_cbranch_scc0 .LBB74_134
; %bb.135:                              ;   in Loop: Header=BB74_132 Depth=1
	s_set_inst_prefetch_distance 0x2
	s_mov_b32 s0, s5
.LBB74_136:                             ;   in Loop: Header=BB74_132 Depth=1
	s_and_not1_b32 vcc_lo, exec_lo, s6
	s_cbranch_vccnz .LBB74_131
; %bb.137:                              ;   in Loop: Header=BB74_132 Depth=1
	s_lshl_b32 s0, s0, 2
	s_mov_b32 s8, s1
	s_add_i32 s0, s0, 0
.LBB74_138:                             ;   Parent Loop BB74_132 Depth=1
                                        ; =>  This Inner Loop Header: Depth=2
	s_delay_alu instid0(SALU_CYCLE_1)
	v_mov_b32_e32 v3, s0
	s_add_i32 s8, s8, -1
	s_add_i32 s0, s0, 4
	s_cmp_lg_u32 s8, 0
	ds_load_b32 v3, v3
	s_waitcnt lgkmcnt(0)
	v_cmp_gt_i32_e32 vcc_lo, v2, v3
	v_add_co_ci_u32_e32 v1, vcc_lo, 0, v1, vcc_lo
	s_cbranch_scc1 .LBB74_138
	s_branch .LBB74_131
.LBB74_139:
	s_nop 0
	s_sendmsg sendmsg(MSG_DEALLOC_VGPRS)
	s_endpgm
	.section	.rodata,"a",@progbits
	.p2align	6, 0x0
	.amdhsa_kernel _ZN9rocsparseL41csrgemm_numeric_fill_block_per_row_kernelILj1024ELj64ELj16384ELj137ELj32Eii21rocsparse_complex_numIdEEEvT5_PKS3_S5_NS_24const_host_device_scalarIT6_EEPKT4_S5_PKS7_SB_S5_SD_S8_SB_S5_SD_SB_S5_PS7_21rocsparse_index_base_SF_SF_SF_bbb
		.amdhsa_group_segment_fixed_size 0
		.amdhsa_private_segment_fixed_size 40
		.amdhsa_kernarg_size 172
		.amdhsa_user_sgpr_count 15
		.amdhsa_user_sgpr_dispatch_ptr 0
		.amdhsa_user_sgpr_queue_ptr 0
		.amdhsa_user_sgpr_kernarg_segment_ptr 1
		.amdhsa_user_sgpr_dispatch_id 0
		.amdhsa_user_sgpr_private_segment_size 0
		.amdhsa_wavefront_size32 1
		.amdhsa_uses_dynamic_stack 0
		.amdhsa_enable_private_segment 1
		.amdhsa_system_sgpr_workgroup_id_x 1
		.amdhsa_system_sgpr_workgroup_id_y 0
		.amdhsa_system_sgpr_workgroup_id_z 0
		.amdhsa_system_sgpr_workgroup_info 0
		.amdhsa_system_vgpr_workitem_id 0
		.amdhsa_next_free_vgpr 31
		.amdhsa_next_free_sgpr 74
		.amdhsa_reserve_vcc 1
		.amdhsa_float_round_mode_32 0
		.amdhsa_float_round_mode_16_64 0
		.amdhsa_float_denorm_mode_32 3
		.amdhsa_float_denorm_mode_16_64 3
		.amdhsa_dx10_clamp 1
		.amdhsa_ieee_mode 1
		.amdhsa_fp16_overflow 0
		.amdhsa_workgroup_processor_mode 1
		.amdhsa_memory_ordered 1
		.amdhsa_forward_progress 0
		.amdhsa_shared_vgpr_count 0
		.amdhsa_exception_fp_ieee_invalid_op 0
		.amdhsa_exception_fp_denorm_src 0
		.amdhsa_exception_fp_ieee_div_zero 0
		.amdhsa_exception_fp_ieee_overflow 0
		.amdhsa_exception_fp_ieee_underflow 0
		.amdhsa_exception_fp_ieee_inexact 0
		.amdhsa_exception_int_div_zero 0
	.end_amdhsa_kernel
	.section	.text._ZN9rocsparseL41csrgemm_numeric_fill_block_per_row_kernelILj1024ELj64ELj16384ELj137ELj32Eii21rocsparse_complex_numIdEEEvT5_PKS3_S5_NS_24const_host_device_scalarIT6_EEPKT4_S5_PKS7_SB_S5_SD_S8_SB_S5_SD_SB_S5_PS7_21rocsparse_index_base_SF_SF_SF_bbb,"axG",@progbits,_ZN9rocsparseL41csrgemm_numeric_fill_block_per_row_kernelILj1024ELj64ELj16384ELj137ELj32Eii21rocsparse_complex_numIdEEEvT5_PKS3_S5_NS_24const_host_device_scalarIT6_EEPKT4_S5_PKS7_SB_S5_SD_S8_SB_S5_SD_SB_S5_PS7_21rocsparse_index_base_SF_SF_SF_bbb,comdat
.Lfunc_end74:
	.size	_ZN9rocsparseL41csrgemm_numeric_fill_block_per_row_kernelILj1024ELj64ELj16384ELj137ELj32Eii21rocsparse_complex_numIdEEEvT5_PKS3_S5_NS_24const_host_device_scalarIT6_EEPKT4_S5_PKS7_SB_S5_SD_S8_SB_S5_SD_SB_S5_PS7_21rocsparse_index_base_SF_SF_SF_bbb, .Lfunc_end74-_ZN9rocsparseL41csrgemm_numeric_fill_block_per_row_kernelILj1024ELj64ELj16384ELj137ELj32Eii21rocsparse_complex_numIdEEEvT5_PKS3_S5_NS_24const_host_device_scalarIT6_EEPKT4_S5_PKS7_SB_S5_SD_S8_SB_S5_SD_SB_S5_PS7_21rocsparse_index_base_SF_SF_SF_bbb
                                        ; -- End function
	.section	.AMDGPU.csdata,"",@progbits
; Kernel info:
; codeLenInByte = 5308
; NumSgprs: 76
; NumVgprs: 31
; ScratchSize: 40
; MemoryBound: 0
; FloatMode: 240
; IeeeMode: 1
; LDSByteSize: 0 bytes/workgroup (compile time only)
; SGPRBlocks: 9
; VGPRBlocks: 3
; NumSGPRsForWavesPerEU: 76
; NumVGPRsForWavesPerEU: 31
; Occupancy: 16
; WaveLimiterHint : 1
; COMPUTE_PGM_RSRC2:SCRATCH_EN: 1
; COMPUTE_PGM_RSRC2:USER_SGPR: 15
; COMPUTE_PGM_RSRC2:TRAP_HANDLER: 0
; COMPUTE_PGM_RSRC2:TGID_X_EN: 1
; COMPUTE_PGM_RSRC2:TGID_Y_EN: 0
; COMPUTE_PGM_RSRC2:TGID_Z_EN: 0
; COMPUTE_PGM_RSRC2:TIDIG_COMP_CNT: 0
	.section	.text._ZN9rocsparseL41csrgemm_numeric_fill_block_per_row_kernelILj1024ELj64ELj16384ELj137ELj64Eii21rocsparse_complex_numIdEEEvT5_PKS3_S5_NS_24const_host_device_scalarIT6_EEPKT4_S5_PKS7_SB_S5_SD_S8_SB_S5_SD_SB_S5_PS7_21rocsparse_index_base_SF_SF_SF_bbb,"axG",@progbits,_ZN9rocsparseL41csrgemm_numeric_fill_block_per_row_kernelILj1024ELj64ELj16384ELj137ELj64Eii21rocsparse_complex_numIdEEEvT5_PKS3_S5_NS_24const_host_device_scalarIT6_EEPKT4_S5_PKS7_SB_S5_SD_S8_SB_S5_SD_SB_S5_PS7_21rocsparse_index_base_SF_SF_SF_bbb,comdat
	.globl	_ZN9rocsparseL41csrgemm_numeric_fill_block_per_row_kernelILj1024ELj64ELj16384ELj137ELj64Eii21rocsparse_complex_numIdEEEvT5_PKS3_S5_NS_24const_host_device_scalarIT6_EEPKT4_S5_PKS7_SB_S5_SD_S8_SB_S5_SD_SB_S5_PS7_21rocsparse_index_base_SF_SF_SF_bbb ; -- Begin function _ZN9rocsparseL41csrgemm_numeric_fill_block_per_row_kernelILj1024ELj64ELj16384ELj137ELj64Eii21rocsparse_complex_numIdEEEvT5_PKS3_S5_NS_24const_host_device_scalarIT6_EEPKT4_S5_PKS7_SB_S5_SD_S8_SB_S5_SD_SB_S5_PS7_21rocsparse_index_base_SF_SF_SF_bbb
	.p2align	8
	.type	_ZN9rocsparseL41csrgemm_numeric_fill_block_per_row_kernelILj1024ELj64ELj16384ELj137ELj64Eii21rocsparse_complex_numIdEEEvT5_PKS3_S5_NS_24const_host_device_scalarIT6_EEPKT4_S5_PKS7_SB_S5_SD_S8_SB_S5_SD_SB_S5_PS7_21rocsparse_index_base_SF_SF_SF_bbb,@function
_ZN9rocsparseL41csrgemm_numeric_fill_block_per_row_kernelILj1024ELj64ELj16384ELj137ELj64Eii21rocsparse_complex_numIdEEEvT5_PKS3_S5_NS_24const_host_device_scalarIT6_EEPKT4_S5_PKS7_SB_S5_SD_S8_SB_S5_SD_SB_S5_PS7_21rocsparse_index_base_SF_SF_SF_bbb: ; @_ZN9rocsparseL41csrgemm_numeric_fill_block_per_row_kernelILj1024ELj64ELj16384ELj137ELj64Eii21rocsparse_complex_numIdEEEvT5_PKS3_S5_NS_24const_host_device_scalarIT6_EEPKT4_S5_PKS7_SB_S5_SD_S8_SB_S5_SD_SB_S5_PS7_21rocsparse_index_base_SF_SF_SF_bbb
; %bb.0:
	s_clause 0x3
	s_load_b32 s14, s[0:1], 0xa8
	s_load_b128 s[4:7], s[0:1], 0x18
	s_load_b128 s[36:39], s[0:1], 0x58
	;; [unrolled: 1-line block ×3, first 2 shown]
	v_mov_b32_e32 v1, 0
	v_mov_b32_e32 v2, 0
	s_waitcnt lgkmcnt(0)
	s_bitcmp1_b32 s14, 0
	v_mov_b32_e32 v3, s4
	s_cselect_b32 s12, -1, 0
	s_bitcmp1_b32 s14, 16
	v_dual_mov_b32 v6, v2 :: v_dual_mov_b32 v5, v1
	s_cselect_b32 s2, -1, 0
	v_mov_b32_e32 v4, s5
	s_xor_b32 s13, s2, -1
	v_dual_mov_b32 v9, s36 :: v_dual_mov_b32 v10, s37
	v_cndmask_b32_e64 v7, 0, 1, s13
	s_bitcmp0_b32 s14, 0
	s_clause 0x1
	scratch_store_b64 off, v[3:4], off offset:16
	scratch_store_b64 off, v[9:10], off offset:24
	v_cmp_ne_u32_e32 vcc_lo, 1, v7
	v_dual_mov_b32 v8, v2 :: v_dual_mov_b32 v7, v1
	s_cbranch_scc1 .LBB75_3
; %bb.1:
	s_mov_b64 s[8:9], src_private_base
	s_and_b32 s3, s2, exec_lo
	s_cselect_b32 s3, s9, s5
	s_delay_alu instid0(SALU_CYCLE_1) | instskip(SKIP_2) | instid1(VALU_DEP_2)
	v_dual_mov_b32 v3, 16 :: v_dual_mov_b32 v4, s3
	v_dual_mov_b32 v8, s7 :: v_dual_mov_b32 v7, s6
	s_and_b32 vcc_lo, exec_lo, vcc_lo
	v_cndmask_b32_e64 v3, s4, v3, s2
	flat_load_b64 v[5:6], v[3:4]
	s_cbranch_vccnz .LBB75_3
; %bb.2:
	v_dual_mov_b32 v3, s4 :: v_dual_mov_b32 v4, s5
	flat_load_b64 v[7:8], v[3:4] offset:8
.LBB75_3:
	s_clause 0x4
	s_load_b64 s[34:35], s[0:1], 0x90
	s_load_b256 s[16:23], s[0:1], 0x68
	s_load_b128 s[28:31], s[0:1], 0x48
	s_load_b128 s[40:43], s[0:1], 0x8
	s_load_b256 s[4:11], s[0:1], 0x28
	s_bitcmp1_b32 s14, 8
	v_dual_mov_b32 v4, v2 :: v_dual_mov_b32 v3, v1
	s_cselect_b32 s3, -1, 0
	s_bfe_u32 s14, s14, 0x10008
	s_delay_alu instid0(SALU_CYCLE_1)
	s_cmp_eq_u32 s14, 0
	s_cbranch_scc1 .LBB75_6
; %bb.4:
	s_mov_b64 s[44:45], src_private_base
	s_and_b32 s14, s2, exec_lo
	s_cselect_b32 s14, s45, s37
	s_delay_alu instid0(SALU_CYCLE_1) | instskip(SKIP_1) | instid1(VALU_DEP_1)
	v_dual_mov_b32 v1, 24 :: v_dual_mov_b32 v2, s14
	s_and_not1_b32 vcc_lo, exec_lo, s13
	v_cndmask_b32_e64 v1, s36, v1, s2
	flat_load_b64 v[3:4], v[1:2]
	v_dual_mov_b32 v1, s38 :: v_dual_mov_b32 v2, s39
	s_cbranch_vccnz .LBB75_6
; %bb.5:
	v_dual_mov_b32 v1, s36 :: v_dual_mov_b32 v2, s37
	flat_load_b64 v[1:2], v[1:2] offset:8
.LBB75_6:
	s_load_b32 s33, s[0:1], 0x0
	s_mov_b32 s0, 0
	v_or_b32_e32 v23, 0xfffffc00, v0
	v_lshl_add_u32 v24, v0, 2, 0
	s_mov_b32 s1, s0
	s_delay_alu instid0(SALU_CYCLE_1)
	v_dual_mov_b32 v10, s1 :: v_dual_lshlrev_b32 v25, 4, v0
	s_mov_b32 s36, s0
	s_mov_b32 s37, s0
	v_dual_mov_b32 v11, s36 :: v_dual_mov_b32 v14, v24
	v_dual_mov_b32 v9, s0 :: v_dual_mov_b32 v12, s37
	v_add3_u32 v13, v25, 0, 0x10008
	s_waitcnt lgkmcnt(0)
	v_dual_mov_b32 v16, v23 :: v_dual_mov_b32 v15, s33
.LBB75_7:                               ; =>This Inner Loop Header: Depth=1
	s_delay_alu instid0(VALU_DEP_1)
	v_add_nc_u32_e32 v16, 0x400, v16
	ds_store_b32 v14, v15
	v_add_nc_u32_e32 v17, -8, v13
	v_add_nc_u32_e32 v13, 0x4000, v13
	v_add_nc_u32_e32 v14, 0x1000, v14
	v_cmp_lt_u32_e32 vcc_lo, 0x3bff, v16
	ds_store_2addr_b64 v17, v[9:10], v[11:12] offset1:1
	s_or_b32 s0, vcc_lo, s0
	s_delay_alu instid0(SALU_CYCLE_1)
	s_and_not1_b32 exec_lo, exec_lo, s0
	s_cbranch_execnz .LBB75_7
; %bb.8:
	s_or_b32 exec_lo, exec_lo, s0
	s_waitcnt vmcnt(0) lgkmcnt(0)
	s_waitcnt_vscnt null, 0x0
	s_barrier
	buffer_gl0_inv
	s_load_b32 s0, s[40:41], 0x0
	s_mov_b32 s1, 0
	v_lshrrev_b32_e32 v26, 6, v0
	s_waitcnt lgkmcnt(0)
	s_add_i32 s0, s0, s15
	s_delay_alu instid0(SALU_CYCLE_1) | instskip(NEXT) | instid1(SALU_CYCLE_1)
	s_lshl_b64 s[0:1], s[0:1], 2
	s_add_u32 s0, s42, s0
	s_addc_u32 s1, s43, s1
	s_and_b32 vcc_lo, exec_lo, s12
	s_load_b32 s36, s[0:1], 0x0
	s_cbranch_vccz .LBB75_36
; %bb.9:
	s_waitcnt lgkmcnt(0)
	s_ashr_i32 s37, s36, 31
	v_subrev_nc_u32_e32 v9, s24, v26
	s_lshl_b64 s[0:1], s[36:37], 2
	s_delay_alu instid0(SALU_CYCLE_1)
	s_add_u32 s0, s4, s0
	s_addc_u32 s1, s5, s1
	s_load_b64 s[0:1], s[0:1], 0x0
	s_waitcnt lgkmcnt(0)
	v_add_nc_u32_e32 v9, s0, v9
	s_sub_i32 s0, s1, s24
	s_mov_b32 s1, exec_lo
	s_delay_alu instid0(VALU_DEP_1)
	v_cmpx_gt_i32_e64 s0, v9
	s_cbranch_execz .LBB75_35
; %bb.10:
	v_and_b32_e32 v10, 63, v0
	s_mov_b32 s2, 0
	s_delay_alu instid0(VALU_DEP_1)
	v_subrev_nc_u32_e32 v27, s25, v10
	s_branch .LBB75_12
.LBB75_11:                              ;   in Loop: Header=BB75_12 Depth=1
	s_or_b32 exec_lo, exec_lo, s4
	v_add_nc_u32_e32 v9, 16, v9
	s_delay_alu instid0(VALU_DEP_1) | instskip(SKIP_1) | instid1(SALU_CYCLE_1)
	v_cmp_le_i32_e32 vcc_lo, s0, v9
	s_or_b32 s2, vcc_lo, s2
	s_and_not1_b32 exec_lo, exec_lo, s2
	s_cbranch_execz .LBB75_35
.LBB75_12:                              ; =>This Loop Header: Depth=1
                                        ;     Child Loop BB75_15 Depth 2
                                        ;       Child Loop BB75_17 Depth 3
                                        ;         Child Loop BB75_23 Depth 4
                                        ;         Child Loop BB75_25 Depth 4
                                        ;         Child Loop BB75_31 Depth 4
                                        ;         Child Loop BB75_33 Depth 4
	v_ashrrev_i32_e32 v10, 31, v9
	s_mov_b32 s4, exec_lo
	s_delay_alu instid0(VALU_DEP_1) | instskip(NEXT) | instid1(VALU_DEP_1)
	v_lshlrev_b64 v[11:12], 2, v[9:10]
	v_add_co_u32 v11, vcc_lo, s6, v11
	s_delay_alu instid0(VALU_DEP_2) | instskip(SKIP_3) | instid1(VALU_DEP_1)
	v_add_co_ci_u32_e32 v12, vcc_lo, s7, v12, vcc_lo
	global_load_b32 v11, v[11:12], off
	s_waitcnt vmcnt(0)
	v_subrev_nc_u32_e32 v11, s24, v11
	v_ashrrev_i32_e32 v12, 31, v11
	s_delay_alu instid0(VALU_DEP_1) | instskip(NEXT) | instid1(VALU_DEP_1)
	v_lshlrev_b64 v[11:12], 2, v[11:12]
	v_add_co_u32 v11, vcc_lo, s10, v11
	s_delay_alu instid0(VALU_DEP_2) | instskip(SKIP_4) | instid1(VALU_DEP_1)
	v_add_co_ci_u32_e32 v12, vcc_lo, s11, v12, vcc_lo
	global_load_b64 v[11:12], v[11:12], off
	s_waitcnt vmcnt(0)
	v_subrev_nc_u32_e32 v28, s25, v12
	v_add_nc_u32_e32 v11, v11, v27
	v_cmpx_lt_i32_e64 v11, v28
	s_cbranch_execz .LBB75_11
; %bb.13:                               ;   in Loop: Header=BB75_12 Depth=1
	v_lshlrev_b64 v[12:13], 4, v[9:10]
	s_mov_b32 s5, 0
	s_delay_alu instid0(VALU_DEP_1) | instskip(NEXT) | instid1(VALU_DEP_2)
	v_add_co_u32 v12, vcc_lo, s8, v12
	v_add_co_ci_u32_e32 v13, vcc_lo, s9, v13, vcc_lo
	global_load_b128 v[15:18], v[12:13], off
	s_waitcnt vmcnt(0)
	v_mul_f64 v[12:13], v[17:18], -v[7:8]
	v_mul_f64 v[17:18], v[5:6], v[17:18]
	s_delay_alu instid0(VALU_DEP_2) | instskip(NEXT) | instid1(VALU_DEP_2)
	v_fma_f64 v[13:14], v[5:6], v[15:16], v[12:13]
	v_fma_f64 v[15:16], v[7:8], v[15:16], v[17:18]
	s_branch .LBB75_15
.LBB75_14:                              ;   in Loop: Header=BB75_15 Depth=2
	s_or_b32 exec_lo, exec_lo, s12
	v_add_nc_u32_e32 v11, 64, v11
	s_delay_alu instid0(VALU_DEP_1) | instskip(SKIP_1) | instid1(SALU_CYCLE_1)
	v_cmp_ge_i32_e32 vcc_lo, v11, v28
	s_or_b32 s5, vcc_lo, s5
	s_and_not1_b32 exec_lo, exec_lo, s5
	s_cbranch_execz .LBB75_11
.LBB75_15:                              ;   Parent Loop BB75_12 Depth=1
                                        ; =>  This Loop Header: Depth=2
                                        ;       Child Loop BB75_17 Depth 3
                                        ;         Child Loop BB75_23 Depth 4
                                        ;         Child Loop BB75_25 Depth 4
	;; [unrolled: 1-line block ×4, first 2 shown]
	v_ashrrev_i32_e32 v12, 31, v11
	s_mov_b32 s12, 0
	s_delay_alu instid0(VALU_DEP_1) | instskip(NEXT) | instid1(VALU_DEP_1)
	v_lshlrev_b64 v[17:18], 4, v[11:12]
	v_add_co_u32 v17, vcc_lo, s30, v17
	s_delay_alu instid0(VALU_DEP_2) | instskip(SKIP_2) | instid1(VALU_DEP_1)
	v_add_co_ci_u32_e32 v18, vcc_lo, s31, v18, vcc_lo
	global_load_b128 v[19:22], v[17:18], off
	v_lshlrev_b64 v[17:18], 2, v[11:12]
	v_add_co_u32 v17, vcc_lo, s28, v17
	s_delay_alu instid0(VALU_DEP_2)
	v_add_co_ci_u32_e32 v18, vcc_lo, s29, v18, vcc_lo
	global_load_b32 v10, v[17:18], off
	s_waitcnt vmcnt(1)
	v_mul_f64 v[17:18], v[21:22], -v[15:16]
	v_mul_f64 v[21:22], v[13:14], v[21:22]
	s_waitcnt vmcnt(0)
	v_subrev_nc_u32_e32 v10, s25, v10
	s_delay_alu instid0(VALU_DEP_1) | instskip(NEXT) | instid1(VALU_DEP_1)
	v_mul_lo_u32 v12, 0x89, v10
	v_and_b32_e32 v12, 0x3fff, v12
	v_fma_f64 v[17:18], v[13:14], v[19:20], v[17:18]
	v_fma_f64 v[19:20], v[15:16], v[19:20], v[21:22]
	s_branch .LBB75_17
.LBB75_16:                              ;   in Loop: Header=BB75_17 Depth=3
	s_or_b32 exec_lo, exec_lo, s13
	s_xor_b32 s13, s14, -1
	s_delay_alu instid0(SALU_CYCLE_1) | instskip(NEXT) | instid1(SALU_CYCLE_1)
	s_and_b32 s13, exec_lo, s13
	s_or_b32 s12, s13, s12
	s_delay_alu instid0(SALU_CYCLE_1)
	s_and_not1_b32 exec_lo, exec_lo, s12
	s_cbranch_execz .LBB75_14
.LBB75_17:                              ;   Parent Loop BB75_12 Depth=1
                                        ;     Parent Loop BB75_15 Depth=2
                                        ; =>    This Loop Header: Depth=3
                                        ;         Child Loop BB75_23 Depth 4
                                        ;         Child Loop BB75_25 Depth 4
	;; [unrolled: 1-line block ×4, first 2 shown]
	s_delay_alu instid0(VALU_DEP_3)
	v_lshl_add_u32 v21, v12, 2, 0
	s_mov_b32 s13, exec_lo
                                        ; implicit-def: $sgpr14
	ds_load_b32 v22, v21
	s_waitcnt lgkmcnt(0)
	v_cmpx_ne_u32_e64 v22, v10
	s_xor_b32 s13, exec_lo, s13
	s_cbranch_execz .LBB75_29
; %bb.18:                               ;   in Loop: Header=BB75_17 Depth=3
	s_mov_b32 s15, exec_lo
                                        ; implicit-def: $sgpr14
	v_cmpx_ne_u32_e64 s33, v22
	s_xor_b32 s15, exec_lo, s15
; %bb.19:                               ;   in Loop: Header=BB75_17 Depth=3
	v_add_nc_u32_e32 v12, 1, v12
	s_mov_b32 s14, -1
                                        ; implicit-def: $vgpr21
	s_delay_alu instid0(VALU_DEP_1)
	v_and_b32_e32 v12, 0x3fff, v12
; %bb.20:                               ;   in Loop: Header=BB75_17 Depth=3
	s_and_not1_saveexec_b32 s15, s15
	s_cbranch_execz .LBB75_28
; %bb.21:                               ;   in Loop: Header=BB75_17 Depth=3
	v_mov_b32_e32 v22, s33
	s_mov_b32 s38, -1
	s_mov_b32 s37, exec_lo
	ds_cmpstore_rtn_b32 v21, v21, v10, v22
	s_waitcnt lgkmcnt(0)
	v_cmpx_eq_u32_e64 s33, v21
	s_cbranch_execz .LBB75_27
; %bb.22:                               ;   in Loop: Header=BB75_17 Depth=3
	v_lshlrev_b32_e32 v21, 4, v12
	s_mov_b32 s38, 0
	s_delay_alu instid0(VALU_DEP_1)
	v_add3_u32 v29, 0, v21, 0x10000
	ds_load_b64 v[21:22], v29
.LBB75_23:                              ;   Parent Loop BB75_12 Depth=1
                                        ;     Parent Loop BB75_15 Depth=2
                                        ;       Parent Loop BB75_17 Depth=3
                                        ; =>      This Inner Loop Header: Depth=4
	s_waitcnt lgkmcnt(0)
	v_add_f64 v[30:31], v[21:22], v[17:18]
	ds_cmpstore_rtn_b64 v[30:31], v29, v[30:31], v[21:22]
	s_waitcnt lgkmcnt(0)
	v_cmp_eq_u64_e32 vcc_lo, v[30:31], v[21:22]
	v_dual_mov_b32 v21, v30 :: v_dual_mov_b32 v22, v31
	s_or_b32 s38, vcc_lo, s38
	s_delay_alu instid0(SALU_CYCLE_1)
	s_and_not1_b32 exec_lo, exec_lo, s38
	s_cbranch_execnz .LBB75_23
; %bb.24:                               ;   in Loop: Header=BB75_17 Depth=3
	s_or_b32 exec_lo, exec_lo, s38
	ds_load_b64 v[21:22], v29 offset:8
	s_mov_b32 s38, 0
.LBB75_25:                              ;   Parent Loop BB75_12 Depth=1
                                        ;     Parent Loop BB75_15 Depth=2
                                        ;       Parent Loop BB75_17 Depth=3
                                        ; =>      This Inner Loop Header: Depth=4
	s_waitcnt lgkmcnt(0)
	v_add_f64 v[30:31], v[21:22], v[19:20]
	ds_cmpstore_rtn_b64 v[30:31], v29, v[30:31], v[21:22] offset:8
	s_waitcnt lgkmcnt(0)
	v_cmp_eq_u64_e32 vcc_lo, v[30:31], v[21:22]
	v_dual_mov_b32 v21, v30 :: v_dual_mov_b32 v22, v31
	s_or_b32 s38, vcc_lo, s38
	s_delay_alu instid0(SALU_CYCLE_1)
	s_and_not1_b32 exec_lo, exec_lo, s38
	s_cbranch_execnz .LBB75_25
; %bb.26:                               ;   in Loop: Header=BB75_17 Depth=3
	s_or_b32 exec_lo, exec_lo, s38
	s_delay_alu instid0(SALU_CYCLE_1)
	s_xor_b32 s38, exec_lo, -1
.LBB75_27:                              ;   in Loop: Header=BB75_17 Depth=3
	s_or_b32 exec_lo, exec_lo, s37
	s_delay_alu instid0(SALU_CYCLE_1) | instskip(SKIP_1) | instid1(SALU_CYCLE_1)
	s_and_not1_b32 s14, s14, exec_lo
	s_and_b32 s37, s38, exec_lo
	s_or_b32 s14, s14, s37
.LBB75_28:                              ;   in Loop: Header=BB75_17 Depth=3
	s_or_b32 exec_lo, exec_lo, s15
	s_delay_alu instid0(SALU_CYCLE_1)
	s_and_b32 s14, s14, exec_lo
.LBB75_29:                              ;   in Loop: Header=BB75_17 Depth=3
	s_and_not1_saveexec_b32 s13, s13
	s_cbranch_execz .LBB75_16
; %bb.30:                               ;   in Loop: Header=BB75_17 Depth=3
	v_lshlrev_b32_e32 v21, 4, v12
	s_mov_b32 s15, 0
	s_delay_alu instid0(VALU_DEP_1)
	v_add3_u32 v29, 0, v21, 0x10000
	ds_load_b64 v[21:22], v29
.LBB75_31:                              ;   Parent Loop BB75_12 Depth=1
                                        ;     Parent Loop BB75_15 Depth=2
                                        ;       Parent Loop BB75_17 Depth=3
                                        ; =>      This Inner Loop Header: Depth=4
	s_waitcnt lgkmcnt(0)
	v_add_f64 v[30:31], v[21:22], v[17:18]
	ds_cmpstore_rtn_b64 v[30:31], v29, v[30:31], v[21:22]
	s_waitcnt lgkmcnt(0)
	v_cmp_eq_u64_e32 vcc_lo, v[30:31], v[21:22]
	v_dual_mov_b32 v21, v30 :: v_dual_mov_b32 v22, v31
	s_or_b32 s15, vcc_lo, s15
	s_delay_alu instid0(SALU_CYCLE_1)
	s_and_not1_b32 exec_lo, exec_lo, s15
	s_cbranch_execnz .LBB75_31
; %bb.32:                               ;   in Loop: Header=BB75_17 Depth=3
	s_or_b32 exec_lo, exec_lo, s15
	ds_load_b64 v[21:22], v29 offset:8
	s_mov_b32 s15, 0
.LBB75_33:                              ;   Parent Loop BB75_12 Depth=1
                                        ;     Parent Loop BB75_15 Depth=2
                                        ;       Parent Loop BB75_17 Depth=3
                                        ; =>      This Inner Loop Header: Depth=4
	s_waitcnt lgkmcnt(0)
	v_add_f64 v[30:31], v[21:22], v[19:20]
	ds_cmpstore_rtn_b64 v[30:31], v29, v[30:31], v[21:22] offset:8
	s_waitcnt lgkmcnt(0)
	v_cmp_eq_u64_e32 vcc_lo, v[30:31], v[21:22]
	v_dual_mov_b32 v21, v30 :: v_dual_mov_b32 v22, v31
	s_or_b32 s15, vcc_lo, s15
	s_delay_alu instid0(SALU_CYCLE_1)
	s_and_not1_b32 exec_lo, exec_lo, s15
	s_cbranch_execnz .LBB75_33
; %bb.34:                               ;   in Loop: Header=BB75_17 Depth=3
	s_or_b32 exec_lo, exec_lo, s15
	s_delay_alu instid0(SALU_CYCLE_1)
	s_and_not1_b32 s14, s14, exec_lo
	s_branch .LBB75_16
.LBB75_35:
	s_or_b32 exec_lo, exec_lo, s1
.LBB75_36:
	s_delay_alu instid0(SALU_CYCLE_1)
	s_and_not1_b32 vcc_lo, exec_lo, s3
	s_cbranch_vccnz .LBB75_61
; %bb.37:
	s_waitcnt lgkmcnt(0)
	s_ashr_i32 s37, s36, 31
	v_subrev_nc_u32_e32 v5, s27, v0
	s_lshl_b64 s[0:1], s[36:37], 2
	s_delay_alu instid0(SALU_CYCLE_1)
	s_add_u32 s0, s16, s0
	s_addc_u32 s1, s17, s1
	s_load_b64 s[0:1], s[0:1], 0x0
	s_waitcnt lgkmcnt(0)
	v_add_nc_u32_e32 v5, s0, v5
	s_sub_i32 s0, s1, s27
	s_mov_b32 s1, exec_lo
	s_delay_alu instid0(VALU_DEP_1)
	v_cmpx_gt_i32_e64 s0, v5
	s_cbranch_execz .LBB75_60
; %bb.38:
	s_mov_b32 s2, 0
	s_branch .LBB75_40
.LBB75_39:                              ;   in Loop: Header=BB75_40 Depth=1
	s_or_b32 exec_lo, exec_lo, s3
	v_add_nc_u32_e32 v5, 0x400, v5
	s_delay_alu instid0(VALU_DEP_1) | instskip(SKIP_1) | instid1(SALU_CYCLE_1)
	v_cmp_le_i32_e32 vcc_lo, s0, v5
	s_or_b32 s2, vcc_lo, s2
	s_and_not1_b32 exec_lo, exec_lo, s2
	s_cbranch_execz .LBB75_60
.LBB75_40:                              ; =>This Loop Header: Depth=1
                                        ;     Child Loop BB75_42 Depth 2
                                        ;       Child Loop BB75_48 Depth 3
                                        ;       Child Loop BB75_50 Depth 3
	;; [unrolled: 1-line block ×4, first 2 shown]
	v_ashrrev_i32_e32 v6, 31, v5
	s_mov_b32 s3, 0
	s_delay_alu instid0(VALU_DEP_1) | instskip(NEXT) | instid1(VALU_DEP_1)
	v_lshlrev_b64 v[7:8], 4, v[5:6]
	v_add_co_u32 v7, vcc_lo, s20, v7
	s_delay_alu instid0(VALU_DEP_2) | instskip(SKIP_2) | instid1(VALU_DEP_1)
	v_add_co_ci_u32_e32 v8, vcc_lo, s21, v8, vcc_lo
	global_load_b128 v[8:11], v[7:8], off
	v_lshlrev_b64 v[6:7], 2, v[5:6]
	v_add_co_u32 v6, vcc_lo, s18, v6
	s_delay_alu instid0(VALU_DEP_2)
	v_add_co_ci_u32_e32 v7, vcc_lo, s19, v7, vcc_lo
	global_load_b32 v12, v[6:7], off
	s_waitcnt vmcnt(1)
	v_mul_f64 v[6:7], v[10:11], -v[1:2]
	v_mul_f64 v[10:11], v[3:4], v[10:11]
	s_waitcnt vmcnt(0)
	v_subrev_nc_u32_e32 v12, s27, v12
	s_delay_alu instid0(VALU_DEP_3) | instskip(NEXT) | instid1(VALU_DEP_3)
	v_fma_f64 v[6:7], v[3:4], v[8:9], v[6:7]
	v_fma_f64 v[8:9], v[1:2], v[8:9], v[10:11]
	s_delay_alu instid0(VALU_DEP_3) | instskip(NEXT) | instid1(VALU_DEP_1)
	v_mul_lo_u32 v10, 0x89, v12
	v_and_b32_e32 v13, 0x3fff, v10
	s_branch .LBB75_42
.LBB75_41:                              ;   in Loop: Header=BB75_42 Depth=2
	s_or_b32 exec_lo, exec_lo, s4
	s_xor_b32 s4, s5, -1
	s_delay_alu instid0(SALU_CYCLE_1) | instskip(NEXT) | instid1(SALU_CYCLE_1)
	s_and_b32 s4, exec_lo, s4
	s_or_b32 s3, s4, s3
	s_delay_alu instid0(SALU_CYCLE_1)
	s_and_not1_b32 exec_lo, exec_lo, s3
	s_cbranch_execz .LBB75_39
.LBB75_42:                              ;   Parent Loop BB75_40 Depth=1
                                        ; =>  This Loop Header: Depth=2
                                        ;       Child Loop BB75_48 Depth 3
                                        ;       Child Loop BB75_50 Depth 3
	;; [unrolled: 1-line block ×4, first 2 shown]
	s_delay_alu instid0(VALU_DEP_1)
	v_lshl_add_u32 v10, v13, 2, 0
	s_mov_b32 s4, exec_lo
                                        ; implicit-def: $sgpr5
	ds_load_b32 v11, v10
	s_waitcnt lgkmcnt(0)
	v_cmpx_ne_u32_e64 v11, v12
	s_xor_b32 s4, exec_lo, s4
	s_cbranch_execz .LBB75_54
; %bb.43:                               ;   in Loop: Header=BB75_42 Depth=2
	s_mov_b32 s6, exec_lo
                                        ; implicit-def: $sgpr5
	v_cmpx_ne_u32_e64 s33, v11
	s_xor_b32 s6, exec_lo, s6
; %bb.44:                               ;   in Loop: Header=BB75_42 Depth=2
	v_add_nc_u32_e32 v10, 1, v13
	s_mov_b32 s5, -1
	s_delay_alu instid0(VALU_DEP_1)
	v_and_b32_e32 v13, 0x3fff, v10
                                        ; implicit-def: $vgpr10
; %bb.45:                               ;   in Loop: Header=BB75_42 Depth=2
	s_and_not1_saveexec_b32 s6, s6
	s_cbranch_execz .LBB75_53
; %bb.46:                               ;   in Loop: Header=BB75_42 Depth=2
	v_mov_b32_e32 v11, s33
	s_mov_b32 s8, -1
	s_mov_b32 s7, exec_lo
	ds_cmpstore_rtn_b32 v10, v10, v12, v11
	s_waitcnt lgkmcnt(0)
	v_cmpx_eq_u32_e64 s33, v10
	s_cbranch_execz .LBB75_52
; %bb.47:                               ;   in Loop: Header=BB75_42 Depth=2
	v_lshlrev_b32_e32 v10, 4, v13
	s_mov_b32 s8, 0
	s_delay_alu instid0(VALU_DEP_1)
	v_add3_u32 v14, 0, v10, 0x10000
	ds_load_b64 v[10:11], v14
.LBB75_48:                              ;   Parent Loop BB75_40 Depth=1
                                        ;     Parent Loop BB75_42 Depth=2
                                        ; =>    This Inner Loop Header: Depth=3
	s_waitcnt lgkmcnt(0)
	v_add_f64 v[15:16], v[10:11], v[6:7]
	ds_cmpstore_rtn_b64 v[15:16], v14, v[15:16], v[10:11]
	s_waitcnt lgkmcnt(0)
	v_cmp_eq_u64_e32 vcc_lo, v[15:16], v[10:11]
	v_dual_mov_b32 v10, v15 :: v_dual_mov_b32 v11, v16
	s_or_b32 s8, vcc_lo, s8
	s_delay_alu instid0(SALU_CYCLE_1)
	s_and_not1_b32 exec_lo, exec_lo, s8
	s_cbranch_execnz .LBB75_48
; %bb.49:                               ;   in Loop: Header=BB75_42 Depth=2
	s_or_b32 exec_lo, exec_lo, s8
	ds_load_b64 v[10:11], v14 offset:8
	s_mov_b32 s8, 0
.LBB75_50:                              ;   Parent Loop BB75_40 Depth=1
                                        ;     Parent Loop BB75_42 Depth=2
                                        ; =>    This Inner Loop Header: Depth=3
	s_waitcnt lgkmcnt(0)
	v_add_f64 v[15:16], v[10:11], v[8:9]
	ds_cmpstore_rtn_b64 v[15:16], v14, v[15:16], v[10:11] offset:8
	s_waitcnt lgkmcnt(0)
	v_cmp_eq_u64_e32 vcc_lo, v[15:16], v[10:11]
	v_dual_mov_b32 v10, v15 :: v_dual_mov_b32 v11, v16
	s_or_b32 s8, vcc_lo, s8
	s_delay_alu instid0(SALU_CYCLE_1)
	s_and_not1_b32 exec_lo, exec_lo, s8
	s_cbranch_execnz .LBB75_50
; %bb.51:                               ;   in Loop: Header=BB75_42 Depth=2
	s_or_b32 exec_lo, exec_lo, s8
	s_delay_alu instid0(SALU_CYCLE_1)
	s_xor_b32 s8, exec_lo, -1
.LBB75_52:                              ;   in Loop: Header=BB75_42 Depth=2
	s_or_b32 exec_lo, exec_lo, s7
	s_delay_alu instid0(SALU_CYCLE_1) | instskip(SKIP_1) | instid1(SALU_CYCLE_1)
	s_and_not1_b32 s5, s5, exec_lo
	s_and_b32 s7, s8, exec_lo
	s_or_b32 s5, s5, s7
.LBB75_53:                              ;   in Loop: Header=BB75_42 Depth=2
	s_or_b32 exec_lo, exec_lo, s6
	s_delay_alu instid0(SALU_CYCLE_1)
	s_and_b32 s5, s5, exec_lo
.LBB75_54:                              ;   in Loop: Header=BB75_42 Depth=2
	s_and_not1_saveexec_b32 s4, s4
	s_cbranch_execz .LBB75_41
; %bb.55:                               ;   in Loop: Header=BB75_42 Depth=2
	v_lshlrev_b32_e32 v10, 4, v13
	s_mov_b32 s6, 0
	s_delay_alu instid0(VALU_DEP_1)
	v_add3_u32 v14, 0, v10, 0x10000
	ds_load_b64 v[10:11], v14
.LBB75_56:                              ;   Parent Loop BB75_40 Depth=1
                                        ;     Parent Loop BB75_42 Depth=2
                                        ; =>    This Inner Loop Header: Depth=3
	s_waitcnt lgkmcnt(0)
	v_add_f64 v[15:16], v[10:11], v[6:7]
	ds_cmpstore_rtn_b64 v[15:16], v14, v[15:16], v[10:11]
	s_waitcnt lgkmcnt(0)
	v_cmp_eq_u64_e32 vcc_lo, v[15:16], v[10:11]
	v_dual_mov_b32 v10, v15 :: v_dual_mov_b32 v11, v16
	s_or_b32 s6, vcc_lo, s6
	s_delay_alu instid0(SALU_CYCLE_1)
	s_and_not1_b32 exec_lo, exec_lo, s6
	s_cbranch_execnz .LBB75_56
; %bb.57:                               ;   in Loop: Header=BB75_42 Depth=2
	s_or_b32 exec_lo, exec_lo, s6
	ds_load_b64 v[10:11], v14 offset:8
	s_mov_b32 s6, 0
.LBB75_58:                              ;   Parent Loop BB75_40 Depth=1
                                        ;     Parent Loop BB75_42 Depth=2
                                        ; =>    This Inner Loop Header: Depth=3
	s_waitcnt lgkmcnt(0)
	v_add_f64 v[15:16], v[10:11], v[8:9]
	ds_cmpstore_rtn_b64 v[15:16], v14, v[15:16], v[10:11] offset:8
	s_waitcnt lgkmcnt(0)
	v_cmp_eq_u64_e32 vcc_lo, v[15:16], v[10:11]
	v_dual_mov_b32 v10, v15 :: v_dual_mov_b32 v11, v16
	s_or_b32 s6, vcc_lo, s6
	s_delay_alu instid0(SALU_CYCLE_1)
	s_and_not1_b32 exec_lo, exec_lo, s6
	s_cbranch_execnz .LBB75_58
; %bb.59:                               ;   in Loop: Header=BB75_42 Depth=2
	s_or_b32 exec_lo, exec_lo, s6
	s_delay_alu instid0(SALU_CYCLE_1)
	s_and_not1_b32 s5, s5, exec_lo
	s_branch .LBB75_41
.LBB75_60:
	s_or_b32 exec_lo, exec_lo, s1
.LBB75_61:
	v_mbcnt_lo_u32_b32 v1, -1, 0
	s_add_i32 s31, 0, 0x5003c
	s_delay_alu instid0(SALU_CYCLE_1) | instskip(SKIP_1) | instid1(VALU_DEP_3)
	v_dual_mov_b32 v5, s31 :: v_dual_lshlrev_b32 v2, 2, v26
	v_cmp_eq_u32_e32 vcc_lo, 0x3ff, v0
	v_xor_b32_e32 v1, 63, v1
	v_cmp_lt_u32_e64 s0, 63, v0
	s_delay_alu instid0(VALU_DEP_4)
	v_add3_u32 v3, 0, 0x50000, v2
	v_cmp_lt_u32_e64 s1, 0x7f, v0
	v_cmp_lt_u32_e64 s2, 0xbf, v0
	v_lshrrev_b64 v[1:2], v1, -1
	v_cmp_lt_u32_e64 s3, 0xff, v0
	v_cmp_lt_u32_e64 s4, 0x13f, v0
	;; [unrolled: 1-line block ×12, first 2 shown]
	v_add3_u32 v2, v25, 0, 0x10000
	v_mov_b32_e32 v4, 0
	s_mov_b32 s16, 0
	s_add_i32 s17, 0, 0x50000
	s_add_i32 s18, 0, 0x50004
	;; [unrolled: 1-line block ×15, first 2 shown]
	s_waitcnt lgkmcnt(0)
	s_barrier
	buffer_gl0_inv
	s_branch .LBB75_63
.LBB75_62:                              ;   in Loop: Header=BB75_63 Depth=1
	s_or_b32 exec_lo, exec_lo, s15
	s_waitcnt lgkmcnt(0)
	s_barrier
	buffer_gl0_inv
	ds_load_b32 v6, v5
	v_add_nc_u32_e32 v23, 0x400, v23
	v_add_nc_u32_e32 v2, 0x4000, v2
	;; [unrolled: 1-line block ×3, first 2 shown]
	s_delay_alu instid0(VALU_DEP_3) | instskip(NEXT) | instid1(VALU_DEP_1)
	v_cmp_lt_u32_e64 s15, 0x3bff, v23
	s_or_b32 s16, s15, s16
	s_waitcnt lgkmcnt(0)
	v_add_nc_u32_e32 v4, v6, v4
	s_and_not1_b32 exec_lo, exec_lo, s16
	s_cbranch_execz .LBB75_97
.LBB75_63:                              ; =>This Inner Loop Header: Depth=1
	ds_load_b32 v6, v24
	ds_load_2addr_b64 v[7:10], v2 offset1:1
	s_waitcnt lgkmcnt(1)
	v_cmp_gt_i32_e64 s15, s33, v6
	s_waitcnt lgkmcnt(0)
	scratch_store_b128 off, v[7:10], off
	s_waitcnt_vscnt null, 0x0
	s_barrier
	buffer_gl0_inv
	s_bcnt1_i32_b32 s41, s15
	s_delay_alu instid0(SALU_CYCLE_1) | instskip(NEXT) | instid1(VALU_DEP_1)
	v_dual_mov_b32 v8, s41 :: v_dual_and_b32 v7, s15, v1
	v_bcnt_u32_b32 v7, v7, 0
	ds_store_b32 v3, v8
	s_waitcnt lgkmcnt(0)
	s_barrier
	buffer_gl0_inv
	s_and_saveexec_b32 s41, s0
	s_cbranch_execnz .LBB75_80
; %bb.64:                               ;   in Loop: Header=BB75_63 Depth=1
	s_or_b32 exec_lo, exec_lo, s41
	s_and_saveexec_b32 s41, s1
	s_cbranch_execnz .LBB75_81
.LBB75_65:                              ;   in Loop: Header=BB75_63 Depth=1
	s_or_b32 exec_lo, exec_lo, s41
	s_and_saveexec_b32 s41, s2
	s_cbranch_execnz .LBB75_82
.LBB75_66:                              ;   in Loop: Header=BB75_63 Depth=1
	s_or_b32 exec_lo, exec_lo, s41
	s_and_saveexec_b32 s41, s3
	s_cbranch_execnz .LBB75_83
.LBB75_67:                              ;   in Loop: Header=BB75_63 Depth=1
	s_or_b32 exec_lo, exec_lo, s41
	s_and_saveexec_b32 s41, s4
	s_cbranch_execnz .LBB75_84
.LBB75_68:                              ;   in Loop: Header=BB75_63 Depth=1
	s_or_b32 exec_lo, exec_lo, s41
	s_and_saveexec_b32 s41, s5
	s_cbranch_execnz .LBB75_85
.LBB75_69:                              ;   in Loop: Header=BB75_63 Depth=1
	s_or_b32 exec_lo, exec_lo, s41
	s_and_saveexec_b32 s41, s6
	s_cbranch_execnz .LBB75_86
.LBB75_70:                              ;   in Loop: Header=BB75_63 Depth=1
	s_or_b32 exec_lo, exec_lo, s41
	s_and_saveexec_b32 s41, s7
	s_cbranch_execnz .LBB75_87
.LBB75_71:                              ;   in Loop: Header=BB75_63 Depth=1
	s_or_b32 exec_lo, exec_lo, s41
	s_and_saveexec_b32 s41, s8
	s_cbranch_execnz .LBB75_88
.LBB75_72:                              ;   in Loop: Header=BB75_63 Depth=1
	s_or_b32 exec_lo, exec_lo, s41
	s_and_saveexec_b32 s41, s9
	s_cbranch_execnz .LBB75_89
.LBB75_73:                              ;   in Loop: Header=BB75_63 Depth=1
	s_or_b32 exec_lo, exec_lo, s41
	s_and_saveexec_b32 s41, s10
	s_cbranch_execnz .LBB75_90
.LBB75_74:                              ;   in Loop: Header=BB75_63 Depth=1
	s_or_b32 exec_lo, exec_lo, s41
	s_and_saveexec_b32 s41, s11
	s_cbranch_execnz .LBB75_91
.LBB75_75:                              ;   in Loop: Header=BB75_63 Depth=1
	s_or_b32 exec_lo, exec_lo, s41
	s_and_saveexec_b32 s41, s12
	s_cbranch_execnz .LBB75_92
.LBB75_76:                              ;   in Loop: Header=BB75_63 Depth=1
	s_or_b32 exec_lo, exec_lo, s41
	s_and_saveexec_b32 s41, s13
	s_cbranch_execnz .LBB75_93
.LBB75_77:                              ;   in Loop: Header=BB75_63 Depth=1
	s_or_b32 exec_lo, exec_lo, s41
	s_and_saveexec_b32 s41, s14
	s_cbranch_execnz .LBB75_94
.LBB75_78:                              ;   in Loop: Header=BB75_63 Depth=1
	s_or_b32 exec_lo, exec_lo, s41
	s_and_saveexec_b32 s41, s15
	s_cbranch_execnz .LBB75_95
.LBB75_79:                              ;   in Loop: Header=BB75_63 Depth=1
	s_or_b32 exec_lo, exec_lo, s41
	s_and_saveexec_b32 s15, vcc_lo
	s_cbranch_execz .LBB75_62
	s_branch .LBB75_96
.LBB75_80:                              ;   in Loop: Header=BB75_63 Depth=1
	v_mov_b32_e32 v8, s17
	ds_load_b32 v8, v8
	s_waitcnt lgkmcnt(0)
	v_add_nc_u32_e32 v7, v8, v7
	s_or_b32 exec_lo, exec_lo, s41
	s_and_saveexec_b32 s41, s1
	s_cbranch_execz .LBB75_65
.LBB75_81:                              ;   in Loop: Header=BB75_63 Depth=1
	v_mov_b32_e32 v8, s18
	ds_load_b32 v8, v8
	s_waitcnt lgkmcnt(0)
	v_add_nc_u32_e32 v7, v8, v7
	s_or_b32 exec_lo, exec_lo, s41
	s_and_saveexec_b32 s41, s2
	s_cbranch_execz .LBB75_66
.LBB75_82:                              ;   in Loop: Header=BB75_63 Depth=1
	v_mov_b32_e32 v8, s19
	ds_load_b32 v8, v8
	s_waitcnt lgkmcnt(0)
	v_add_nc_u32_e32 v7, v8, v7
	s_or_b32 exec_lo, exec_lo, s41
	s_and_saveexec_b32 s41, s3
	s_cbranch_execz .LBB75_67
.LBB75_83:                              ;   in Loop: Header=BB75_63 Depth=1
	v_mov_b32_e32 v8, s20
	ds_load_b32 v8, v8
	s_waitcnt lgkmcnt(0)
	v_add_nc_u32_e32 v7, v8, v7
	s_or_b32 exec_lo, exec_lo, s41
	s_and_saveexec_b32 s41, s4
	s_cbranch_execz .LBB75_68
.LBB75_84:                              ;   in Loop: Header=BB75_63 Depth=1
	v_mov_b32_e32 v8, s21
	ds_load_b32 v8, v8
	s_waitcnt lgkmcnt(0)
	v_add_nc_u32_e32 v7, v8, v7
	s_or_b32 exec_lo, exec_lo, s41
	s_and_saveexec_b32 s41, s5
	s_cbranch_execz .LBB75_69
.LBB75_85:                              ;   in Loop: Header=BB75_63 Depth=1
	v_mov_b32_e32 v8, s24
	ds_load_b32 v8, v8
	s_waitcnt lgkmcnt(0)
	v_add_nc_u32_e32 v7, v8, v7
	s_or_b32 exec_lo, exec_lo, s41
	s_and_saveexec_b32 s41, s6
	s_cbranch_execz .LBB75_70
.LBB75_86:                              ;   in Loop: Header=BB75_63 Depth=1
	v_mov_b32_e32 v8, s25
	ds_load_b32 v8, v8
	s_waitcnt lgkmcnt(0)
	v_add_nc_u32_e32 v7, v8, v7
	s_or_b32 exec_lo, exec_lo, s41
	s_and_saveexec_b32 s41, s7
	s_cbranch_execz .LBB75_71
.LBB75_87:                              ;   in Loop: Header=BB75_63 Depth=1
	v_mov_b32_e32 v8, s27
	ds_load_b32 v8, v8
	s_waitcnt lgkmcnt(0)
	v_add_nc_u32_e32 v7, v8, v7
	s_or_b32 exec_lo, exec_lo, s41
	s_and_saveexec_b32 s41, s8
	s_cbranch_execz .LBB75_72
.LBB75_88:                              ;   in Loop: Header=BB75_63 Depth=1
	v_mov_b32_e32 v8, s28
	ds_load_b32 v8, v8
	s_waitcnt lgkmcnt(0)
	v_add_nc_u32_e32 v7, v8, v7
	s_or_b32 exec_lo, exec_lo, s41
	s_and_saveexec_b32 s41, s9
	s_cbranch_execz .LBB75_73
.LBB75_89:                              ;   in Loop: Header=BB75_63 Depth=1
	v_mov_b32_e32 v8, s29
	ds_load_b32 v8, v8
	s_waitcnt lgkmcnt(0)
	v_add_nc_u32_e32 v7, v8, v7
	s_or_b32 exec_lo, exec_lo, s41
	s_and_saveexec_b32 s41, s10
	s_cbranch_execz .LBB75_74
.LBB75_90:                              ;   in Loop: Header=BB75_63 Depth=1
	v_mov_b32_e32 v8, s30
	ds_load_b32 v8, v8
	s_waitcnt lgkmcnt(0)
	v_add_nc_u32_e32 v7, v8, v7
	s_or_b32 exec_lo, exec_lo, s41
	s_and_saveexec_b32 s41, s11
	s_cbranch_execz .LBB75_75
.LBB75_91:                              ;   in Loop: Header=BB75_63 Depth=1
	v_mov_b32_e32 v8, s37
	ds_load_b32 v8, v8
	s_waitcnt lgkmcnt(0)
	v_add_nc_u32_e32 v7, v8, v7
	s_or_b32 exec_lo, exec_lo, s41
	s_and_saveexec_b32 s41, s12
	s_cbranch_execz .LBB75_76
.LBB75_92:                              ;   in Loop: Header=BB75_63 Depth=1
	v_mov_b32_e32 v8, s38
	ds_load_b32 v8, v8
	s_waitcnt lgkmcnt(0)
	v_add_nc_u32_e32 v7, v8, v7
	s_or_b32 exec_lo, exec_lo, s41
	s_and_saveexec_b32 s41, s13
	s_cbranch_execz .LBB75_77
.LBB75_93:                              ;   in Loop: Header=BB75_63 Depth=1
	v_mov_b32_e32 v8, s39
	ds_load_b32 v8, v8
	s_waitcnt lgkmcnt(0)
	v_add_nc_u32_e32 v7, v8, v7
	s_or_b32 exec_lo, exec_lo, s41
	s_and_saveexec_b32 s41, s14
	s_cbranch_execz .LBB75_78
.LBB75_94:                              ;   in Loop: Header=BB75_63 Depth=1
	v_mov_b32_e32 v8, s40
	ds_load_b32 v8, v8
	s_waitcnt lgkmcnt(0)
	v_add_nc_u32_e32 v7, v8, v7
	s_or_b32 exec_lo, exec_lo, s41
	s_and_saveexec_b32 s41, s15
	s_cbranch_execz .LBB75_79
.LBB75_95:                              ;   in Loop: Header=BB75_63 Depth=1
	scratch_load_b128 v[8:11], off, off
	v_add3_u32 v12, v4, -1, v7
	s_delay_alu instid0(VALU_DEP_1) | instskip(SKIP_1) | instid1(VALU_DEP_2)
	v_lshlrev_b32_e32 v13, 4, v12
	v_lshl_add_u32 v12, v12, 2, 0
	v_add3_u32 v13, 0, v13, 0x10000
	ds_store_b32 v12, v6
	s_waitcnt vmcnt(0)
	ds_store_2addr_b64 v13, v[8:9], v[10:11] offset1:1
	s_or_b32 exec_lo, exec_lo, s41
	s_and_saveexec_b32 s15, vcc_lo
	s_cbranch_execz .LBB75_62
.LBB75_96:                              ;   in Loop: Header=BB75_63 Depth=1
	v_mov_b32_e32 v6, s31
	ds_store_b32 v6, v7
	s_branch .LBB75_62
.LBB75_97:
	s_or_b32 exec_lo, exec_lo, s16
	s_ashr_i32 s37, s36, 31
	s_mov_b32 s3, exec_lo
	s_lshl_b64 s[0:1], s[36:37], 2
	s_delay_alu instid0(SALU_CYCLE_1) | instskip(SKIP_4) | instid1(SALU_CYCLE_1)
	s_add_u32 s0, s22, s0
	s_addc_u32 s1, s23, s1
	s_load_b64 s[0:1], s[0:1], 0x0
	s_waitcnt lgkmcnt(0)
	s_sub_i32 s2, s1, s0
	v_cmpx_gt_i32_e64 s2, v0
	s_cbranch_execz .LBB75_107
; %bb.98:
	s_sub_i32 s3, s0, s26
	s_sub_i32 s0, s0, s1
	s_and_b32 s1, s2, 7
	s_cmp_lt_u32 s0, -7
	s_mov_b32 s7, 0
	s_cselect_b32 s4, -1, 0
	s_and_b32 s5, s2, -8
	s_cmp_lg_u32 s1, 0
	s_cselect_b32 s6, -1, 0
	s_branch .LBB75_100
.LBB75_99:                              ;   in Loop: Header=BB75_100 Depth=1
	s_waitcnt lgkmcnt(0)
	v_lshlrev_b32_e32 v2, 4, v0
	v_add_nc_u32_e32 v0, 0x400, v0
	s_delay_alu instid0(VALU_DEP_2) | instskip(NEXT) | instid1(VALU_DEP_2)
	v_add3_u32 v2, 0, v2, 0x10000
	v_cmp_le_i32_e32 vcc_lo, s2, v0
	ds_load_2addr_b64 v[3:6], v2 offset1:1
	v_ashrrev_i32_e32 v2, 31, v1
	s_or_b32 s7, vcc_lo, s7
	s_delay_alu instid0(VALU_DEP_1) | instskip(NEXT) | instid1(VALU_DEP_1)
	v_lshlrev_b64 v[1:2], 4, v[1:2]
	v_add_co_u32 v1, s0, s34, v1
	s_delay_alu instid0(VALU_DEP_1)
	v_add_co_ci_u32_e64 v2, s0, s35, v2, s0
	s_waitcnt lgkmcnt(0)
	global_store_b128 v[1:2], v[3:6], off
	s_and_not1_b32 exec_lo, exec_lo, s7
	s_cbranch_execz .LBB75_107
.LBB75_100:                             ; =>This Loop Header: Depth=1
                                        ;     Child Loop BB75_102 Depth 2
                                        ;     Child Loop BB75_106 Depth 2
	v_lshl_add_u32 v1, v0, 2, 0
	s_and_not1_b32 vcc_lo, exec_lo, s4
	s_mov_b32 s0, 0
	ds_load_b32 v2, v1
	v_mov_b32_e32 v1, s3
	s_cbranch_vccnz .LBB75_104
; %bb.101:                              ;   in Loop: Header=BB75_100 Depth=1
	v_mov_b32_e32 v1, s3
	s_mov_b32 s8, 0
	s_set_inst_prefetch_distance 0x1
	.p2align	6
.LBB75_102:                             ;   Parent Loop BB75_100 Depth=1
                                        ; =>  This Inner Loop Header: Depth=2
	v_mov_b32_e32 v9, s8
	s_add_i32 s0, s0, 8
	s_add_i32 s8, s8, 32
	s_cmp_eq_u32 s5, s0
	ds_load_2addr_b32 v[3:4], v9 offset1:1
	ds_load_2addr_b32 v[5:6], v9 offset0:2 offset1:3
	ds_load_2addr_b32 v[7:8], v9 offset0:4 offset1:5
	;; [unrolled: 1-line block ×3, first 2 shown]
	s_waitcnt lgkmcnt(3)
	v_cmp_gt_i32_e32 vcc_lo, v2, v3
	v_cndmask_b32_e64 v3, 0, 1, vcc_lo
	s_waitcnt lgkmcnt(2)
	v_cmp_gt_i32_e32 vcc_lo, v2, v5
	v_cndmask_b32_e64 v5, 0, 1, vcc_lo
	v_cmp_gt_i32_e32 vcc_lo, v2, v4
	v_add_co_ci_u32_e32 v1, vcc_lo, v1, v3, vcc_lo
	s_waitcnt lgkmcnt(1)
	v_cmp_gt_i32_e32 vcc_lo, v2, v7
	v_cndmask_b32_e64 v3, 0, 1, vcc_lo
	v_cmp_gt_i32_e32 vcc_lo, v2, v6
	v_add_co_ci_u32_e32 v1, vcc_lo, v1, v5, vcc_lo
	;; [unrolled: 5-line block ×3, first 2 shown]
	v_cmp_gt_i32_e32 vcc_lo, v2, v10
	s_delay_alu instid0(VALU_DEP_2)
	v_add_co_ci_u32_e32 v1, vcc_lo, v1, v4, vcc_lo
	s_cbranch_scc0 .LBB75_102
; %bb.103:                              ;   in Loop: Header=BB75_100 Depth=1
	s_set_inst_prefetch_distance 0x2
	s_mov_b32 s0, s5
.LBB75_104:                             ;   in Loop: Header=BB75_100 Depth=1
	s_and_not1_b32 vcc_lo, exec_lo, s6
	s_cbranch_vccnz .LBB75_99
; %bb.105:                              ;   in Loop: Header=BB75_100 Depth=1
	s_lshl_b32 s0, s0, 2
	s_mov_b32 s8, s1
	s_add_i32 s0, s0, 0
.LBB75_106:                             ;   Parent Loop BB75_100 Depth=1
                                        ; =>  This Inner Loop Header: Depth=2
	s_delay_alu instid0(SALU_CYCLE_1)
	v_mov_b32_e32 v3, s0
	s_add_i32 s8, s8, -1
	s_add_i32 s0, s0, 4
	s_cmp_lg_u32 s8, 0
	ds_load_b32 v3, v3
	s_waitcnt lgkmcnt(0)
	v_cmp_gt_i32_e32 vcc_lo, v2, v3
	v_add_co_ci_u32_e32 v1, vcc_lo, 0, v1, vcc_lo
	s_cbranch_scc1 .LBB75_106
	s_branch .LBB75_99
.LBB75_107:
	s_nop 0
	s_sendmsg sendmsg(MSG_DEALLOC_VGPRS)
	s_endpgm
	.section	.rodata,"a",@progbits
	.p2align	6, 0x0
	.amdhsa_kernel _ZN9rocsparseL41csrgemm_numeric_fill_block_per_row_kernelILj1024ELj64ELj16384ELj137ELj64Eii21rocsparse_complex_numIdEEEvT5_PKS3_S5_NS_24const_host_device_scalarIT6_EEPKT4_S5_PKS7_SB_S5_SD_S8_SB_S5_SD_SB_S5_PS7_21rocsparse_index_base_SF_SF_SF_bbb
		.amdhsa_group_segment_fixed_size 0
		.amdhsa_private_segment_fixed_size 40
		.amdhsa_kernarg_size 172
		.amdhsa_user_sgpr_count 15
		.amdhsa_user_sgpr_dispatch_ptr 0
		.amdhsa_user_sgpr_queue_ptr 0
		.amdhsa_user_sgpr_kernarg_segment_ptr 1
		.amdhsa_user_sgpr_dispatch_id 0
		.amdhsa_user_sgpr_private_segment_size 0
		.amdhsa_wavefront_size32 1
		.amdhsa_uses_dynamic_stack 0
		.amdhsa_enable_private_segment 1
		.amdhsa_system_sgpr_workgroup_id_x 1
		.amdhsa_system_sgpr_workgroup_id_y 0
		.amdhsa_system_sgpr_workgroup_id_z 0
		.amdhsa_system_sgpr_workgroup_info 0
		.amdhsa_system_vgpr_workitem_id 0
		.amdhsa_next_free_vgpr 32
		.amdhsa_next_free_sgpr 46
		.amdhsa_reserve_vcc 1
		.amdhsa_float_round_mode_32 0
		.amdhsa_float_round_mode_16_64 0
		.amdhsa_float_denorm_mode_32 3
		.amdhsa_float_denorm_mode_16_64 3
		.amdhsa_dx10_clamp 1
		.amdhsa_ieee_mode 1
		.amdhsa_fp16_overflow 0
		.amdhsa_workgroup_processor_mode 1
		.amdhsa_memory_ordered 1
		.amdhsa_forward_progress 0
		.amdhsa_shared_vgpr_count 0
		.amdhsa_exception_fp_ieee_invalid_op 0
		.amdhsa_exception_fp_denorm_src 0
		.amdhsa_exception_fp_ieee_div_zero 0
		.amdhsa_exception_fp_ieee_overflow 0
		.amdhsa_exception_fp_ieee_underflow 0
		.amdhsa_exception_fp_ieee_inexact 0
		.amdhsa_exception_int_div_zero 0
	.end_amdhsa_kernel
	.section	.text._ZN9rocsparseL41csrgemm_numeric_fill_block_per_row_kernelILj1024ELj64ELj16384ELj137ELj64Eii21rocsparse_complex_numIdEEEvT5_PKS3_S5_NS_24const_host_device_scalarIT6_EEPKT4_S5_PKS7_SB_S5_SD_S8_SB_S5_SD_SB_S5_PS7_21rocsparse_index_base_SF_SF_SF_bbb,"axG",@progbits,_ZN9rocsparseL41csrgemm_numeric_fill_block_per_row_kernelILj1024ELj64ELj16384ELj137ELj64Eii21rocsparse_complex_numIdEEEvT5_PKS3_S5_NS_24const_host_device_scalarIT6_EEPKT4_S5_PKS7_SB_S5_SD_S8_SB_S5_SD_SB_S5_PS7_21rocsparse_index_base_SF_SF_SF_bbb,comdat
.Lfunc_end75:
	.size	_ZN9rocsparseL41csrgemm_numeric_fill_block_per_row_kernelILj1024ELj64ELj16384ELj137ELj64Eii21rocsparse_complex_numIdEEEvT5_PKS3_S5_NS_24const_host_device_scalarIT6_EEPKT4_S5_PKS7_SB_S5_SD_S8_SB_S5_SD_SB_S5_PS7_21rocsparse_index_base_SF_SF_SF_bbb, .Lfunc_end75-_ZN9rocsparseL41csrgemm_numeric_fill_block_per_row_kernelILj1024ELj64ELj16384ELj137ELj64Eii21rocsparse_complex_numIdEEEvT5_PKS3_S5_NS_24const_host_device_scalarIT6_EEPKT4_S5_PKS7_SB_S5_SD_S8_SB_S5_SD_SB_S5_PS7_21rocsparse_index_base_SF_SF_SF_bbb
                                        ; -- End function
	.section	.AMDGPU.csdata,"",@progbits
; Kernel info:
; codeLenInByte = 4284
; NumSgprs: 48
; NumVgprs: 32
; ScratchSize: 40
; MemoryBound: 0
; FloatMode: 240
; IeeeMode: 1
; LDSByteSize: 0 bytes/workgroup (compile time only)
; SGPRBlocks: 5
; VGPRBlocks: 3
; NumSGPRsForWavesPerEU: 48
; NumVGPRsForWavesPerEU: 32
; Occupancy: 16
; WaveLimiterHint : 1
; COMPUTE_PGM_RSRC2:SCRATCH_EN: 1
; COMPUTE_PGM_RSRC2:USER_SGPR: 15
; COMPUTE_PGM_RSRC2:TRAP_HANDLER: 0
; COMPUTE_PGM_RSRC2:TGID_X_EN: 1
; COMPUTE_PGM_RSRC2:TGID_Y_EN: 0
; COMPUTE_PGM_RSRC2:TGID_Z_EN: 0
; COMPUTE_PGM_RSRC2:TIDIG_COMP_CNT: 0
	.section	.text._ZN9rocsparseL41csrgemm_numeric_fill_block_per_row_kernelILj1024ELj64ELj32768ELj137ELj32Eii21rocsparse_complex_numIdEEEvT5_PKS3_S5_NS_24const_host_device_scalarIT6_EEPKT4_S5_PKS7_SB_S5_SD_S8_SB_S5_SD_SB_S5_PS7_21rocsparse_index_base_SF_SF_SF_bbb,"axG",@progbits,_ZN9rocsparseL41csrgemm_numeric_fill_block_per_row_kernelILj1024ELj64ELj32768ELj137ELj32Eii21rocsparse_complex_numIdEEEvT5_PKS3_S5_NS_24const_host_device_scalarIT6_EEPKT4_S5_PKS7_SB_S5_SD_S8_SB_S5_SD_SB_S5_PS7_21rocsparse_index_base_SF_SF_SF_bbb,comdat
	.globl	_ZN9rocsparseL41csrgemm_numeric_fill_block_per_row_kernelILj1024ELj64ELj32768ELj137ELj32Eii21rocsparse_complex_numIdEEEvT5_PKS3_S5_NS_24const_host_device_scalarIT6_EEPKT4_S5_PKS7_SB_S5_SD_S8_SB_S5_SD_SB_S5_PS7_21rocsparse_index_base_SF_SF_SF_bbb ; -- Begin function _ZN9rocsparseL41csrgemm_numeric_fill_block_per_row_kernelILj1024ELj64ELj32768ELj137ELj32Eii21rocsparse_complex_numIdEEEvT5_PKS3_S5_NS_24const_host_device_scalarIT6_EEPKT4_S5_PKS7_SB_S5_SD_S8_SB_S5_SD_SB_S5_PS7_21rocsparse_index_base_SF_SF_SF_bbb
	.p2align	8
	.type	_ZN9rocsparseL41csrgemm_numeric_fill_block_per_row_kernelILj1024ELj64ELj32768ELj137ELj32Eii21rocsparse_complex_numIdEEEvT5_PKS3_S5_NS_24const_host_device_scalarIT6_EEPKT4_S5_PKS7_SB_S5_SD_S8_SB_S5_SD_SB_S5_PS7_21rocsparse_index_base_SF_SF_SF_bbb,@function
_ZN9rocsparseL41csrgemm_numeric_fill_block_per_row_kernelILj1024ELj64ELj32768ELj137ELj32Eii21rocsparse_complex_numIdEEEvT5_PKS3_S5_NS_24const_host_device_scalarIT6_EEPKT4_S5_PKS7_SB_S5_SD_S8_SB_S5_SD_SB_S5_PS7_21rocsparse_index_base_SF_SF_SF_bbb: ; @_ZN9rocsparseL41csrgemm_numeric_fill_block_per_row_kernelILj1024ELj64ELj32768ELj137ELj32Eii21rocsparse_complex_numIdEEEvT5_PKS3_S5_NS_24const_host_device_scalarIT6_EEPKT4_S5_PKS7_SB_S5_SD_S8_SB_S5_SD_SB_S5_PS7_21rocsparse_index_base_SF_SF_SF_bbb
; %bb.0:
	s_clause 0x3
	s_load_b32 s14, s[0:1], 0xa8
	s_load_b128 s[4:7], s[0:1], 0x18
	s_load_b128 s[20:23], s[0:1], 0x58
	;; [unrolled: 1-line block ×3, first 2 shown]
	v_mov_b32_e32 v1, 0
	v_mov_b32_e32 v2, 0
	s_waitcnt lgkmcnt(0)
	s_bitcmp1_b32 s14, 0
	v_mov_b32_e32 v3, s4
	s_cselect_b32 s12, -1, 0
	s_bitcmp1_b32 s14, 16
	v_dual_mov_b32 v6, v2 :: v_dual_mov_b32 v5, v1
	s_cselect_b32 s2, -1, 0
	v_mov_b32_e32 v4, s5
	s_xor_b32 s13, s2, -1
	v_dual_mov_b32 v9, s20 :: v_dual_mov_b32 v10, s21
	v_cndmask_b32_e64 v7, 0, 1, s13
	s_bitcmp0_b32 s14, 0
	s_clause 0x1
	scratch_store_b64 off, v[3:4], off offset:16
	scratch_store_b64 off, v[9:10], off offset:24
	v_cmp_ne_u32_e32 vcc_lo, 1, v7
	v_dual_mov_b32 v8, v2 :: v_dual_mov_b32 v7, v1
	s_cbranch_scc1 .LBB76_3
; %bb.1:
	s_mov_b64 s[8:9], src_private_base
	s_and_b32 s3, s2, exec_lo
	s_cselect_b32 s3, s9, s5
	s_delay_alu instid0(SALU_CYCLE_1) | instskip(SKIP_2) | instid1(VALU_DEP_2)
	v_dual_mov_b32 v3, 16 :: v_dual_mov_b32 v4, s3
	v_dual_mov_b32 v8, s7 :: v_dual_mov_b32 v7, s6
	s_and_b32 vcc_lo, exec_lo, vcc_lo
	v_cndmask_b32_e64 v3, s4, v3, s2
	flat_load_b64 v[5:6], v[3:4]
	s_cbranch_vccnz .LBB76_3
; %bb.2:
	v_dual_mov_b32 v3, s4 :: v_dual_mov_b32 v4, s5
	flat_load_b64 v[7:8], v[3:4] offset:8
.LBB76_3:
	s_clause 0x4
	s_load_b64 s[34:35], s[0:1], 0x90
	s_load_b256 s[36:43], s[0:1], 0x68
	s_load_b128 s[16:19], s[0:1], 0x48
	s_load_b128 s[24:27], s[0:1], 0x8
	s_load_b256 s[4:11], s[0:1], 0x28
	s_bitcmp1_b32 s14, 8
	v_dual_mov_b32 v4, v2 :: v_dual_mov_b32 v3, v1
	s_cselect_b32 s3, -1, 0
	s_bfe_u32 s14, s14, 0x10008
	s_delay_alu instid0(SALU_CYCLE_1)
	s_cmp_eq_u32 s14, 0
	s_cbranch_scc1 .LBB76_6
; %bb.4:
	s_mov_b64 s[28:29], src_private_base
	s_and_b32 s14, s2, exec_lo
	s_cselect_b32 s14, s29, s21
	s_delay_alu instid0(SALU_CYCLE_1) | instskip(SKIP_1) | instid1(VALU_DEP_1)
	v_dual_mov_b32 v1, 24 :: v_dual_mov_b32 v2, s14
	s_and_not1_b32 vcc_lo, exec_lo, s13
	v_cndmask_b32_e64 v1, s20, v1, s2
	flat_load_b64 v[3:4], v[1:2]
	v_dual_mov_b32 v1, s22 :: v_dual_mov_b32 v2, s23
	s_cbranch_vccnz .LBB76_6
; %bb.5:
	v_dual_mov_b32 v1, s20 :: v_dual_mov_b32 v2, s21
	flat_load_b64 v[1:2], v[1:2] offset:8
.LBB76_6:
	s_load_b32 s33, s[0:1], 0x0
	s_mov_b32 s0, 0
	v_or_b32_e32 v23, 0xfffffc00, v0
	v_lshl_add_u32 v24, v0, 2, 0
	s_mov_b32 s1, s0
	s_delay_alu instid0(SALU_CYCLE_1)
	v_dual_mov_b32 v10, s1 :: v_dual_lshlrev_b32 v25, 4, v0
	s_mov_b32 s20, s0
	s_mov_b32 s21, s0
	v_dual_mov_b32 v11, s20 :: v_dual_mov_b32 v14, v24
	v_dual_mov_b32 v9, s0 :: v_dual_mov_b32 v12, s21
	v_add3_u32 v13, v25, 0, 0x20008
	s_waitcnt lgkmcnt(0)
	v_dual_mov_b32 v16, v23 :: v_dual_mov_b32 v15, s33
.LBB76_7:                               ; =>This Inner Loop Header: Depth=1
	s_delay_alu instid0(VALU_DEP_1)
	v_add_nc_u32_e32 v16, 0x400, v16
	ds_store_b32 v14, v15
	v_add_nc_u32_e32 v17, -8, v13
	v_add_nc_u32_e32 v13, 0x4000, v13
	v_add_nc_u32_e32 v14, 0x1000, v14
	v_cmp_lt_u32_e32 vcc_lo, 0x7bff, v16
	ds_store_2addr_b64 v17, v[9:10], v[11:12] offset1:1
	s_or_b32 s0, vcc_lo, s0
	s_delay_alu instid0(SALU_CYCLE_1)
	s_and_not1_b32 exec_lo, exec_lo, s0
	s_cbranch_execnz .LBB76_7
; %bb.8:
	s_or_b32 exec_lo, exec_lo, s0
	s_waitcnt vmcnt(0) lgkmcnt(0)
	s_waitcnt_vscnt null, 0x0
	s_barrier
	buffer_gl0_inv
	s_load_b32 s0, s[24:25], 0x0
	s_mov_b32 s1, 0
	s_waitcnt lgkmcnt(0)
	s_add_i32 s0, s0, s15
	s_delay_alu instid0(SALU_CYCLE_1) | instskip(NEXT) | instid1(SALU_CYCLE_1)
	s_lshl_b64 s[0:1], s[0:1], 2
	s_add_u32 s0, s26, s0
	s_addc_u32 s1, s27, s1
	s_and_b32 vcc_lo, exec_lo, s12
	s_load_b32 s48, s[0:1], 0x0
	s_cbranch_vccz .LBB76_36
; %bb.9:
	s_waitcnt lgkmcnt(0)
	s_ashr_i32 s49, s48, 31
	v_lshrrev_b32_e32 v9, 6, v0
	s_lshl_b64 s[0:1], s[48:49], 2
	s_delay_alu instid0(SALU_CYCLE_1) | instskip(SKIP_1) | instid1(VALU_DEP_1)
	s_add_u32 s0, s4, s0
	s_addc_u32 s1, s5, s1
	v_subrev_nc_u32_e32 v9, s44, v9
	s_load_b64 s[0:1], s[0:1], 0x0
	s_waitcnt lgkmcnt(0)
	s_delay_alu instid0(VALU_DEP_1) | instskip(SKIP_2) | instid1(VALU_DEP_1)
	v_add_nc_u32_e32 v9, s0, v9
	s_sub_i32 s0, s1, s44
	s_mov_b32 s1, exec_lo
	v_cmpx_gt_i32_e64 s0, v9
	s_cbranch_execz .LBB76_35
; %bb.10:
	v_and_b32_e32 v10, 63, v0
	s_mov_b32 s2, 0
	s_delay_alu instid0(VALU_DEP_1)
	v_subrev_nc_u32_e32 v26, s45, v10
	s_branch .LBB76_12
.LBB76_11:                              ;   in Loop: Header=BB76_12 Depth=1
	s_or_b32 exec_lo, exec_lo, s4
	v_add_nc_u32_e32 v9, 16, v9
	s_delay_alu instid0(VALU_DEP_1) | instskip(SKIP_1) | instid1(SALU_CYCLE_1)
	v_cmp_le_i32_e32 vcc_lo, s0, v9
	s_or_b32 s2, vcc_lo, s2
	s_and_not1_b32 exec_lo, exec_lo, s2
	s_cbranch_execz .LBB76_35
.LBB76_12:                              ; =>This Loop Header: Depth=1
                                        ;     Child Loop BB76_15 Depth 2
                                        ;       Child Loop BB76_17 Depth 3
                                        ;         Child Loop BB76_23 Depth 4
                                        ;         Child Loop BB76_25 Depth 4
	;; [unrolled: 1-line block ×4, first 2 shown]
	v_ashrrev_i32_e32 v10, 31, v9
	s_mov_b32 s4, exec_lo
	s_delay_alu instid0(VALU_DEP_1) | instskip(NEXT) | instid1(VALU_DEP_1)
	v_lshlrev_b64 v[11:12], 2, v[9:10]
	v_add_co_u32 v11, vcc_lo, s6, v11
	s_delay_alu instid0(VALU_DEP_2) | instskip(SKIP_3) | instid1(VALU_DEP_1)
	v_add_co_ci_u32_e32 v12, vcc_lo, s7, v12, vcc_lo
	global_load_b32 v11, v[11:12], off
	s_waitcnt vmcnt(0)
	v_subrev_nc_u32_e32 v11, s44, v11
	v_ashrrev_i32_e32 v12, 31, v11
	s_delay_alu instid0(VALU_DEP_1) | instskip(NEXT) | instid1(VALU_DEP_1)
	v_lshlrev_b64 v[11:12], 2, v[11:12]
	v_add_co_u32 v11, vcc_lo, s10, v11
	s_delay_alu instid0(VALU_DEP_2) | instskip(SKIP_4) | instid1(VALU_DEP_1)
	v_add_co_ci_u32_e32 v12, vcc_lo, s11, v12, vcc_lo
	global_load_b64 v[11:12], v[11:12], off
	s_waitcnt vmcnt(0)
	v_subrev_nc_u32_e32 v27, s45, v12
	v_add_nc_u32_e32 v11, v11, v26
	v_cmpx_lt_i32_e64 v11, v27
	s_cbranch_execz .LBB76_11
; %bb.13:                               ;   in Loop: Header=BB76_12 Depth=1
	v_lshlrev_b64 v[12:13], 4, v[9:10]
	s_mov_b32 s5, 0
	s_delay_alu instid0(VALU_DEP_1) | instskip(NEXT) | instid1(VALU_DEP_2)
	v_add_co_u32 v12, vcc_lo, s8, v12
	v_add_co_ci_u32_e32 v13, vcc_lo, s9, v13, vcc_lo
	global_load_b128 v[15:18], v[12:13], off
	s_waitcnt vmcnt(0)
	v_mul_f64 v[12:13], v[17:18], -v[7:8]
	v_mul_f64 v[17:18], v[5:6], v[17:18]
	s_delay_alu instid0(VALU_DEP_2) | instskip(NEXT) | instid1(VALU_DEP_2)
	v_fma_f64 v[13:14], v[5:6], v[15:16], v[12:13]
	v_fma_f64 v[15:16], v[7:8], v[15:16], v[17:18]
	s_branch .LBB76_15
.LBB76_14:                              ;   in Loop: Header=BB76_15 Depth=2
	s_or_b32 exec_lo, exec_lo, s12
	v_add_nc_u32_e32 v11, 64, v11
	s_delay_alu instid0(VALU_DEP_1) | instskip(SKIP_1) | instid1(SALU_CYCLE_1)
	v_cmp_ge_i32_e32 vcc_lo, v11, v27
	s_or_b32 s5, vcc_lo, s5
	s_and_not1_b32 exec_lo, exec_lo, s5
	s_cbranch_execz .LBB76_11
.LBB76_15:                              ;   Parent Loop BB76_12 Depth=1
                                        ; =>  This Loop Header: Depth=2
                                        ;       Child Loop BB76_17 Depth 3
                                        ;         Child Loop BB76_23 Depth 4
                                        ;         Child Loop BB76_25 Depth 4
	;; [unrolled: 1-line block ×4, first 2 shown]
	v_ashrrev_i32_e32 v12, 31, v11
	s_mov_b32 s12, 0
	s_delay_alu instid0(VALU_DEP_1) | instskip(NEXT) | instid1(VALU_DEP_1)
	v_lshlrev_b64 v[17:18], 4, v[11:12]
	v_add_co_u32 v17, vcc_lo, s18, v17
	s_delay_alu instid0(VALU_DEP_2) | instskip(SKIP_2) | instid1(VALU_DEP_1)
	v_add_co_ci_u32_e32 v18, vcc_lo, s19, v18, vcc_lo
	global_load_b128 v[19:22], v[17:18], off
	v_lshlrev_b64 v[17:18], 2, v[11:12]
	v_add_co_u32 v17, vcc_lo, s16, v17
	s_delay_alu instid0(VALU_DEP_2)
	v_add_co_ci_u32_e32 v18, vcc_lo, s17, v18, vcc_lo
	global_load_b32 v10, v[17:18], off
	s_waitcnt vmcnt(1)
	v_mul_f64 v[17:18], v[21:22], -v[15:16]
	v_mul_f64 v[21:22], v[13:14], v[21:22]
	s_waitcnt vmcnt(0)
	v_subrev_nc_u32_e32 v10, s45, v10
	s_delay_alu instid0(VALU_DEP_1) | instskip(NEXT) | instid1(VALU_DEP_1)
	v_mul_lo_u32 v12, 0x89, v10
	v_and_b32_e32 v12, 0x7fff, v12
	v_fma_f64 v[17:18], v[13:14], v[19:20], v[17:18]
	v_fma_f64 v[19:20], v[15:16], v[19:20], v[21:22]
	s_branch .LBB76_17
.LBB76_16:                              ;   in Loop: Header=BB76_17 Depth=3
	s_or_b32 exec_lo, exec_lo, s13
	s_xor_b32 s13, s14, -1
	s_delay_alu instid0(SALU_CYCLE_1) | instskip(NEXT) | instid1(SALU_CYCLE_1)
	s_and_b32 s13, exec_lo, s13
	s_or_b32 s12, s13, s12
	s_delay_alu instid0(SALU_CYCLE_1)
	s_and_not1_b32 exec_lo, exec_lo, s12
	s_cbranch_execz .LBB76_14
.LBB76_17:                              ;   Parent Loop BB76_12 Depth=1
                                        ;     Parent Loop BB76_15 Depth=2
                                        ; =>    This Loop Header: Depth=3
                                        ;         Child Loop BB76_23 Depth 4
                                        ;         Child Loop BB76_25 Depth 4
	;; [unrolled: 1-line block ×4, first 2 shown]
	s_delay_alu instid0(VALU_DEP_3)
	v_lshl_add_u32 v21, v12, 2, 0
	s_mov_b32 s13, exec_lo
                                        ; implicit-def: $sgpr14
	ds_load_b32 v22, v21
	s_waitcnt lgkmcnt(0)
	v_cmpx_ne_u32_e64 v22, v10
	s_xor_b32 s13, exec_lo, s13
	s_cbranch_execz .LBB76_29
; %bb.18:                               ;   in Loop: Header=BB76_17 Depth=3
	s_mov_b32 s15, exec_lo
                                        ; implicit-def: $sgpr14
	v_cmpx_ne_u32_e64 s33, v22
	s_xor_b32 s15, exec_lo, s15
; %bb.19:                               ;   in Loop: Header=BB76_17 Depth=3
	v_add_nc_u32_e32 v12, 1, v12
	s_mov_b32 s14, -1
                                        ; implicit-def: $vgpr21
	s_delay_alu instid0(VALU_DEP_1)
	v_and_b32_e32 v12, 0x7fff, v12
; %bb.20:                               ;   in Loop: Header=BB76_17 Depth=3
	s_and_not1_saveexec_b32 s15, s15
	s_cbranch_execz .LBB76_28
; %bb.21:                               ;   in Loop: Header=BB76_17 Depth=3
	v_mov_b32_e32 v22, s33
	s_mov_b32 s21, -1
	s_mov_b32 s20, exec_lo
	ds_cmpstore_rtn_b32 v21, v21, v10, v22
	s_waitcnt lgkmcnt(0)
	v_cmpx_eq_u32_e64 s33, v21
	s_cbranch_execz .LBB76_27
; %bb.22:                               ;   in Loop: Header=BB76_17 Depth=3
	v_lshlrev_b32_e32 v21, 4, v12
	s_mov_b32 s21, 0
	s_delay_alu instid0(VALU_DEP_1)
	v_add3_u32 v28, 0, v21, 0x20000
	ds_load_b64 v[21:22], v28
.LBB76_23:                              ;   Parent Loop BB76_12 Depth=1
                                        ;     Parent Loop BB76_15 Depth=2
                                        ;       Parent Loop BB76_17 Depth=3
                                        ; =>      This Inner Loop Header: Depth=4
	s_waitcnt lgkmcnt(0)
	v_add_f64 v[29:30], v[21:22], v[17:18]
	ds_cmpstore_rtn_b64 v[29:30], v28, v[29:30], v[21:22]
	s_waitcnt lgkmcnt(0)
	v_cmp_eq_u64_e32 vcc_lo, v[29:30], v[21:22]
	v_dual_mov_b32 v21, v29 :: v_dual_mov_b32 v22, v30
	s_or_b32 s21, vcc_lo, s21
	s_delay_alu instid0(SALU_CYCLE_1)
	s_and_not1_b32 exec_lo, exec_lo, s21
	s_cbranch_execnz .LBB76_23
; %bb.24:                               ;   in Loop: Header=BB76_17 Depth=3
	s_or_b32 exec_lo, exec_lo, s21
	ds_load_b64 v[21:22], v28 offset:8
	s_mov_b32 s21, 0
.LBB76_25:                              ;   Parent Loop BB76_12 Depth=1
                                        ;     Parent Loop BB76_15 Depth=2
                                        ;       Parent Loop BB76_17 Depth=3
                                        ; =>      This Inner Loop Header: Depth=4
	s_waitcnt lgkmcnt(0)
	v_add_f64 v[29:30], v[21:22], v[19:20]
	ds_cmpstore_rtn_b64 v[29:30], v28, v[29:30], v[21:22] offset:8
	s_waitcnt lgkmcnt(0)
	v_cmp_eq_u64_e32 vcc_lo, v[29:30], v[21:22]
	v_dual_mov_b32 v21, v29 :: v_dual_mov_b32 v22, v30
	s_or_b32 s21, vcc_lo, s21
	s_delay_alu instid0(SALU_CYCLE_1)
	s_and_not1_b32 exec_lo, exec_lo, s21
	s_cbranch_execnz .LBB76_25
; %bb.26:                               ;   in Loop: Header=BB76_17 Depth=3
	s_or_b32 exec_lo, exec_lo, s21
	s_delay_alu instid0(SALU_CYCLE_1)
	s_xor_b32 s21, exec_lo, -1
.LBB76_27:                              ;   in Loop: Header=BB76_17 Depth=3
	s_or_b32 exec_lo, exec_lo, s20
	s_delay_alu instid0(SALU_CYCLE_1) | instskip(SKIP_1) | instid1(SALU_CYCLE_1)
	s_and_not1_b32 s14, s14, exec_lo
	s_and_b32 s20, s21, exec_lo
	s_or_b32 s14, s14, s20
.LBB76_28:                              ;   in Loop: Header=BB76_17 Depth=3
	s_or_b32 exec_lo, exec_lo, s15
	s_delay_alu instid0(SALU_CYCLE_1)
	s_and_b32 s14, s14, exec_lo
.LBB76_29:                              ;   in Loop: Header=BB76_17 Depth=3
	s_and_not1_saveexec_b32 s13, s13
	s_cbranch_execz .LBB76_16
; %bb.30:                               ;   in Loop: Header=BB76_17 Depth=3
	v_lshlrev_b32_e32 v21, 4, v12
	s_mov_b32 s15, 0
	s_delay_alu instid0(VALU_DEP_1)
	v_add3_u32 v28, 0, v21, 0x20000
	ds_load_b64 v[21:22], v28
.LBB76_31:                              ;   Parent Loop BB76_12 Depth=1
                                        ;     Parent Loop BB76_15 Depth=2
                                        ;       Parent Loop BB76_17 Depth=3
                                        ; =>      This Inner Loop Header: Depth=4
	s_waitcnt lgkmcnt(0)
	v_add_f64 v[29:30], v[21:22], v[17:18]
	ds_cmpstore_rtn_b64 v[29:30], v28, v[29:30], v[21:22]
	s_waitcnt lgkmcnt(0)
	v_cmp_eq_u64_e32 vcc_lo, v[29:30], v[21:22]
	v_dual_mov_b32 v21, v29 :: v_dual_mov_b32 v22, v30
	s_or_b32 s15, vcc_lo, s15
	s_delay_alu instid0(SALU_CYCLE_1)
	s_and_not1_b32 exec_lo, exec_lo, s15
	s_cbranch_execnz .LBB76_31
; %bb.32:                               ;   in Loop: Header=BB76_17 Depth=3
	s_or_b32 exec_lo, exec_lo, s15
	ds_load_b64 v[21:22], v28 offset:8
	s_mov_b32 s15, 0
.LBB76_33:                              ;   Parent Loop BB76_12 Depth=1
                                        ;     Parent Loop BB76_15 Depth=2
                                        ;       Parent Loop BB76_17 Depth=3
                                        ; =>      This Inner Loop Header: Depth=4
	s_waitcnt lgkmcnt(0)
	v_add_f64 v[29:30], v[21:22], v[19:20]
	ds_cmpstore_rtn_b64 v[29:30], v28, v[29:30], v[21:22] offset:8
	s_waitcnt lgkmcnt(0)
	v_cmp_eq_u64_e32 vcc_lo, v[29:30], v[21:22]
	v_dual_mov_b32 v21, v29 :: v_dual_mov_b32 v22, v30
	s_or_b32 s15, vcc_lo, s15
	s_delay_alu instid0(SALU_CYCLE_1)
	s_and_not1_b32 exec_lo, exec_lo, s15
	s_cbranch_execnz .LBB76_33
; %bb.34:                               ;   in Loop: Header=BB76_17 Depth=3
	s_or_b32 exec_lo, exec_lo, s15
	s_delay_alu instid0(SALU_CYCLE_1)
	s_and_not1_b32 s14, s14, exec_lo
	s_branch .LBB76_16
.LBB76_35:
	s_or_b32 exec_lo, exec_lo, s1
.LBB76_36:
	s_delay_alu instid0(SALU_CYCLE_1)
	s_and_not1_b32 vcc_lo, exec_lo, s3
	s_cbranch_vccnz .LBB76_61
; %bb.37:
	s_waitcnt lgkmcnt(0)
	s_ashr_i32 s49, s48, 31
	v_subrev_nc_u32_e32 v5, s47, v0
	s_lshl_b64 s[0:1], s[48:49], 2
	s_delay_alu instid0(SALU_CYCLE_1)
	s_add_u32 s0, s36, s0
	s_addc_u32 s1, s37, s1
	s_load_b64 s[0:1], s[0:1], 0x0
	s_waitcnt lgkmcnt(0)
	v_add_nc_u32_e32 v5, s0, v5
	s_sub_i32 s0, s1, s47
	s_mov_b32 s1, exec_lo
	s_delay_alu instid0(VALU_DEP_1)
	v_cmpx_gt_i32_e64 s0, v5
	s_cbranch_execz .LBB76_60
; %bb.38:
	s_mov_b32 s2, 0
	s_branch .LBB76_40
.LBB76_39:                              ;   in Loop: Header=BB76_40 Depth=1
	s_or_b32 exec_lo, exec_lo, s3
	v_add_nc_u32_e32 v5, 0x400, v5
	s_delay_alu instid0(VALU_DEP_1) | instskip(SKIP_1) | instid1(SALU_CYCLE_1)
	v_cmp_le_i32_e32 vcc_lo, s0, v5
	s_or_b32 s2, vcc_lo, s2
	s_and_not1_b32 exec_lo, exec_lo, s2
	s_cbranch_execz .LBB76_60
.LBB76_40:                              ; =>This Loop Header: Depth=1
                                        ;     Child Loop BB76_42 Depth 2
                                        ;       Child Loop BB76_48 Depth 3
                                        ;       Child Loop BB76_50 Depth 3
	;; [unrolled: 1-line block ×4, first 2 shown]
	v_ashrrev_i32_e32 v6, 31, v5
	s_mov_b32 s3, 0
	s_delay_alu instid0(VALU_DEP_1) | instskip(NEXT) | instid1(VALU_DEP_1)
	v_lshlrev_b64 v[7:8], 4, v[5:6]
	v_add_co_u32 v7, vcc_lo, s40, v7
	s_delay_alu instid0(VALU_DEP_2) | instskip(SKIP_2) | instid1(VALU_DEP_1)
	v_add_co_ci_u32_e32 v8, vcc_lo, s41, v8, vcc_lo
	global_load_b128 v[8:11], v[7:8], off
	v_lshlrev_b64 v[6:7], 2, v[5:6]
	v_add_co_u32 v6, vcc_lo, s38, v6
	s_delay_alu instid0(VALU_DEP_2)
	v_add_co_ci_u32_e32 v7, vcc_lo, s39, v7, vcc_lo
	global_load_b32 v12, v[6:7], off
	s_waitcnt vmcnt(1)
	v_mul_f64 v[6:7], v[10:11], -v[1:2]
	v_mul_f64 v[10:11], v[3:4], v[10:11]
	s_waitcnt vmcnt(0)
	v_subrev_nc_u32_e32 v12, s47, v12
	s_delay_alu instid0(VALU_DEP_3) | instskip(NEXT) | instid1(VALU_DEP_3)
	v_fma_f64 v[6:7], v[3:4], v[8:9], v[6:7]
	v_fma_f64 v[8:9], v[1:2], v[8:9], v[10:11]
	s_delay_alu instid0(VALU_DEP_3) | instskip(NEXT) | instid1(VALU_DEP_1)
	v_mul_lo_u32 v10, 0x89, v12
	v_and_b32_e32 v13, 0x7fff, v10
	s_branch .LBB76_42
.LBB76_41:                              ;   in Loop: Header=BB76_42 Depth=2
	s_or_b32 exec_lo, exec_lo, s4
	s_xor_b32 s4, s5, -1
	s_delay_alu instid0(SALU_CYCLE_1) | instskip(NEXT) | instid1(SALU_CYCLE_1)
	s_and_b32 s4, exec_lo, s4
	s_or_b32 s3, s4, s3
	s_delay_alu instid0(SALU_CYCLE_1)
	s_and_not1_b32 exec_lo, exec_lo, s3
	s_cbranch_execz .LBB76_39
.LBB76_42:                              ;   Parent Loop BB76_40 Depth=1
                                        ; =>  This Loop Header: Depth=2
                                        ;       Child Loop BB76_48 Depth 3
                                        ;       Child Loop BB76_50 Depth 3
	;; [unrolled: 1-line block ×4, first 2 shown]
	s_delay_alu instid0(VALU_DEP_1)
	v_lshl_add_u32 v10, v13, 2, 0
	s_mov_b32 s4, exec_lo
                                        ; implicit-def: $sgpr5
	ds_load_b32 v11, v10
	s_waitcnt lgkmcnt(0)
	v_cmpx_ne_u32_e64 v11, v12
	s_xor_b32 s4, exec_lo, s4
	s_cbranch_execz .LBB76_54
; %bb.43:                               ;   in Loop: Header=BB76_42 Depth=2
	s_mov_b32 s6, exec_lo
                                        ; implicit-def: $sgpr5
	v_cmpx_ne_u32_e64 s33, v11
	s_xor_b32 s6, exec_lo, s6
; %bb.44:                               ;   in Loop: Header=BB76_42 Depth=2
	v_add_nc_u32_e32 v10, 1, v13
	s_mov_b32 s5, -1
	s_delay_alu instid0(VALU_DEP_1)
	v_and_b32_e32 v13, 0x7fff, v10
                                        ; implicit-def: $vgpr10
; %bb.45:                               ;   in Loop: Header=BB76_42 Depth=2
	s_and_not1_saveexec_b32 s6, s6
	s_cbranch_execz .LBB76_53
; %bb.46:                               ;   in Loop: Header=BB76_42 Depth=2
	v_mov_b32_e32 v11, s33
	s_mov_b32 s8, -1
	s_mov_b32 s7, exec_lo
	ds_cmpstore_rtn_b32 v10, v10, v12, v11
	s_waitcnt lgkmcnt(0)
	v_cmpx_eq_u32_e64 s33, v10
	s_cbranch_execz .LBB76_52
; %bb.47:                               ;   in Loop: Header=BB76_42 Depth=2
	v_lshlrev_b32_e32 v10, 4, v13
	s_mov_b32 s8, 0
	s_delay_alu instid0(VALU_DEP_1)
	v_add3_u32 v14, 0, v10, 0x20000
	ds_load_b64 v[10:11], v14
.LBB76_48:                              ;   Parent Loop BB76_40 Depth=1
                                        ;     Parent Loop BB76_42 Depth=2
                                        ; =>    This Inner Loop Header: Depth=3
	s_waitcnt lgkmcnt(0)
	v_add_f64 v[15:16], v[10:11], v[6:7]
	ds_cmpstore_rtn_b64 v[15:16], v14, v[15:16], v[10:11]
	s_waitcnt lgkmcnt(0)
	v_cmp_eq_u64_e32 vcc_lo, v[15:16], v[10:11]
	v_dual_mov_b32 v10, v15 :: v_dual_mov_b32 v11, v16
	s_or_b32 s8, vcc_lo, s8
	s_delay_alu instid0(SALU_CYCLE_1)
	s_and_not1_b32 exec_lo, exec_lo, s8
	s_cbranch_execnz .LBB76_48
; %bb.49:                               ;   in Loop: Header=BB76_42 Depth=2
	s_or_b32 exec_lo, exec_lo, s8
	ds_load_b64 v[10:11], v14 offset:8
	s_mov_b32 s8, 0
.LBB76_50:                              ;   Parent Loop BB76_40 Depth=1
                                        ;     Parent Loop BB76_42 Depth=2
                                        ; =>    This Inner Loop Header: Depth=3
	s_waitcnt lgkmcnt(0)
	v_add_f64 v[15:16], v[10:11], v[8:9]
	ds_cmpstore_rtn_b64 v[15:16], v14, v[15:16], v[10:11] offset:8
	s_waitcnt lgkmcnt(0)
	v_cmp_eq_u64_e32 vcc_lo, v[15:16], v[10:11]
	v_dual_mov_b32 v10, v15 :: v_dual_mov_b32 v11, v16
	s_or_b32 s8, vcc_lo, s8
	s_delay_alu instid0(SALU_CYCLE_1)
	s_and_not1_b32 exec_lo, exec_lo, s8
	s_cbranch_execnz .LBB76_50
; %bb.51:                               ;   in Loop: Header=BB76_42 Depth=2
	s_or_b32 exec_lo, exec_lo, s8
	s_delay_alu instid0(SALU_CYCLE_1)
	s_xor_b32 s8, exec_lo, -1
.LBB76_52:                              ;   in Loop: Header=BB76_42 Depth=2
	s_or_b32 exec_lo, exec_lo, s7
	s_delay_alu instid0(SALU_CYCLE_1) | instskip(SKIP_1) | instid1(SALU_CYCLE_1)
	s_and_not1_b32 s5, s5, exec_lo
	s_and_b32 s7, s8, exec_lo
	s_or_b32 s5, s5, s7
.LBB76_53:                              ;   in Loop: Header=BB76_42 Depth=2
	s_or_b32 exec_lo, exec_lo, s6
	s_delay_alu instid0(SALU_CYCLE_1)
	s_and_b32 s5, s5, exec_lo
.LBB76_54:                              ;   in Loop: Header=BB76_42 Depth=2
	s_and_not1_saveexec_b32 s4, s4
	s_cbranch_execz .LBB76_41
; %bb.55:                               ;   in Loop: Header=BB76_42 Depth=2
	v_lshlrev_b32_e32 v10, 4, v13
	s_mov_b32 s6, 0
	s_delay_alu instid0(VALU_DEP_1)
	v_add3_u32 v14, 0, v10, 0x20000
	ds_load_b64 v[10:11], v14
.LBB76_56:                              ;   Parent Loop BB76_40 Depth=1
                                        ;     Parent Loop BB76_42 Depth=2
                                        ; =>    This Inner Loop Header: Depth=3
	s_waitcnt lgkmcnt(0)
	v_add_f64 v[15:16], v[10:11], v[6:7]
	ds_cmpstore_rtn_b64 v[15:16], v14, v[15:16], v[10:11]
	s_waitcnt lgkmcnt(0)
	v_cmp_eq_u64_e32 vcc_lo, v[15:16], v[10:11]
	v_dual_mov_b32 v10, v15 :: v_dual_mov_b32 v11, v16
	s_or_b32 s6, vcc_lo, s6
	s_delay_alu instid0(SALU_CYCLE_1)
	s_and_not1_b32 exec_lo, exec_lo, s6
	s_cbranch_execnz .LBB76_56
; %bb.57:                               ;   in Loop: Header=BB76_42 Depth=2
	s_or_b32 exec_lo, exec_lo, s6
	ds_load_b64 v[10:11], v14 offset:8
	s_mov_b32 s6, 0
.LBB76_58:                              ;   Parent Loop BB76_40 Depth=1
                                        ;     Parent Loop BB76_42 Depth=2
                                        ; =>    This Inner Loop Header: Depth=3
	s_waitcnt lgkmcnt(0)
	v_add_f64 v[15:16], v[10:11], v[8:9]
	ds_cmpstore_rtn_b64 v[15:16], v14, v[15:16], v[10:11] offset:8
	s_waitcnt lgkmcnt(0)
	v_cmp_eq_u64_e32 vcc_lo, v[15:16], v[10:11]
	v_dual_mov_b32 v10, v15 :: v_dual_mov_b32 v11, v16
	s_or_b32 s6, vcc_lo, s6
	s_delay_alu instid0(SALU_CYCLE_1)
	s_and_not1_b32 exec_lo, exec_lo, s6
	s_cbranch_execnz .LBB76_58
; %bb.59:                               ;   in Loop: Header=BB76_42 Depth=2
	s_or_b32 exec_lo, exec_lo, s6
	s_delay_alu instid0(SALU_CYCLE_1)
	s_and_not1_b32 s5, s5, exec_lo
	s_branch .LBB76_41
.LBB76_60:
	s_or_b32 exec_lo, exec_lo, s1
.LBB76_61:
	v_mbcnt_lo_u32_b32 v1, -1, 0
	v_lshrrev_b32_e32 v2, 3, v0
	s_add_i32 s68, 0, 0xa007c
	v_cmp_eq_u32_e32 vcc_lo, 0x3ff, v0
	v_cmp_lt_u32_e64 s0, 31, v0
	v_xor_b32_e32 v1, 63, v1
	v_dual_mov_b32 v4, 0 :: v_dual_and_b32 v3, 0x7c, v2
	v_cmp_lt_u32_e64 s1, 63, v0
	v_cmp_lt_u32_e64 s2, 0x5f, v0
	s_delay_alu instid0(VALU_DEP_4) | instskip(NEXT) | instid1(VALU_DEP_4)
	v_lshrrev_b64 v[1:2], v1, -1
	v_add3_u32 v2, 0, 0xa0000, v3
	v_cmp_lt_u32_e64 s3, 0x7f, v0
	v_cmp_lt_u32_e64 s4, 0x9f, v0
	;; [unrolled: 1-line block ×28, first 2 shown]
	v_add3_u32 v3, v25, 0, 0x20000
	v_mov_b32_e32 v5, s68
	s_mov_b32 s36, 0
	s_add_i32 s37, 0, 0xa0000
	s_add_i32 s38, 0, 0xa0004
	;; [unrolled: 1-line block ×31, first 2 shown]
	s_waitcnt lgkmcnt(0)
	s_barrier
	buffer_gl0_inv
	s_branch .LBB76_63
.LBB76_62:                              ;   in Loop: Header=BB76_63 Depth=1
	s_or_b32 exec_lo, exec_lo, s31
	s_waitcnt lgkmcnt(0)
	s_barrier
	buffer_gl0_inv
	ds_load_b32 v6, v5
	v_add_nc_u32_e32 v23, 0x400, v23
	v_add_nc_u32_e32 v3, 0x4000, v3
	;; [unrolled: 1-line block ×3, first 2 shown]
	s_delay_alu instid0(VALU_DEP_3) | instskip(NEXT) | instid1(VALU_DEP_1)
	v_cmp_lt_u32_e64 s31, 0x7bff, v23
	s_or_b32 s36, s31, s36
	s_waitcnt lgkmcnt(0)
	v_add_nc_u32_e32 v4, v6, v4
	s_and_not1_b32 exec_lo, exec_lo, s36
	s_cbranch_execz .LBB76_129
.LBB76_63:                              ; =>This Inner Loop Header: Depth=1
	ds_load_b32 v6, v24
	ds_load_2addr_b64 v[7:10], v3 offset1:1
	s_waitcnt lgkmcnt(1)
	v_cmp_gt_i32_e64 s31, s33, v6
	s_waitcnt lgkmcnt(0)
	scratch_store_b128 off, v[7:10], off
	s_waitcnt_vscnt null, 0x0
	s_barrier
	buffer_gl0_inv
	s_bcnt1_i32_b32 s73, s31
	s_delay_alu instid0(SALU_CYCLE_1) | instskip(NEXT) | instid1(VALU_DEP_1)
	v_dual_mov_b32 v8, s73 :: v_dual_and_b32 v7, s31, v1
	v_bcnt_u32_b32 v7, v7, 0
	ds_store_b32 v2, v8
	s_waitcnt lgkmcnt(0)
	s_barrier
	buffer_gl0_inv
	s_and_saveexec_b32 s73, s0
	s_cbranch_execnz .LBB76_96
; %bb.64:                               ;   in Loop: Header=BB76_63 Depth=1
	s_or_b32 exec_lo, exec_lo, s73
	s_and_saveexec_b32 s73, s1
	s_cbranch_execnz .LBB76_97
.LBB76_65:                              ;   in Loop: Header=BB76_63 Depth=1
	s_or_b32 exec_lo, exec_lo, s73
	s_and_saveexec_b32 s73, s2
	s_cbranch_execnz .LBB76_98
.LBB76_66:                              ;   in Loop: Header=BB76_63 Depth=1
	s_or_b32 exec_lo, exec_lo, s73
	s_and_saveexec_b32 s73, s3
	s_cbranch_execnz .LBB76_99
.LBB76_67:                              ;   in Loop: Header=BB76_63 Depth=1
	s_or_b32 exec_lo, exec_lo, s73
	s_and_saveexec_b32 s73, s4
	s_cbranch_execnz .LBB76_100
.LBB76_68:                              ;   in Loop: Header=BB76_63 Depth=1
	s_or_b32 exec_lo, exec_lo, s73
	s_and_saveexec_b32 s73, s5
	s_cbranch_execnz .LBB76_101
.LBB76_69:                              ;   in Loop: Header=BB76_63 Depth=1
	s_or_b32 exec_lo, exec_lo, s73
	s_and_saveexec_b32 s73, s6
	s_cbranch_execnz .LBB76_102
.LBB76_70:                              ;   in Loop: Header=BB76_63 Depth=1
	s_or_b32 exec_lo, exec_lo, s73
	s_and_saveexec_b32 s73, s7
	s_cbranch_execnz .LBB76_103
.LBB76_71:                              ;   in Loop: Header=BB76_63 Depth=1
	s_or_b32 exec_lo, exec_lo, s73
	s_and_saveexec_b32 s73, s8
	s_cbranch_execnz .LBB76_104
.LBB76_72:                              ;   in Loop: Header=BB76_63 Depth=1
	s_or_b32 exec_lo, exec_lo, s73
	s_and_saveexec_b32 s73, s9
	s_cbranch_execnz .LBB76_105
.LBB76_73:                              ;   in Loop: Header=BB76_63 Depth=1
	s_or_b32 exec_lo, exec_lo, s73
	s_and_saveexec_b32 s73, s10
	s_cbranch_execnz .LBB76_106
.LBB76_74:                              ;   in Loop: Header=BB76_63 Depth=1
	s_or_b32 exec_lo, exec_lo, s73
	s_and_saveexec_b32 s73, s11
	s_cbranch_execnz .LBB76_107
.LBB76_75:                              ;   in Loop: Header=BB76_63 Depth=1
	s_or_b32 exec_lo, exec_lo, s73
	s_and_saveexec_b32 s73, s12
	s_cbranch_execnz .LBB76_108
.LBB76_76:                              ;   in Loop: Header=BB76_63 Depth=1
	s_or_b32 exec_lo, exec_lo, s73
	s_and_saveexec_b32 s73, s13
	s_cbranch_execnz .LBB76_109
.LBB76_77:                              ;   in Loop: Header=BB76_63 Depth=1
	s_or_b32 exec_lo, exec_lo, s73
	s_and_saveexec_b32 s73, s14
	s_cbranch_execnz .LBB76_110
.LBB76_78:                              ;   in Loop: Header=BB76_63 Depth=1
	s_or_b32 exec_lo, exec_lo, s73
	s_and_saveexec_b32 s73, s15
	s_cbranch_execnz .LBB76_111
.LBB76_79:                              ;   in Loop: Header=BB76_63 Depth=1
	s_or_b32 exec_lo, exec_lo, s73
	s_and_saveexec_b32 s73, s16
	s_cbranch_execnz .LBB76_112
.LBB76_80:                              ;   in Loop: Header=BB76_63 Depth=1
	s_or_b32 exec_lo, exec_lo, s73
	s_and_saveexec_b32 s73, s17
	s_cbranch_execnz .LBB76_113
.LBB76_81:                              ;   in Loop: Header=BB76_63 Depth=1
	s_or_b32 exec_lo, exec_lo, s73
	s_and_saveexec_b32 s73, s18
	s_cbranch_execnz .LBB76_114
.LBB76_82:                              ;   in Loop: Header=BB76_63 Depth=1
	s_or_b32 exec_lo, exec_lo, s73
	s_and_saveexec_b32 s73, s19
	s_cbranch_execnz .LBB76_115
.LBB76_83:                              ;   in Loop: Header=BB76_63 Depth=1
	s_or_b32 exec_lo, exec_lo, s73
	s_and_saveexec_b32 s73, s20
	s_cbranch_execnz .LBB76_116
.LBB76_84:                              ;   in Loop: Header=BB76_63 Depth=1
	s_or_b32 exec_lo, exec_lo, s73
	s_and_saveexec_b32 s73, s21
	s_cbranch_execnz .LBB76_117
.LBB76_85:                              ;   in Loop: Header=BB76_63 Depth=1
	s_or_b32 exec_lo, exec_lo, s73
	s_and_saveexec_b32 s73, s22
	s_cbranch_execnz .LBB76_118
.LBB76_86:                              ;   in Loop: Header=BB76_63 Depth=1
	s_or_b32 exec_lo, exec_lo, s73
	s_and_saveexec_b32 s73, s23
	s_cbranch_execnz .LBB76_119
.LBB76_87:                              ;   in Loop: Header=BB76_63 Depth=1
	s_or_b32 exec_lo, exec_lo, s73
	s_and_saveexec_b32 s73, s24
	s_cbranch_execnz .LBB76_120
.LBB76_88:                              ;   in Loop: Header=BB76_63 Depth=1
	s_or_b32 exec_lo, exec_lo, s73
	s_and_saveexec_b32 s73, s25
	s_cbranch_execnz .LBB76_121
.LBB76_89:                              ;   in Loop: Header=BB76_63 Depth=1
	s_or_b32 exec_lo, exec_lo, s73
	s_and_saveexec_b32 s73, s26
	s_cbranch_execnz .LBB76_122
.LBB76_90:                              ;   in Loop: Header=BB76_63 Depth=1
	s_or_b32 exec_lo, exec_lo, s73
	s_and_saveexec_b32 s73, s27
	s_cbranch_execnz .LBB76_123
.LBB76_91:                              ;   in Loop: Header=BB76_63 Depth=1
	s_or_b32 exec_lo, exec_lo, s73
	s_and_saveexec_b32 s73, s28
	s_cbranch_execnz .LBB76_124
.LBB76_92:                              ;   in Loop: Header=BB76_63 Depth=1
	s_or_b32 exec_lo, exec_lo, s73
	s_and_saveexec_b32 s73, s29
	s_cbranch_execnz .LBB76_125
.LBB76_93:                              ;   in Loop: Header=BB76_63 Depth=1
	s_or_b32 exec_lo, exec_lo, s73
	s_and_saveexec_b32 s73, s30
	s_cbranch_execnz .LBB76_126
.LBB76_94:                              ;   in Loop: Header=BB76_63 Depth=1
	s_or_b32 exec_lo, exec_lo, s73
	s_and_saveexec_b32 s73, s31
	s_cbranch_execnz .LBB76_127
.LBB76_95:                              ;   in Loop: Header=BB76_63 Depth=1
	s_or_b32 exec_lo, exec_lo, s73
	s_and_saveexec_b32 s31, vcc_lo
	s_cbranch_execz .LBB76_62
	s_branch .LBB76_128
.LBB76_96:                              ;   in Loop: Header=BB76_63 Depth=1
	v_mov_b32_e32 v8, s37
	ds_load_b32 v8, v8
	s_waitcnt lgkmcnt(0)
	v_add_nc_u32_e32 v7, v8, v7
	s_or_b32 exec_lo, exec_lo, s73
	s_and_saveexec_b32 s73, s1
	s_cbranch_execz .LBB76_65
.LBB76_97:                              ;   in Loop: Header=BB76_63 Depth=1
	v_mov_b32_e32 v8, s38
	ds_load_b32 v8, v8
	s_waitcnt lgkmcnt(0)
	v_add_nc_u32_e32 v7, v8, v7
	s_or_b32 exec_lo, exec_lo, s73
	s_and_saveexec_b32 s73, s2
	s_cbranch_execz .LBB76_66
.LBB76_98:                              ;   in Loop: Header=BB76_63 Depth=1
	v_mov_b32_e32 v8, s39
	ds_load_b32 v8, v8
	s_waitcnt lgkmcnt(0)
	v_add_nc_u32_e32 v7, v8, v7
	s_or_b32 exec_lo, exec_lo, s73
	s_and_saveexec_b32 s73, s3
	s_cbranch_execz .LBB76_67
.LBB76_99:                              ;   in Loop: Header=BB76_63 Depth=1
	v_mov_b32_e32 v8, s40
	ds_load_b32 v8, v8
	s_waitcnt lgkmcnt(0)
	v_add_nc_u32_e32 v7, v8, v7
	s_or_b32 exec_lo, exec_lo, s73
	s_and_saveexec_b32 s73, s4
	s_cbranch_execz .LBB76_68
.LBB76_100:                             ;   in Loop: Header=BB76_63 Depth=1
	v_mov_b32_e32 v8, s41
	ds_load_b32 v8, v8
	s_waitcnt lgkmcnt(0)
	v_add_nc_u32_e32 v7, v8, v7
	s_or_b32 exec_lo, exec_lo, s73
	s_and_saveexec_b32 s73, s5
	s_cbranch_execz .LBB76_69
.LBB76_101:                             ;   in Loop: Header=BB76_63 Depth=1
	v_mov_b32_e32 v8, s44
	ds_load_b32 v8, v8
	s_waitcnt lgkmcnt(0)
	v_add_nc_u32_e32 v7, v8, v7
	s_or_b32 exec_lo, exec_lo, s73
	s_and_saveexec_b32 s73, s6
	s_cbranch_execz .LBB76_70
.LBB76_102:                             ;   in Loop: Header=BB76_63 Depth=1
	v_mov_b32_e32 v8, s45
	ds_load_b32 v8, v8
	s_waitcnt lgkmcnt(0)
	v_add_nc_u32_e32 v7, v8, v7
	s_or_b32 exec_lo, exec_lo, s73
	s_and_saveexec_b32 s73, s7
	s_cbranch_execz .LBB76_71
.LBB76_103:                             ;   in Loop: Header=BB76_63 Depth=1
	v_mov_b32_e32 v8, s47
	ds_load_b32 v8, v8
	s_waitcnt lgkmcnt(0)
	v_add_nc_u32_e32 v7, v8, v7
	s_or_b32 exec_lo, exec_lo, s73
	s_and_saveexec_b32 s73, s8
	s_cbranch_execz .LBB76_72
.LBB76_104:                             ;   in Loop: Header=BB76_63 Depth=1
	v_mov_b32_e32 v8, s49
	ds_load_b32 v8, v8
	s_waitcnt lgkmcnt(0)
	v_add_nc_u32_e32 v7, v8, v7
	s_or_b32 exec_lo, exec_lo, s73
	s_and_saveexec_b32 s73, s9
	s_cbranch_execz .LBB76_73
.LBB76_105:                             ;   in Loop: Header=BB76_63 Depth=1
	v_mov_b32_e32 v8, s50
	ds_load_b32 v8, v8
	s_waitcnt lgkmcnt(0)
	v_add_nc_u32_e32 v7, v8, v7
	s_or_b32 exec_lo, exec_lo, s73
	s_and_saveexec_b32 s73, s10
	s_cbranch_execz .LBB76_74
.LBB76_106:                             ;   in Loop: Header=BB76_63 Depth=1
	v_mov_b32_e32 v8, s51
	ds_load_b32 v8, v8
	s_waitcnt lgkmcnt(0)
	v_add_nc_u32_e32 v7, v8, v7
	s_or_b32 exec_lo, exec_lo, s73
	s_and_saveexec_b32 s73, s11
	s_cbranch_execz .LBB76_75
.LBB76_107:                             ;   in Loop: Header=BB76_63 Depth=1
	v_mov_b32_e32 v8, s52
	ds_load_b32 v8, v8
	s_waitcnt lgkmcnt(0)
	v_add_nc_u32_e32 v7, v8, v7
	s_or_b32 exec_lo, exec_lo, s73
	s_and_saveexec_b32 s73, s12
	s_cbranch_execz .LBB76_76
.LBB76_108:                             ;   in Loop: Header=BB76_63 Depth=1
	v_mov_b32_e32 v8, s53
	ds_load_b32 v8, v8
	s_waitcnt lgkmcnt(0)
	v_add_nc_u32_e32 v7, v8, v7
	s_or_b32 exec_lo, exec_lo, s73
	s_and_saveexec_b32 s73, s13
	s_cbranch_execz .LBB76_77
.LBB76_109:                             ;   in Loop: Header=BB76_63 Depth=1
	v_mov_b32_e32 v8, s54
	ds_load_b32 v8, v8
	s_waitcnt lgkmcnt(0)
	v_add_nc_u32_e32 v7, v8, v7
	s_or_b32 exec_lo, exec_lo, s73
	s_and_saveexec_b32 s73, s14
	s_cbranch_execz .LBB76_78
.LBB76_110:                             ;   in Loop: Header=BB76_63 Depth=1
	v_mov_b32_e32 v8, s55
	ds_load_b32 v8, v8
	s_waitcnt lgkmcnt(0)
	v_add_nc_u32_e32 v7, v8, v7
	s_or_b32 exec_lo, exec_lo, s73
	s_and_saveexec_b32 s73, s15
	s_cbranch_execz .LBB76_79
.LBB76_111:                             ;   in Loop: Header=BB76_63 Depth=1
	v_mov_b32_e32 v8, s56
	ds_load_b32 v8, v8
	s_waitcnt lgkmcnt(0)
	v_add_nc_u32_e32 v7, v8, v7
	s_or_b32 exec_lo, exec_lo, s73
	s_and_saveexec_b32 s73, s16
	s_cbranch_execz .LBB76_80
.LBB76_112:                             ;   in Loop: Header=BB76_63 Depth=1
	v_mov_b32_e32 v8, s57
	ds_load_b32 v8, v8
	s_waitcnt lgkmcnt(0)
	v_add_nc_u32_e32 v7, v8, v7
	s_or_b32 exec_lo, exec_lo, s73
	s_and_saveexec_b32 s73, s17
	s_cbranch_execz .LBB76_81
.LBB76_113:                             ;   in Loop: Header=BB76_63 Depth=1
	v_mov_b32_e32 v8, s58
	ds_load_b32 v8, v8
	s_waitcnt lgkmcnt(0)
	v_add_nc_u32_e32 v7, v8, v7
	s_or_b32 exec_lo, exec_lo, s73
	s_and_saveexec_b32 s73, s18
	s_cbranch_execz .LBB76_82
.LBB76_114:                             ;   in Loop: Header=BB76_63 Depth=1
	v_mov_b32_e32 v8, s59
	ds_load_b32 v8, v8
	s_waitcnt lgkmcnt(0)
	v_add_nc_u32_e32 v7, v8, v7
	s_or_b32 exec_lo, exec_lo, s73
	s_and_saveexec_b32 s73, s19
	s_cbranch_execz .LBB76_83
.LBB76_115:                             ;   in Loop: Header=BB76_63 Depth=1
	v_mov_b32_e32 v8, s60
	ds_load_b32 v8, v8
	s_waitcnt lgkmcnt(0)
	v_add_nc_u32_e32 v7, v8, v7
	s_or_b32 exec_lo, exec_lo, s73
	s_and_saveexec_b32 s73, s20
	s_cbranch_execz .LBB76_84
.LBB76_116:                             ;   in Loop: Header=BB76_63 Depth=1
	v_mov_b32_e32 v8, s61
	ds_load_b32 v8, v8
	s_waitcnt lgkmcnt(0)
	v_add_nc_u32_e32 v7, v8, v7
	s_or_b32 exec_lo, exec_lo, s73
	s_and_saveexec_b32 s73, s21
	s_cbranch_execz .LBB76_85
.LBB76_117:                             ;   in Loop: Header=BB76_63 Depth=1
	v_mov_b32_e32 v8, s62
	ds_load_b32 v8, v8
	s_waitcnt lgkmcnt(0)
	v_add_nc_u32_e32 v7, v8, v7
	s_or_b32 exec_lo, exec_lo, s73
	s_and_saveexec_b32 s73, s22
	s_cbranch_execz .LBB76_86
.LBB76_118:                             ;   in Loop: Header=BB76_63 Depth=1
	v_mov_b32_e32 v8, s63
	ds_load_b32 v8, v8
	s_waitcnt lgkmcnt(0)
	v_add_nc_u32_e32 v7, v8, v7
	s_or_b32 exec_lo, exec_lo, s73
	s_and_saveexec_b32 s73, s23
	s_cbranch_execz .LBB76_87
.LBB76_119:                             ;   in Loop: Header=BB76_63 Depth=1
	v_mov_b32_e32 v8, s64
	ds_load_b32 v8, v8
	s_waitcnt lgkmcnt(0)
	v_add_nc_u32_e32 v7, v8, v7
	s_or_b32 exec_lo, exec_lo, s73
	s_and_saveexec_b32 s73, s24
	s_cbranch_execz .LBB76_88
.LBB76_120:                             ;   in Loop: Header=BB76_63 Depth=1
	v_mov_b32_e32 v8, s65
	ds_load_b32 v8, v8
	s_waitcnt lgkmcnt(0)
	v_add_nc_u32_e32 v7, v8, v7
	s_or_b32 exec_lo, exec_lo, s73
	s_and_saveexec_b32 s73, s25
	s_cbranch_execz .LBB76_89
.LBB76_121:                             ;   in Loop: Header=BB76_63 Depth=1
	v_mov_b32_e32 v8, s66
	ds_load_b32 v8, v8
	s_waitcnt lgkmcnt(0)
	v_add_nc_u32_e32 v7, v8, v7
	s_or_b32 exec_lo, exec_lo, s73
	s_and_saveexec_b32 s73, s26
	s_cbranch_execz .LBB76_90
.LBB76_122:                             ;   in Loop: Header=BB76_63 Depth=1
	v_mov_b32_e32 v8, s67
	ds_load_b32 v8, v8
	s_waitcnt lgkmcnt(0)
	v_add_nc_u32_e32 v7, v8, v7
	s_or_b32 exec_lo, exec_lo, s73
	s_and_saveexec_b32 s73, s27
	s_cbranch_execz .LBB76_91
.LBB76_123:                             ;   in Loop: Header=BB76_63 Depth=1
	v_mov_b32_e32 v8, s69
	ds_load_b32 v8, v8
	s_waitcnt lgkmcnt(0)
	v_add_nc_u32_e32 v7, v8, v7
	s_or_b32 exec_lo, exec_lo, s73
	s_and_saveexec_b32 s73, s28
	s_cbranch_execz .LBB76_92
.LBB76_124:                             ;   in Loop: Header=BB76_63 Depth=1
	v_mov_b32_e32 v8, s70
	ds_load_b32 v8, v8
	s_waitcnt lgkmcnt(0)
	v_add_nc_u32_e32 v7, v8, v7
	s_or_b32 exec_lo, exec_lo, s73
	s_and_saveexec_b32 s73, s29
	s_cbranch_execz .LBB76_93
.LBB76_125:                             ;   in Loop: Header=BB76_63 Depth=1
	v_mov_b32_e32 v8, s71
	ds_load_b32 v8, v8
	s_waitcnt lgkmcnt(0)
	v_add_nc_u32_e32 v7, v8, v7
	s_or_b32 exec_lo, exec_lo, s73
	s_and_saveexec_b32 s73, s30
	s_cbranch_execz .LBB76_94
.LBB76_126:                             ;   in Loop: Header=BB76_63 Depth=1
	v_mov_b32_e32 v8, s72
	ds_load_b32 v8, v8
	s_waitcnt lgkmcnt(0)
	v_add_nc_u32_e32 v7, v8, v7
	s_or_b32 exec_lo, exec_lo, s73
	s_and_saveexec_b32 s73, s31
	s_cbranch_execz .LBB76_95
.LBB76_127:                             ;   in Loop: Header=BB76_63 Depth=1
	scratch_load_b128 v[8:11], off, off
	v_add3_u32 v12, v4, -1, v7
	s_delay_alu instid0(VALU_DEP_1) | instskip(SKIP_1) | instid1(VALU_DEP_2)
	v_lshlrev_b32_e32 v13, 4, v12
	v_lshl_add_u32 v12, v12, 2, 0
	v_add3_u32 v13, 0, v13, 0x20000
	ds_store_b32 v12, v6
	s_waitcnt vmcnt(0)
	ds_store_2addr_b64 v13, v[8:9], v[10:11] offset1:1
	s_or_b32 exec_lo, exec_lo, s73
	s_and_saveexec_b32 s31, vcc_lo
	s_cbranch_execz .LBB76_62
.LBB76_128:                             ;   in Loop: Header=BB76_63 Depth=1
	v_mov_b32_e32 v6, s68
	ds_store_b32 v6, v7
	s_branch .LBB76_62
.LBB76_129:
	s_or_b32 exec_lo, exec_lo, s36
	s_ashr_i32 s49, s48, 31
	s_mov_b32 s3, exec_lo
	s_lshl_b64 s[0:1], s[48:49], 2
	s_delay_alu instid0(SALU_CYCLE_1) | instskip(SKIP_4) | instid1(SALU_CYCLE_1)
	s_add_u32 s0, s42, s0
	s_addc_u32 s1, s43, s1
	s_load_b64 s[0:1], s[0:1], 0x0
	s_waitcnt lgkmcnt(0)
	s_sub_i32 s2, s1, s0
	v_cmpx_gt_i32_e64 s2, v0
	s_cbranch_execz .LBB76_139
; %bb.130:
	s_sub_i32 s3, s0, s46
	s_sub_i32 s0, s0, s1
	s_and_b32 s1, s2, 7
	s_cmp_lt_u32 s0, -7
	s_mov_b32 s7, 0
	s_cselect_b32 s4, -1, 0
	s_and_b32 s5, s2, -8
	s_cmp_lg_u32 s1, 0
	s_cselect_b32 s6, -1, 0
	s_branch .LBB76_132
.LBB76_131:                             ;   in Loop: Header=BB76_132 Depth=1
	s_waitcnt lgkmcnt(0)
	v_lshlrev_b32_e32 v2, 4, v0
	v_add_nc_u32_e32 v0, 0x400, v0
	s_delay_alu instid0(VALU_DEP_2) | instskip(NEXT) | instid1(VALU_DEP_2)
	v_add3_u32 v2, 0, v2, 0x20000
	v_cmp_le_i32_e32 vcc_lo, s2, v0
	ds_load_2addr_b64 v[3:6], v2 offset1:1
	v_ashrrev_i32_e32 v2, 31, v1
	s_or_b32 s7, vcc_lo, s7
	s_delay_alu instid0(VALU_DEP_1) | instskip(NEXT) | instid1(VALU_DEP_1)
	v_lshlrev_b64 v[1:2], 4, v[1:2]
	v_add_co_u32 v1, s0, s34, v1
	s_delay_alu instid0(VALU_DEP_1)
	v_add_co_ci_u32_e64 v2, s0, s35, v2, s0
	s_waitcnt lgkmcnt(0)
	global_store_b128 v[1:2], v[3:6], off
	s_and_not1_b32 exec_lo, exec_lo, s7
	s_cbranch_execz .LBB76_139
.LBB76_132:                             ; =>This Loop Header: Depth=1
                                        ;     Child Loop BB76_134 Depth 2
                                        ;     Child Loop BB76_138 Depth 2
	v_lshl_add_u32 v1, v0, 2, 0
	s_and_not1_b32 vcc_lo, exec_lo, s4
	s_mov_b32 s0, 0
	ds_load_b32 v2, v1
	v_mov_b32_e32 v1, s3
	s_cbranch_vccnz .LBB76_136
; %bb.133:                              ;   in Loop: Header=BB76_132 Depth=1
	v_mov_b32_e32 v1, s3
	s_mov_b32 s8, 0
	s_set_inst_prefetch_distance 0x1
	.p2align	6
.LBB76_134:                             ;   Parent Loop BB76_132 Depth=1
                                        ; =>  This Inner Loop Header: Depth=2
	v_mov_b32_e32 v9, s8
	s_add_i32 s0, s0, 8
	s_add_i32 s8, s8, 32
	s_cmp_eq_u32 s5, s0
	ds_load_2addr_b32 v[3:4], v9 offset1:1
	ds_load_2addr_b32 v[5:6], v9 offset0:2 offset1:3
	ds_load_2addr_b32 v[7:8], v9 offset0:4 offset1:5
	;; [unrolled: 1-line block ×3, first 2 shown]
	s_waitcnt lgkmcnt(3)
	v_cmp_gt_i32_e32 vcc_lo, v2, v3
	v_cndmask_b32_e64 v3, 0, 1, vcc_lo
	s_waitcnt lgkmcnt(2)
	v_cmp_gt_i32_e32 vcc_lo, v2, v5
	v_cndmask_b32_e64 v5, 0, 1, vcc_lo
	v_cmp_gt_i32_e32 vcc_lo, v2, v4
	v_add_co_ci_u32_e32 v1, vcc_lo, v1, v3, vcc_lo
	s_waitcnt lgkmcnt(1)
	v_cmp_gt_i32_e32 vcc_lo, v2, v7
	v_cndmask_b32_e64 v3, 0, 1, vcc_lo
	v_cmp_gt_i32_e32 vcc_lo, v2, v6
	v_add_co_ci_u32_e32 v1, vcc_lo, v1, v5, vcc_lo
	;; [unrolled: 5-line block ×3, first 2 shown]
	v_cmp_gt_i32_e32 vcc_lo, v2, v10
	s_delay_alu instid0(VALU_DEP_2)
	v_add_co_ci_u32_e32 v1, vcc_lo, v1, v4, vcc_lo
	s_cbranch_scc0 .LBB76_134
; %bb.135:                              ;   in Loop: Header=BB76_132 Depth=1
	s_set_inst_prefetch_distance 0x2
	s_mov_b32 s0, s5
.LBB76_136:                             ;   in Loop: Header=BB76_132 Depth=1
	s_and_not1_b32 vcc_lo, exec_lo, s6
	s_cbranch_vccnz .LBB76_131
; %bb.137:                              ;   in Loop: Header=BB76_132 Depth=1
	s_lshl_b32 s0, s0, 2
	s_mov_b32 s8, s1
	s_add_i32 s0, s0, 0
.LBB76_138:                             ;   Parent Loop BB76_132 Depth=1
                                        ; =>  This Inner Loop Header: Depth=2
	s_delay_alu instid0(SALU_CYCLE_1)
	v_mov_b32_e32 v3, s0
	s_add_i32 s8, s8, -1
	s_add_i32 s0, s0, 4
	s_cmp_lg_u32 s8, 0
	ds_load_b32 v3, v3
	s_waitcnt lgkmcnt(0)
	v_cmp_gt_i32_e32 vcc_lo, v2, v3
	v_add_co_ci_u32_e32 v1, vcc_lo, 0, v1, vcc_lo
	s_cbranch_scc1 .LBB76_138
	s_branch .LBB76_131
.LBB76_139:
	s_nop 0
	s_sendmsg sendmsg(MSG_DEALLOC_VGPRS)
	s_endpgm
	.section	.rodata,"a",@progbits
	.p2align	6, 0x0
	.amdhsa_kernel _ZN9rocsparseL41csrgemm_numeric_fill_block_per_row_kernelILj1024ELj64ELj32768ELj137ELj32Eii21rocsparse_complex_numIdEEEvT5_PKS3_S5_NS_24const_host_device_scalarIT6_EEPKT4_S5_PKS7_SB_S5_SD_S8_SB_S5_SD_SB_S5_PS7_21rocsparse_index_base_SF_SF_SF_bbb
		.amdhsa_group_segment_fixed_size 0
		.amdhsa_private_segment_fixed_size 40
		.amdhsa_kernarg_size 172
		.amdhsa_user_sgpr_count 15
		.amdhsa_user_sgpr_dispatch_ptr 0
		.amdhsa_user_sgpr_queue_ptr 0
		.amdhsa_user_sgpr_kernarg_segment_ptr 1
		.amdhsa_user_sgpr_dispatch_id 0
		.amdhsa_user_sgpr_private_segment_size 0
		.amdhsa_wavefront_size32 1
		.amdhsa_uses_dynamic_stack 0
		.amdhsa_enable_private_segment 1
		.amdhsa_system_sgpr_workgroup_id_x 1
		.amdhsa_system_sgpr_workgroup_id_y 0
		.amdhsa_system_sgpr_workgroup_id_z 0
		.amdhsa_system_sgpr_workgroup_info 0
		.amdhsa_system_vgpr_workitem_id 0
		.amdhsa_next_free_vgpr 31
		.amdhsa_next_free_sgpr 74
		.amdhsa_reserve_vcc 1
		.amdhsa_float_round_mode_32 0
		.amdhsa_float_round_mode_16_64 0
		.amdhsa_float_denorm_mode_32 3
		.amdhsa_float_denorm_mode_16_64 3
		.amdhsa_dx10_clamp 1
		.amdhsa_ieee_mode 1
		.amdhsa_fp16_overflow 0
		.amdhsa_workgroup_processor_mode 1
		.amdhsa_memory_ordered 1
		.amdhsa_forward_progress 0
		.amdhsa_shared_vgpr_count 0
		.amdhsa_exception_fp_ieee_invalid_op 0
		.amdhsa_exception_fp_denorm_src 0
		.amdhsa_exception_fp_ieee_div_zero 0
		.amdhsa_exception_fp_ieee_overflow 0
		.amdhsa_exception_fp_ieee_underflow 0
		.amdhsa_exception_fp_ieee_inexact 0
		.amdhsa_exception_int_div_zero 0
	.end_amdhsa_kernel
	.section	.text._ZN9rocsparseL41csrgemm_numeric_fill_block_per_row_kernelILj1024ELj64ELj32768ELj137ELj32Eii21rocsparse_complex_numIdEEEvT5_PKS3_S5_NS_24const_host_device_scalarIT6_EEPKT4_S5_PKS7_SB_S5_SD_S8_SB_S5_SD_SB_S5_PS7_21rocsparse_index_base_SF_SF_SF_bbb,"axG",@progbits,_ZN9rocsparseL41csrgemm_numeric_fill_block_per_row_kernelILj1024ELj64ELj32768ELj137ELj32Eii21rocsparse_complex_numIdEEEvT5_PKS3_S5_NS_24const_host_device_scalarIT6_EEPKT4_S5_PKS7_SB_S5_SD_S8_SB_S5_SD_SB_S5_PS7_21rocsparse_index_base_SF_SF_SF_bbb,comdat
.Lfunc_end76:
	.size	_ZN9rocsparseL41csrgemm_numeric_fill_block_per_row_kernelILj1024ELj64ELj32768ELj137ELj32Eii21rocsparse_complex_numIdEEEvT5_PKS3_S5_NS_24const_host_device_scalarIT6_EEPKT4_S5_PKS7_SB_S5_SD_S8_SB_S5_SD_SB_S5_PS7_21rocsparse_index_base_SF_SF_SF_bbb, .Lfunc_end76-_ZN9rocsparseL41csrgemm_numeric_fill_block_per_row_kernelILj1024ELj64ELj32768ELj137ELj32Eii21rocsparse_complex_numIdEEEvT5_PKS3_S5_NS_24const_host_device_scalarIT6_EEPKT4_S5_PKS7_SB_S5_SD_S8_SB_S5_SD_SB_S5_PS7_21rocsparse_index_base_SF_SF_SF_bbb
                                        ; -- End function
	.section	.AMDGPU.csdata,"",@progbits
; Kernel info:
; codeLenInByte = 5308
; NumSgprs: 76
; NumVgprs: 31
; ScratchSize: 40
; MemoryBound: 0
; FloatMode: 240
; IeeeMode: 1
; LDSByteSize: 0 bytes/workgroup (compile time only)
; SGPRBlocks: 9
; VGPRBlocks: 3
; NumSGPRsForWavesPerEU: 76
; NumVGPRsForWavesPerEU: 31
; Occupancy: 16
; WaveLimiterHint : 1
; COMPUTE_PGM_RSRC2:SCRATCH_EN: 1
; COMPUTE_PGM_RSRC2:USER_SGPR: 15
; COMPUTE_PGM_RSRC2:TRAP_HANDLER: 0
; COMPUTE_PGM_RSRC2:TGID_X_EN: 1
; COMPUTE_PGM_RSRC2:TGID_Y_EN: 0
; COMPUTE_PGM_RSRC2:TGID_Z_EN: 0
; COMPUTE_PGM_RSRC2:TIDIG_COMP_CNT: 0
	.section	.text._ZN9rocsparseL41csrgemm_numeric_fill_block_per_row_kernelILj1024ELj64ELj32768ELj137ELj64Eii21rocsparse_complex_numIdEEEvT5_PKS3_S5_NS_24const_host_device_scalarIT6_EEPKT4_S5_PKS7_SB_S5_SD_S8_SB_S5_SD_SB_S5_PS7_21rocsparse_index_base_SF_SF_SF_bbb,"axG",@progbits,_ZN9rocsparseL41csrgemm_numeric_fill_block_per_row_kernelILj1024ELj64ELj32768ELj137ELj64Eii21rocsparse_complex_numIdEEEvT5_PKS3_S5_NS_24const_host_device_scalarIT6_EEPKT4_S5_PKS7_SB_S5_SD_S8_SB_S5_SD_SB_S5_PS7_21rocsparse_index_base_SF_SF_SF_bbb,comdat
	.globl	_ZN9rocsparseL41csrgemm_numeric_fill_block_per_row_kernelILj1024ELj64ELj32768ELj137ELj64Eii21rocsparse_complex_numIdEEEvT5_PKS3_S5_NS_24const_host_device_scalarIT6_EEPKT4_S5_PKS7_SB_S5_SD_S8_SB_S5_SD_SB_S5_PS7_21rocsparse_index_base_SF_SF_SF_bbb ; -- Begin function _ZN9rocsparseL41csrgemm_numeric_fill_block_per_row_kernelILj1024ELj64ELj32768ELj137ELj64Eii21rocsparse_complex_numIdEEEvT5_PKS3_S5_NS_24const_host_device_scalarIT6_EEPKT4_S5_PKS7_SB_S5_SD_S8_SB_S5_SD_SB_S5_PS7_21rocsparse_index_base_SF_SF_SF_bbb
	.p2align	8
	.type	_ZN9rocsparseL41csrgemm_numeric_fill_block_per_row_kernelILj1024ELj64ELj32768ELj137ELj64Eii21rocsparse_complex_numIdEEEvT5_PKS3_S5_NS_24const_host_device_scalarIT6_EEPKT4_S5_PKS7_SB_S5_SD_S8_SB_S5_SD_SB_S5_PS7_21rocsparse_index_base_SF_SF_SF_bbb,@function
_ZN9rocsparseL41csrgemm_numeric_fill_block_per_row_kernelILj1024ELj64ELj32768ELj137ELj64Eii21rocsparse_complex_numIdEEEvT5_PKS3_S5_NS_24const_host_device_scalarIT6_EEPKT4_S5_PKS7_SB_S5_SD_S8_SB_S5_SD_SB_S5_PS7_21rocsparse_index_base_SF_SF_SF_bbb: ; @_ZN9rocsparseL41csrgemm_numeric_fill_block_per_row_kernelILj1024ELj64ELj32768ELj137ELj64Eii21rocsparse_complex_numIdEEEvT5_PKS3_S5_NS_24const_host_device_scalarIT6_EEPKT4_S5_PKS7_SB_S5_SD_S8_SB_S5_SD_SB_S5_PS7_21rocsparse_index_base_SF_SF_SF_bbb
; %bb.0:
	s_clause 0x3
	s_load_b32 s14, s[0:1], 0xa8
	s_load_b128 s[4:7], s[0:1], 0x18
	s_load_b128 s[36:39], s[0:1], 0x58
	;; [unrolled: 1-line block ×3, first 2 shown]
	v_mov_b32_e32 v1, 0
	v_mov_b32_e32 v2, 0
	s_waitcnt lgkmcnt(0)
	s_bitcmp1_b32 s14, 0
	v_mov_b32_e32 v3, s4
	s_cselect_b32 s12, -1, 0
	s_bitcmp1_b32 s14, 16
	v_dual_mov_b32 v6, v2 :: v_dual_mov_b32 v5, v1
	s_cselect_b32 s2, -1, 0
	v_mov_b32_e32 v4, s5
	s_xor_b32 s13, s2, -1
	v_dual_mov_b32 v9, s36 :: v_dual_mov_b32 v10, s37
	v_cndmask_b32_e64 v7, 0, 1, s13
	s_bitcmp0_b32 s14, 0
	s_clause 0x1
	scratch_store_b64 off, v[3:4], off offset:16
	scratch_store_b64 off, v[9:10], off offset:24
	v_cmp_ne_u32_e32 vcc_lo, 1, v7
	v_dual_mov_b32 v8, v2 :: v_dual_mov_b32 v7, v1
	s_cbranch_scc1 .LBB77_3
; %bb.1:
	s_mov_b64 s[8:9], src_private_base
	s_and_b32 s3, s2, exec_lo
	s_cselect_b32 s3, s9, s5
	s_delay_alu instid0(SALU_CYCLE_1) | instskip(SKIP_2) | instid1(VALU_DEP_2)
	v_dual_mov_b32 v3, 16 :: v_dual_mov_b32 v4, s3
	v_dual_mov_b32 v8, s7 :: v_dual_mov_b32 v7, s6
	s_and_b32 vcc_lo, exec_lo, vcc_lo
	v_cndmask_b32_e64 v3, s4, v3, s2
	flat_load_b64 v[5:6], v[3:4]
	s_cbranch_vccnz .LBB77_3
; %bb.2:
	v_dual_mov_b32 v3, s4 :: v_dual_mov_b32 v4, s5
	flat_load_b64 v[7:8], v[3:4] offset:8
.LBB77_3:
	s_clause 0x4
	s_load_b64 s[34:35], s[0:1], 0x90
	s_load_b256 s[16:23], s[0:1], 0x68
	s_load_b128 s[28:31], s[0:1], 0x48
	s_load_b128 s[40:43], s[0:1], 0x8
	s_load_b256 s[4:11], s[0:1], 0x28
	s_bitcmp1_b32 s14, 8
	v_dual_mov_b32 v4, v2 :: v_dual_mov_b32 v3, v1
	s_cselect_b32 s3, -1, 0
	s_bfe_u32 s14, s14, 0x10008
	s_delay_alu instid0(SALU_CYCLE_1)
	s_cmp_eq_u32 s14, 0
	s_cbranch_scc1 .LBB77_6
; %bb.4:
	s_mov_b64 s[44:45], src_private_base
	s_and_b32 s14, s2, exec_lo
	s_cselect_b32 s14, s45, s37
	s_delay_alu instid0(SALU_CYCLE_1) | instskip(SKIP_1) | instid1(VALU_DEP_1)
	v_dual_mov_b32 v1, 24 :: v_dual_mov_b32 v2, s14
	s_and_not1_b32 vcc_lo, exec_lo, s13
	v_cndmask_b32_e64 v1, s36, v1, s2
	flat_load_b64 v[3:4], v[1:2]
	v_dual_mov_b32 v1, s38 :: v_dual_mov_b32 v2, s39
	s_cbranch_vccnz .LBB77_6
; %bb.5:
	v_dual_mov_b32 v1, s36 :: v_dual_mov_b32 v2, s37
	flat_load_b64 v[1:2], v[1:2] offset:8
.LBB77_6:
	s_load_b32 s33, s[0:1], 0x0
	s_mov_b32 s0, 0
	v_or_b32_e32 v23, 0xfffffc00, v0
	v_lshl_add_u32 v24, v0, 2, 0
	s_mov_b32 s1, s0
	s_delay_alu instid0(SALU_CYCLE_1)
	v_dual_mov_b32 v10, s1 :: v_dual_lshlrev_b32 v25, 4, v0
	s_mov_b32 s36, s0
	s_mov_b32 s37, s0
	v_dual_mov_b32 v11, s36 :: v_dual_mov_b32 v14, v24
	v_dual_mov_b32 v9, s0 :: v_dual_mov_b32 v12, s37
	v_add3_u32 v13, v25, 0, 0x20008
	s_waitcnt lgkmcnt(0)
	v_dual_mov_b32 v16, v23 :: v_dual_mov_b32 v15, s33
.LBB77_7:                               ; =>This Inner Loop Header: Depth=1
	s_delay_alu instid0(VALU_DEP_1)
	v_add_nc_u32_e32 v16, 0x400, v16
	ds_store_b32 v14, v15
	v_add_nc_u32_e32 v17, -8, v13
	v_add_nc_u32_e32 v13, 0x4000, v13
	v_add_nc_u32_e32 v14, 0x1000, v14
	v_cmp_lt_u32_e32 vcc_lo, 0x7bff, v16
	ds_store_2addr_b64 v17, v[9:10], v[11:12] offset1:1
	s_or_b32 s0, vcc_lo, s0
	s_delay_alu instid0(SALU_CYCLE_1)
	s_and_not1_b32 exec_lo, exec_lo, s0
	s_cbranch_execnz .LBB77_7
; %bb.8:
	s_or_b32 exec_lo, exec_lo, s0
	s_waitcnt vmcnt(0) lgkmcnt(0)
	s_waitcnt_vscnt null, 0x0
	s_barrier
	buffer_gl0_inv
	s_load_b32 s0, s[40:41], 0x0
	s_mov_b32 s1, 0
	v_lshrrev_b32_e32 v26, 6, v0
	s_waitcnt lgkmcnt(0)
	s_add_i32 s0, s0, s15
	s_delay_alu instid0(SALU_CYCLE_1) | instskip(NEXT) | instid1(SALU_CYCLE_1)
	s_lshl_b64 s[0:1], s[0:1], 2
	s_add_u32 s0, s42, s0
	s_addc_u32 s1, s43, s1
	s_and_b32 vcc_lo, exec_lo, s12
	s_load_b32 s36, s[0:1], 0x0
	s_cbranch_vccz .LBB77_36
; %bb.9:
	s_waitcnt lgkmcnt(0)
	s_ashr_i32 s37, s36, 31
	v_subrev_nc_u32_e32 v9, s24, v26
	s_lshl_b64 s[0:1], s[36:37], 2
	s_delay_alu instid0(SALU_CYCLE_1)
	s_add_u32 s0, s4, s0
	s_addc_u32 s1, s5, s1
	s_load_b64 s[0:1], s[0:1], 0x0
	s_waitcnt lgkmcnt(0)
	v_add_nc_u32_e32 v9, s0, v9
	s_sub_i32 s0, s1, s24
	s_mov_b32 s1, exec_lo
	s_delay_alu instid0(VALU_DEP_1)
	v_cmpx_gt_i32_e64 s0, v9
	s_cbranch_execz .LBB77_35
; %bb.10:
	v_and_b32_e32 v10, 63, v0
	s_mov_b32 s2, 0
	s_delay_alu instid0(VALU_DEP_1)
	v_subrev_nc_u32_e32 v27, s25, v10
	s_branch .LBB77_12
.LBB77_11:                              ;   in Loop: Header=BB77_12 Depth=1
	s_or_b32 exec_lo, exec_lo, s4
	v_add_nc_u32_e32 v9, 16, v9
	s_delay_alu instid0(VALU_DEP_1) | instskip(SKIP_1) | instid1(SALU_CYCLE_1)
	v_cmp_le_i32_e32 vcc_lo, s0, v9
	s_or_b32 s2, vcc_lo, s2
	s_and_not1_b32 exec_lo, exec_lo, s2
	s_cbranch_execz .LBB77_35
.LBB77_12:                              ; =>This Loop Header: Depth=1
                                        ;     Child Loop BB77_15 Depth 2
                                        ;       Child Loop BB77_17 Depth 3
                                        ;         Child Loop BB77_23 Depth 4
                                        ;         Child Loop BB77_25 Depth 4
	;; [unrolled: 1-line block ×4, first 2 shown]
	v_ashrrev_i32_e32 v10, 31, v9
	s_mov_b32 s4, exec_lo
	s_delay_alu instid0(VALU_DEP_1) | instskip(NEXT) | instid1(VALU_DEP_1)
	v_lshlrev_b64 v[11:12], 2, v[9:10]
	v_add_co_u32 v11, vcc_lo, s6, v11
	s_delay_alu instid0(VALU_DEP_2) | instskip(SKIP_3) | instid1(VALU_DEP_1)
	v_add_co_ci_u32_e32 v12, vcc_lo, s7, v12, vcc_lo
	global_load_b32 v11, v[11:12], off
	s_waitcnt vmcnt(0)
	v_subrev_nc_u32_e32 v11, s24, v11
	v_ashrrev_i32_e32 v12, 31, v11
	s_delay_alu instid0(VALU_DEP_1) | instskip(NEXT) | instid1(VALU_DEP_1)
	v_lshlrev_b64 v[11:12], 2, v[11:12]
	v_add_co_u32 v11, vcc_lo, s10, v11
	s_delay_alu instid0(VALU_DEP_2) | instskip(SKIP_4) | instid1(VALU_DEP_1)
	v_add_co_ci_u32_e32 v12, vcc_lo, s11, v12, vcc_lo
	global_load_b64 v[11:12], v[11:12], off
	s_waitcnt vmcnt(0)
	v_subrev_nc_u32_e32 v28, s25, v12
	v_add_nc_u32_e32 v11, v11, v27
	v_cmpx_lt_i32_e64 v11, v28
	s_cbranch_execz .LBB77_11
; %bb.13:                               ;   in Loop: Header=BB77_12 Depth=1
	v_lshlrev_b64 v[12:13], 4, v[9:10]
	s_mov_b32 s5, 0
	s_delay_alu instid0(VALU_DEP_1) | instskip(NEXT) | instid1(VALU_DEP_2)
	v_add_co_u32 v12, vcc_lo, s8, v12
	v_add_co_ci_u32_e32 v13, vcc_lo, s9, v13, vcc_lo
	global_load_b128 v[15:18], v[12:13], off
	s_waitcnt vmcnt(0)
	v_mul_f64 v[12:13], v[17:18], -v[7:8]
	v_mul_f64 v[17:18], v[5:6], v[17:18]
	s_delay_alu instid0(VALU_DEP_2) | instskip(NEXT) | instid1(VALU_DEP_2)
	v_fma_f64 v[13:14], v[5:6], v[15:16], v[12:13]
	v_fma_f64 v[15:16], v[7:8], v[15:16], v[17:18]
	s_branch .LBB77_15
.LBB77_14:                              ;   in Loop: Header=BB77_15 Depth=2
	s_or_b32 exec_lo, exec_lo, s12
	v_add_nc_u32_e32 v11, 64, v11
	s_delay_alu instid0(VALU_DEP_1) | instskip(SKIP_1) | instid1(SALU_CYCLE_1)
	v_cmp_ge_i32_e32 vcc_lo, v11, v28
	s_or_b32 s5, vcc_lo, s5
	s_and_not1_b32 exec_lo, exec_lo, s5
	s_cbranch_execz .LBB77_11
.LBB77_15:                              ;   Parent Loop BB77_12 Depth=1
                                        ; =>  This Loop Header: Depth=2
                                        ;       Child Loop BB77_17 Depth 3
                                        ;         Child Loop BB77_23 Depth 4
                                        ;         Child Loop BB77_25 Depth 4
	;; [unrolled: 1-line block ×4, first 2 shown]
	v_ashrrev_i32_e32 v12, 31, v11
	s_mov_b32 s12, 0
	s_delay_alu instid0(VALU_DEP_1) | instskip(NEXT) | instid1(VALU_DEP_1)
	v_lshlrev_b64 v[17:18], 4, v[11:12]
	v_add_co_u32 v17, vcc_lo, s30, v17
	s_delay_alu instid0(VALU_DEP_2) | instskip(SKIP_2) | instid1(VALU_DEP_1)
	v_add_co_ci_u32_e32 v18, vcc_lo, s31, v18, vcc_lo
	global_load_b128 v[19:22], v[17:18], off
	v_lshlrev_b64 v[17:18], 2, v[11:12]
	v_add_co_u32 v17, vcc_lo, s28, v17
	s_delay_alu instid0(VALU_DEP_2)
	v_add_co_ci_u32_e32 v18, vcc_lo, s29, v18, vcc_lo
	global_load_b32 v10, v[17:18], off
	s_waitcnt vmcnt(1)
	v_mul_f64 v[17:18], v[21:22], -v[15:16]
	v_mul_f64 v[21:22], v[13:14], v[21:22]
	s_waitcnt vmcnt(0)
	v_subrev_nc_u32_e32 v10, s25, v10
	s_delay_alu instid0(VALU_DEP_1) | instskip(NEXT) | instid1(VALU_DEP_1)
	v_mul_lo_u32 v12, 0x89, v10
	v_and_b32_e32 v12, 0x7fff, v12
	v_fma_f64 v[17:18], v[13:14], v[19:20], v[17:18]
	v_fma_f64 v[19:20], v[15:16], v[19:20], v[21:22]
	s_branch .LBB77_17
.LBB77_16:                              ;   in Loop: Header=BB77_17 Depth=3
	s_or_b32 exec_lo, exec_lo, s13
	s_xor_b32 s13, s14, -1
	s_delay_alu instid0(SALU_CYCLE_1) | instskip(NEXT) | instid1(SALU_CYCLE_1)
	s_and_b32 s13, exec_lo, s13
	s_or_b32 s12, s13, s12
	s_delay_alu instid0(SALU_CYCLE_1)
	s_and_not1_b32 exec_lo, exec_lo, s12
	s_cbranch_execz .LBB77_14
.LBB77_17:                              ;   Parent Loop BB77_12 Depth=1
                                        ;     Parent Loop BB77_15 Depth=2
                                        ; =>    This Loop Header: Depth=3
                                        ;         Child Loop BB77_23 Depth 4
                                        ;         Child Loop BB77_25 Depth 4
	;; [unrolled: 1-line block ×4, first 2 shown]
	s_delay_alu instid0(VALU_DEP_3)
	v_lshl_add_u32 v21, v12, 2, 0
	s_mov_b32 s13, exec_lo
                                        ; implicit-def: $sgpr14
	ds_load_b32 v22, v21
	s_waitcnt lgkmcnt(0)
	v_cmpx_ne_u32_e64 v22, v10
	s_xor_b32 s13, exec_lo, s13
	s_cbranch_execz .LBB77_29
; %bb.18:                               ;   in Loop: Header=BB77_17 Depth=3
	s_mov_b32 s15, exec_lo
                                        ; implicit-def: $sgpr14
	v_cmpx_ne_u32_e64 s33, v22
	s_xor_b32 s15, exec_lo, s15
; %bb.19:                               ;   in Loop: Header=BB77_17 Depth=3
	v_add_nc_u32_e32 v12, 1, v12
	s_mov_b32 s14, -1
                                        ; implicit-def: $vgpr21
	s_delay_alu instid0(VALU_DEP_1)
	v_and_b32_e32 v12, 0x7fff, v12
; %bb.20:                               ;   in Loop: Header=BB77_17 Depth=3
	s_and_not1_saveexec_b32 s15, s15
	s_cbranch_execz .LBB77_28
; %bb.21:                               ;   in Loop: Header=BB77_17 Depth=3
	v_mov_b32_e32 v22, s33
	s_mov_b32 s38, -1
	s_mov_b32 s37, exec_lo
	ds_cmpstore_rtn_b32 v21, v21, v10, v22
	s_waitcnt lgkmcnt(0)
	v_cmpx_eq_u32_e64 s33, v21
	s_cbranch_execz .LBB77_27
; %bb.22:                               ;   in Loop: Header=BB77_17 Depth=3
	v_lshlrev_b32_e32 v21, 4, v12
	s_mov_b32 s38, 0
	s_delay_alu instid0(VALU_DEP_1)
	v_add3_u32 v29, 0, v21, 0x20000
	ds_load_b64 v[21:22], v29
.LBB77_23:                              ;   Parent Loop BB77_12 Depth=1
                                        ;     Parent Loop BB77_15 Depth=2
                                        ;       Parent Loop BB77_17 Depth=3
                                        ; =>      This Inner Loop Header: Depth=4
	s_waitcnt lgkmcnt(0)
	v_add_f64 v[30:31], v[21:22], v[17:18]
	ds_cmpstore_rtn_b64 v[30:31], v29, v[30:31], v[21:22]
	s_waitcnt lgkmcnt(0)
	v_cmp_eq_u64_e32 vcc_lo, v[30:31], v[21:22]
	v_dual_mov_b32 v21, v30 :: v_dual_mov_b32 v22, v31
	s_or_b32 s38, vcc_lo, s38
	s_delay_alu instid0(SALU_CYCLE_1)
	s_and_not1_b32 exec_lo, exec_lo, s38
	s_cbranch_execnz .LBB77_23
; %bb.24:                               ;   in Loop: Header=BB77_17 Depth=3
	s_or_b32 exec_lo, exec_lo, s38
	ds_load_b64 v[21:22], v29 offset:8
	s_mov_b32 s38, 0
.LBB77_25:                              ;   Parent Loop BB77_12 Depth=1
                                        ;     Parent Loop BB77_15 Depth=2
                                        ;       Parent Loop BB77_17 Depth=3
                                        ; =>      This Inner Loop Header: Depth=4
	s_waitcnt lgkmcnt(0)
	v_add_f64 v[30:31], v[21:22], v[19:20]
	ds_cmpstore_rtn_b64 v[30:31], v29, v[30:31], v[21:22] offset:8
	s_waitcnt lgkmcnt(0)
	v_cmp_eq_u64_e32 vcc_lo, v[30:31], v[21:22]
	v_dual_mov_b32 v21, v30 :: v_dual_mov_b32 v22, v31
	s_or_b32 s38, vcc_lo, s38
	s_delay_alu instid0(SALU_CYCLE_1)
	s_and_not1_b32 exec_lo, exec_lo, s38
	s_cbranch_execnz .LBB77_25
; %bb.26:                               ;   in Loop: Header=BB77_17 Depth=3
	s_or_b32 exec_lo, exec_lo, s38
	s_delay_alu instid0(SALU_CYCLE_1)
	s_xor_b32 s38, exec_lo, -1
.LBB77_27:                              ;   in Loop: Header=BB77_17 Depth=3
	s_or_b32 exec_lo, exec_lo, s37
	s_delay_alu instid0(SALU_CYCLE_1) | instskip(SKIP_1) | instid1(SALU_CYCLE_1)
	s_and_not1_b32 s14, s14, exec_lo
	s_and_b32 s37, s38, exec_lo
	s_or_b32 s14, s14, s37
.LBB77_28:                              ;   in Loop: Header=BB77_17 Depth=3
	s_or_b32 exec_lo, exec_lo, s15
	s_delay_alu instid0(SALU_CYCLE_1)
	s_and_b32 s14, s14, exec_lo
.LBB77_29:                              ;   in Loop: Header=BB77_17 Depth=3
	s_and_not1_saveexec_b32 s13, s13
	s_cbranch_execz .LBB77_16
; %bb.30:                               ;   in Loop: Header=BB77_17 Depth=3
	v_lshlrev_b32_e32 v21, 4, v12
	s_mov_b32 s15, 0
	s_delay_alu instid0(VALU_DEP_1)
	v_add3_u32 v29, 0, v21, 0x20000
	ds_load_b64 v[21:22], v29
.LBB77_31:                              ;   Parent Loop BB77_12 Depth=1
                                        ;     Parent Loop BB77_15 Depth=2
                                        ;       Parent Loop BB77_17 Depth=3
                                        ; =>      This Inner Loop Header: Depth=4
	s_waitcnt lgkmcnt(0)
	v_add_f64 v[30:31], v[21:22], v[17:18]
	ds_cmpstore_rtn_b64 v[30:31], v29, v[30:31], v[21:22]
	s_waitcnt lgkmcnt(0)
	v_cmp_eq_u64_e32 vcc_lo, v[30:31], v[21:22]
	v_dual_mov_b32 v21, v30 :: v_dual_mov_b32 v22, v31
	s_or_b32 s15, vcc_lo, s15
	s_delay_alu instid0(SALU_CYCLE_1)
	s_and_not1_b32 exec_lo, exec_lo, s15
	s_cbranch_execnz .LBB77_31
; %bb.32:                               ;   in Loop: Header=BB77_17 Depth=3
	s_or_b32 exec_lo, exec_lo, s15
	ds_load_b64 v[21:22], v29 offset:8
	s_mov_b32 s15, 0
.LBB77_33:                              ;   Parent Loop BB77_12 Depth=1
                                        ;     Parent Loop BB77_15 Depth=2
                                        ;       Parent Loop BB77_17 Depth=3
                                        ; =>      This Inner Loop Header: Depth=4
	s_waitcnt lgkmcnt(0)
	v_add_f64 v[30:31], v[21:22], v[19:20]
	ds_cmpstore_rtn_b64 v[30:31], v29, v[30:31], v[21:22] offset:8
	s_waitcnt lgkmcnt(0)
	v_cmp_eq_u64_e32 vcc_lo, v[30:31], v[21:22]
	v_dual_mov_b32 v21, v30 :: v_dual_mov_b32 v22, v31
	s_or_b32 s15, vcc_lo, s15
	s_delay_alu instid0(SALU_CYCLE_1)
	s_and_not1_b32 exec_lo, exec_lo, s15
	s_cbranch_execnz .LBB77_33
; %bb.34:                               ;   in Loop: Header=BB77_17 Depth=3
	s_or_b32 exec_lo, exec_lo, s15
	s_delay_alu instid0(SALU_CYCLE_1)
	s_and_not1_b32 s14, s14, exec_lo
	s_branch .LBB77_16
.LBB77_35:
	s_or_b32 exec_lo, exec_lo, s1
.LBB77_36:
	s_delay_alu instid0(SALU_CYCLE_1)
	s_and_not1_b32 vcc_lo, exec_lo, s3
	s_cbranch_vccnz .LBB77_61
; %bb.37:
	s_waitcnt lgkmcnt(0)
	s_ashr_i32 s37, s36, 31
	v_subrev_nc_u32_e32 v5, s27, v0
	s_lshl_b64 s[0:1], s[36:37], 2
	s_delay_alu instid0(SALU_CYCLE_1)
	s_add_u32 s0, s16, s0
	s_addc_u32 s1, s17, s1
	s_load_b64 s[0:1], s[0:1], 0x0
	s_waitcnt lgkmcnt(0)
	v_add_nc_u32_e32 v5, s0, v5
	s_sub_i32 s0, s1, s27
	s_mov_b32 s1, exec_lo
	s_delay_alu instid0(VALU_DEP_1)
	v_cmpx_gt_i32_e64 s0, v5
	s_cbranch_execz .LBB77_60
; %bb.38:
	s_mov_b32 s2, 0
	s_branch .LBB77_40
.LBB77_39:                              ;   in Loop: Header=BB77_40 Depth=1
	s_or_b32 exec_lo, exec_lo, s3
	v_add_nc_u32_e32 v5, 0x400, v5
	s_delay_alu instid0(VALU_DEP_1) | instskip(SKIP_1) | instid1(SALU_CYCLE_1)
	v_cmp_le_i32_e32 vcc_lo, s0, v5
	s_or_b32 s2, vcc_lo, s2
	s_and_not1_b32 exec_lo, exec_lo, s2
	s_cbranch_execz .LBB77_60
.LBB77_40:                              ; =>This Loop Header: Depth=1
                                        ;     Child Loop BB77_42 Depth 2
                                        ;       Child Loop BB77_48 Depth 3
                                        ;       Child Loop BB77_50 Depth 3
	;; [unrolled: 1-line block ×4, first 2 shown]
	v_ashrrev_i32_e32 v6, 31, v5
	s_mov_b32 s3, 0
	s_delay_alu instid0(VALU_DEP_1) | instskip(NEXT) | instid1(VALU_DEP_1)
	v_lshlrev_b64 v[7:8], 4, v[5:6]
	v_add_co_u32 v7, vcc_lo, s20, v7
	s_delay_alu instid0(VALU_DEP_2) | instskip(SKIP_2) | instid1(VALU_DEP_1)
	v_add_co_ci_u32_e32 v8, vcc_lo, s21, v8, vcc_lo
	global_load_b128 v[8:11], v[7:8], off
	v_lshlrev_b64 v[6:7], 2, v[5:6]
	v_add_co_u32 v6, vcc_lo, s18, v6
	s_delay_alu instid0(VALU_DEP_2)
	v_add_co_ci_u32_e32 v7, vcc_lo, s19, v7, vcc_lo
	global_load_b32 v12, v[6:7], off
	s_waitcnt vmcnt(1)
	v_mul_f64 v[6:7], v[10:11], -v[1:2]
	v_mul_f64 v[10:11], v[3:4], v[10:11]
	s_waitcnt vmcnt(0)
	v_subrev_nc_u32_e32 v12, s27, v12
	s_delay_alu instid0(VALU_DEP_3) | instskip(NEXT) | instid1(VALU_DEP_3)
	v_fma_f64 v[6:7], v[3:4], v[8:9], v[6:7]
	v_fma_f64 v[8:9], v[1:2], v[8:9], v[10:11]
	s_delay_alu instid0(VALU_DEP_3) | instskip(NEXT) | instid1(VALU_DEP_1)
	v_mul_lo_u32 v10, 0x89, v12
	v_and_b32_e32 v13, 0x7fff, v10
	s_branch .LBB77_42
.LBB77_41:                              ;   in Loop: Header=BB77_42 Depth=2
	s_or_b32 exec_lo, exec_lo, s4
	s_xor_b32 s4, s5, -1
	s_delay_alu instid0(SALU_CYCLE_1) | instskip(NEXT) | instid1(SALU_CYCLE_1)
	s_and_b32 s4, exec_lo, s4
	s_or_b32 s3, s4, s3
	s_delay_alu instid0(SALU_CYCLE_1)
	s_and_not1_b32 exec_lo, exec_lo, s3
	s_cbranch_execz .LBB77_39
.LBB77_42:                              ;   Parent Loop BB77_40 Depth=1
                                        ; =>  This Loop Header: Depth=2
                                        ;       Child Loop BB77_48 Depth 3
                                        ;       Child Loop BB77_50 Depth 3
	;; [unrolled: 1-line block ×4, first 2 shown]
	s_delay_alu instid0(VALU_DEP_1)
	v_lshl_add_u32 v10, v13, 2, 0
	s_mov_b32 s4, exec_lo
                                        ; implicit-def: $sgpr5
	ds_load_b32 v11, v10
	s_waitcnt lgkmcnt(0)
	v_cmpx_ne_u32_e64 v11, v12
	s_xor_b32 s4, exec_lo, s4
	s_cbranch_execz .LBB77_54
; %bb.43:                               ;   in Loop: Header=BB77_42 Depth=2
	s_mov_b32 s6, exec_lo
                                        ; implicit-def: $sgpr5
	v_cmpx_ne_u32_e64 s33, v11
	s_xor_b32 s6, exec_lo, s6
; %bb.44:                               ;   in Loop: Header=BB77_42 Depth=2
	v_add_nc_u32_e32 v10, 1, v13
	s_mov_b32 s5, -1
	s_delay_alu instid0(VALU_DEP_1)
	v_and_b32_e32 v13, 0x7fff, v10
                                        ; implicit-def: $vgpr10
; %bb.45:                               ;   in Loop: Header=BB77_42 Depth=2
	s_and_not1_saveexec_b32 s6, s6
	s_cbranch_execz .LBB77_53
; %bb.46:                               ;   in Loop: Header=BB77_42 Depth=2
	v_mov_b32_e32 v11, s33
	s_mov_b32 s8, -1
	s_mov_b32 s7, exec_lo
	ds_cmpstore_rtn_b32 v10, v10, v12, v11
	s_waitcnt lgkmcnt(0)
	v_cmpx_eq_u32_e64 s33, v10
	s_cbranch_execz .LBB77_52
; %bb.47:                               ;   in Loop: Header=BB77_42 Depth=2
	v_lshlrev_b32_e32 v10, 4, v13
	s_mov_b32 s8, 0
	s_delay_alu instid0(VALU_DEP_1)
	v_add3_u32 v14, 0, v10, 0x20000
	ds_load_b64 v[10:11], v14
.LBB77_48:                              ;   Parent Loop BB77_40 Depth=1
                                        ;     Parent Loop BB77_42 Depth=2
                                        ; =>    This Inner Loop Header: Depth=3
	s_waitcnt lgkmcnt(0)
	v_add_f64 v[15:16], v[10:11], v[6:7]
	ds_cmpstore_rtn_b64 v[15:16], v14, v[15:16], v[10:11]
	s_waitcnt lgkmcnt(0)
	v_cmp_eq_u64_e32 vcc_lo, v[15:16], v[10:11]
	v_dual_mov_b32 v10, v15 :: v_dual_mov_b32 v11, v16
	s_or_b32 s8, vcc_lo, s8
	s_delay_alu instid0(SALU_CYCLE_1)
	s_and_not1_b32 exec_lo, exec_lo, s8
	s_cbranch_execnz .LBB77_48
; %bb.49:                               ;   in Loop: Header=BB77_42 Depth=2
	s_or_b32 exec_lo, exec_lo, s8
	ds_load_b64 v[10:11], v14 offset:8
	s_mov_b32 s8, 0
.LBB77_50:                              ;   Parent Loop BB77_40 Depth=1
                                        ;     Parent Loop BB77_42 Depth=2
                                        ; =>    This Inner Loop Header: Depth=3
	s_waitcnt lgkmcnt(0)
	v_add_f64 v[15:16], v[10:11], v[8:9]
	ds_cmpstore_rtn_b64 v[15:16], v14, v[15:16], v[10:11] offset:8
	s_waitcnt lgkmcnt(0)
	v_cmp_eq_u64_e32 vcc_lo, v[15:16], v[10:11]
	v_dual_mov_b32 v10, v15 :: v_dual_mov_b32 v11, v16
	s_or_b32 s8, vcc_lo, s8
	s_delay_alu instid0(SALU_CYCLE_1)
	s_and_not1_b32 exec_lo, exec_lo, s8
	s_cbranch_execnz .LBB77_50
; %bb.51:                               ;   in Loop: Header=BB77_42 Depth=2
	s_or_b32 exec_lo, exec_lo, s8
	s_delay_alu instid0(SALU_CYCLE_1)
	s_xor_b32 s8, exec_lo, -1
.LBB77_52:                              ;   in Loop: Header=BB77_42 Depth=2
	s_or_b32 exec_lo, exec_lo, s7
	s_delay_alu instid0(SALU_CYCLE_1) | instskip(SKIP_1) | instid1(SALU_CYCLE_1)
	s_and_not1_b32 s5, s5, exec_lo
	s_and_b32 s7, s8, exec_lo
	s_or_b32 s5, s5, s7
.LBB77_53:                              ;   in Loop: Header=BB77_42 Depth=2
	s_or_b32 exec_lo, exec_lo, s6
	s_delay_alu instid0(SALU_CYCLE_1)
	s_and_b32 s5, s5, exec_lo
.LBB77_54:                              ;   in Loop: Header=BB77_42 Depth=2
	s_and_not1_saveexec_b32 s4, s4
	s_cbranch_execz .LBB77_41
; %bb.55:                               ;   in Loop: Header=BB77_42 Depth=2
	v_lshlrev_b32_e32 v10, 4, v13
	s_mov_b32 s6, 0
	s_delay_alu instid0(VALU_DEP_1)
	v_add3_u32 v14, 0, v10, 0x20000
	ds_load_b64 v[10:11], v14
.LBB77_56:                              ;   Parent Loop BB77_40 Depth=1
                                        ;     Parent Loop BB77_42 Depth=2
                                        ; =>    This Inner Loop Header: Depth=3
	s_waitcnt lgkmcnt(0)
	v_add_f64 v[15:16], v[10:11], v[6:7]
	ds_cmpstore_rtn_b64 v[15:16], v14, v[15:16], v[10:11]
	s_waitcnt lgkmcnt(0)
	v_cmp_eq_u64_e32 vcc_lo, v[15:16], v[10:11]
	v_dual_mov_b32 v10, v15 :: v_dual_mov_b32 v11, v16
	s_or_b32 s6, vcc_lo, s6
	s_delay_alu instid0(SALU_CYCLE_1)
	s_and_not1_b32 exec_lo, exec_lo, s6
	s_cbranch_execnz .LBB77_56
; %bb.57:                               ;   in Loop: Header=BB77_42 Depth=2
	s_or_b32 exec_lo, exec_lo, s6
	ds_load_b64 v[10:11], v14 offset:8
	s_mov_b32 s6, 0
.LBB77_58:                              ;   Parent Loop BB77_40 Depth=1
                                        ;     Parent Loop BB77_42 Depth=2
                                        ; =>    This Inner Loop Header: Depth=3
	s_waitcnt lgkmcnt(0)
	v_add_f64 v[15:16], v[10:11], v[8:9]
	ds_cmpstore_rtn_b64 v[15:16], v14, v[15:16], v[10:11] offset:8
	s_waitcnt lgkmcnt(0)
	v_cmp_eq_u64_e32 vcc_lo, v[15:16], v[10:11]
	v_dual_mov_b32 v10, v15 :: v_dual_mov_b32 v11, v16
	s_or_b32 s6, vcc_lo, s6
	s_delay_alu instid0(SALU_CYCLE_1)
	s_and_not1_b32 exec_lo, exec_lo, s6
	s_cbranch_execnz .LBB77_58
; %bb.59:                               ;   in Loop: Header=BB77_42 Depth=2
	s_or_b32 exec_lo, exec_lo, s6
	s_delay_alu instid0(SALU_CYCLE_1)
	s_and_not1_b32 s5, s5, exec_lo
	s_branch .LBB77_41
.LBB77_60:
	s_or_b32 exec_lo, exec_lo, s1
.LBB77_61:
	v_mbcnt_lo_u32_b32 v1, -1, 0
	s_add_i32 s31, 0, 0xa003c
	s_delay_alu instid0(SALU_CYCLE_1) | instskip(SKIP_1) | instid1(VALU_DEP_3)
	v_dual_mov_b32 v5, s31 :: v_dual_lshlrev_b32 v2, 2, v26
	v_cmp_eq_u32_e32 vcc_lo, 0x3ff, v0
	v_xor_b32_e32 v1, 63, v1
	v_cmp_lt_u32_e64 s0, 63, v0
	s_delay_alu instid0(VALU_DEP_4)
	v_add3_u32 v3, 0, 0xa0000, v2
	v_cmp_lt_u32_e64 s1, 0x7f, v0
	v_cmp_lt_u32_e64 s2, 0xbf, v0
	v_lshrrev_b64 v[1:2], v1, -1
	v_cmp_lt_u32_e64 s3, 0xff, v0
	v_cmp_lt_u32_e64 s4, 0x13f, v0
	;; [unrolled: 1-line block ×12, first 2 shown]
	v_add3_u32 v2, v25, 0, 0x20000
	v_mov_b32_e32 v4, 0
	s_mov_b32 s16, 0
	s_add_i32 s17, 0, 0xa0000
	s_add_i32 s18, 0, 0xa0004
	;; [unrolled: 1-line block ×15, first 2 shown]
	s_waitcnt lgkmcnt(0)
	s_barrier
	buffer_gl0_inv
	s_branch .LBB77_63
.LBB77_62:                              ;   in Loop: Header=BB77_63 Depth=1
	s_or_b32 exec_lo, exec_lo, s15
	s_waitcnt lgkmcnt(0)
	s_barrier
	buffer_gl0_inv
	ds_load_b32 v6, v5
	v_add_nc_u32_e32 v23, 0x400, v23
	v_add_nc_u32_e32 v2, 0x4000, v2
	;; [unrolled: 1-line block ×3, first 2 shown]
	s_delay_alu instid0(VALU_DEP_3) | instskip(NEXT) | instid1(VALU_DEP_1)
	v_cmp_lt_u32_e64 s15, 0x7bff, v23
	s_or_b32 s16, s15, s16
	s_waitcnt lgkmcnt(0)
	v_add_nc_u32_e32 v4, v6, v4
	s_and_not1_b32 exec_lo, exec_lo, s16
	s_cbranch_execz .LBB77_97
.LBB77_63:                              ; =>This Inner Loop Header: Depth=1
	ds_load_b32 v6, v24
	ds_load_2addr_b64 v[7:10], v2 offset1:1
	s_waitcnt lgkmcnt(1)
	v_cmp_gt_i32_e64 s15, s33, v6
	s_waitcnt lgkmcnt(0)
	scratch_store_b128 off, v[7:10], off
	s_waitcnt_vscnt null, 0x0
	s_barrier
	buffer_gl0_inv
	s_bcnt1_i32_b32 s41, s15
	s_delay_alu instid0(SALU_CYCLE_1) | instskip(NEXT) | instid1(VALU_DEP_1)
	v_dual_mov_b32 v8, s41 :: v_dual_and_b32 v7, s15, v1
	v_bcnt_u32_b32 v7, v7, 0
	ds_store_b32 v3, v8
	s_waitcnt lgkmcnt(0)
	s_barrier
	buffer_gl0_inv
	s_and_saveexec_b32 s41, s0
	s_cbranch_execnz .LBB77_80
; %bb.64:                               ;   in Loop: Header=BB77_63 Depth=1
	s_or_b32 exec_lo, exec_lo, s41
	s_and_saveexec_b32 s41, s1
	s_cbranch_execnz .LBB77_81
.LBB77_65:                              ;   in Loop: Header=BB77_63 Depth=1
	s_or_b32 exec_lo, exec_lo, s41
	s_and_saveexec_b32 s41, s2
	s_cbranch_execnz .LBB77_82
.LBB77_66:                              ;   in Loop: Header=BB77_63 Depth=1
	s_or_b32 exec_lo, exec_lo, s41
	s_and_saveexec_b32 s41, s3
	s_cbranch_execnz .LBB77_83
.LBB77_67:                              ;   in Loop: Header=BB77_63 Depth=1
	s_or_b32 exec_lo, exec_lo, s41
	s_and_saveexec_b32 s41, s4
	s_cbranch_execnz .LBB77_84
.LBB77_68:                              ;   in Loop: Header=BB77_63 Depth=1
	s_or_b32 exec_lo, exec_lo, s41
	s_and_saveexec_b32 s41, s5
	s_cbranch_execnz .LBB77_85
.LBB77_69:                              ;   in Loop: Header=BB77_63 Depth=1
	s_or_b32 exec_lo, exec_lo, s41
	s_and_saveexec_b32 s41, s6
	s_cbranch_execnz .LBB77_86
.LBB77_70:                              ;   in Loop: Header=BB77_63 Depth=1
	s_or_b32 exec_lo, exec_lo, s41
	s_and_saveexec_b32 s41, s7
	s_cbranch_execnz .LBB77_87
.LBB77_71:                              ;   in Loop: Header=BB77_63 Depth=1
	s_or_b32 exec_lo, exec_lo, s41
	s_and_saveexec_b32 s41, s8
	s_cbranch_execnz .LBB77_88
.LBB77_72:                              ;   in Loop: Header=BB77_63 Depth=1
	s_or_b32 exec_lo, exec_lo, s41
	s_and_saveexec_b32 s41, s9
	s_cbranch_execnz .LBB77_89
.LBB77_73:                              ;   in Loop: Header=BB77_63 Depth=1
	s_or_b32 exec_lo, exec_lo, s41
	s_and_saveexec_b32 s41, s10
	s_cbranch_execnz .LBB77_90
.LBB77_74:                              ;   in Loop: Header=BB77_63 Depth=1
	s_or_b32 exec_lo, exec_lo, s41
	s_and_saveexec_b32 s41, s11
	s_cbranch_execnz .LBB77_91
.LBB77_75:                              ;   in Loop: Header=BB77_63 Depth=1
	s_or_b32 exec_lo, exec_lo, s41
	s_and_saveexec_b32 s41, s12
	s_cbranch_execnz .LBB77_92
.LBB77_76:                              ;   in Loop: Header=BB77_63 Depth=1
	s_or_b32 exec_lo, exec_lo, s41
	s_and_saveexec_b32 s41, s13
	s_cbranch_execnz .LBB77_93
.LBB77_77:                              ;   in Loop: Header=BB77_63 Depth=1
	s_or_b32 exec_lo, exec_lo, s41
	s_and_saveexec_b32 s41, s14
	s_cbranch_execnz .LBB77_94
.LBB77_78:                              ;   in Loop: Header=BB77_63 Depth=1
	s_or_b32 exec_lo, exec_lo, s41
	s_and_saveexec_b32 s41, s15
	s_cbranch_execnz .LBB77_95
.LBB77_79:                              ;   in Loop: Header=BB77_63 Depth=1
	s_or_b32 exec_lo, exec_lo, s41
	s_and_saveexec_b32 s15, vcc_lo
	s_cbranch_execz .LBB77_62
	s_branch .LBB77_96
.LBB77_80:                              ;   in Loop: Header=BB77_63 Depth=1
	v_mov_b32_e32 v8, s17
	ds_load_b32 v8, v8
	s_waitcnt lgkmcnt(0)
	v_add_nc_u32_e32 v7, v8, v7
	s_or_b32 exec_lo, exec_lo, s41
	s_and_saveexec_b32 s41, s1
	s_cbranch_execz .LBB77_65
.LBB77_81:                              ;   in Loop: Header=BB77_63 Depth=1
	v_mov_b32_e32 v8, s18
	ds_load_b32 v8, v8
	s_waitcnt lgkmcnt(0)
	v_add_nc_u32_e32 v7, v8, v7
	s_or_b32 exec_lo, exec_lo, s41
	s_and_saveexec_b32 s41, s2
	s_cbranch_execz .LBB77_66
.LBB77_82:                              ;   in Loop: Header=BB77_63 Depth=1
	v_mov_b32_e32 v8, s19
	ds_load_b32 v8, v8
	s_waitcnt lgkmcnt(0)
	v_add_nc_u32_e32 v7, v8, v7
	s_or_b32 exec_lo, exec_lo, s41
	s_and_saveexec_b32 s41, s3
	s_cbranch_execz .LBB77_67
.LBB77_83:                              ;   in Loop: Header=BB77_63 Depth=1
	v_mov_b32_e32 v8, s20
	ds_load_b32 v8, v8
	s_waitcnt lgkmcnt(0)
	v_add_nc_u32_e32 v7, v8, v7
	s_or_b32 exec_lo, exec_lo, s41
	s_and_saveexec_b32 s41, s4
	s_cbranch_execz .LBB77_68
.LBB77_84:                              ;   in Loop: Header=BB77_63 Depth=1
	v_mov_b32_e32 v8, s21
	ds_load_b32 v8, v8
	s_waitcnt lgkmcnt(0)
	v_add_nc_u32_e32 v7, v8, v7
	s_or_b32 exec_lo, exec_lo, s41
	s_and_saveexec_b32 s41, s5
	s_cbranch_execz .LBB77_69
.LBB77_85:                              ;   in Loop: Header=BB77_63 Depth=1
	v_mov_b32_e32 v8, s24
	ds_load_b32 v8, v8
	s_waitcnt lgkmcnt(0)
	v_add_nc_u32_e32 v7, v8, v7
	s_or_b32 exec_lo, exec_lo, s41
	s_and_saveexec_b32 s41, s6
	s_cbranch_execz .LBB77_70
.LBB77_86:                              ;   in Loop: Header=BB77_63 Depth=1
	v_mov_b32_e32 v8, s25
	ds_load_b32 v8, v8
	s_waitcnt lgkmcnt(0)
	v_add_nc_u32_e32 v7, v8, v7
	s_or_b32 exec_lo, exec_lo, s41
	s_and_saveexec_b32 s41, s7
	s_cbranch_execz .LBB77_71
.LBB77_87:                              ;   in Loop: Header=BB77_63 Depth=1
	v_mov_b32_e32 v8, s27
	ds_load_b32 v8, v8
	s_waitcnt lgkmcnt(0)
	v_add_nc_u32_e32 v7, v8, v7
	s_or_b32 exec_lo, exec_lo, s41
	s_and_saveexec_b32 s41, s8
	s_cbranch_execz .LBB77_72
.LBB77_88:                              ;   in Loop: Header=BB77_63 Depth=1
	v_mov_b32_e32 v8, s28
	ds_load_b32 v8, v8
	s_waitcnt lgkmcnt(0)
	v_add_nc_u32_e32 v7, v8, v7
	s_or_b32 exec_lo, exec_lo, s41
	s_and_saveexec_b32 s41, s9
	s_cbranch_execz .LBB77_73
.LBB77_89:                              ;   in Loop: Header=BB77_63 Depth=1
	v_mov_b32_e32 v8, s29
	ds_load_b32 v8, v8
	s_waitcnt lgkmcnt(0)
	v_add_nc_u32_e32 v7, v8, v7
	s_or_b32 exec_lo, exec_lo, s41
	s_and_saveexec_b32 s41, s10
	s_cbranch_execz .LBB77_74
.LBB77_90:                              ;   in Loop: Header=BB77_63 Depth=1
	v_mov_b32_e32 v8, s30
	ds_load_b32 v8, v8
	s_waitcnt lgkmcnt(0)
	v_add_nc_u32_e32 v7, v8, v7
	s_or_b32 exec_lo, exec_lo, s41
	s_and_saveexec_b32 s41, s11
	s_cbranch_execz .LBB77_75
.LBB77_91:                              ;   in Loop: Header=BB77_63 Depth=1
	v_mov_b32_e32 v8, s37
	ds_load_b32 v8, v8
	s_waitcnt lgkmcnt(0)
	v_add_nc_u32_e32 v7, v8, v7
	s_or_b32 exec_lo, exec_lo, s41
	s_and_saveexec_b32 s41, s12
	s_cbranch_execz .LBB77_76
.LBB77_92:                              ;   in Loop: Header=BB77_63 Depth=1
	v_mov_b32_e32 v8, s38
	ds_load_b32 v8, v8
	s_waitcnt lgkmcnt(0)
	v_add_nc_u32_e32 v7, v8, v7
	s_or_b32 exec_lo, exec_lo, s41
	s_and_saveexec_b32 s41, s13
	s_cbranch_execz .LBB77_77
.LBB77_93:                              ;   in Loop: Header=BB77_63 Depth=1
	v_mov_b32_e32 v8, s39
	ds_load_b32 v8, v8
	s_waitcnt lgkmcnt(0)
	v_add_nc_u32_e32 v7, v8, v7
	s_or_b32 exec_lo, exec_lo, s41
	s_and_saveexec_b32 s41, s14
	s_cbranch_execz .LBB77_78
.LBB77_94:                              ;   in Loop: Header=BB77_63 Depth=1
	v_mov_b32_e32 v8, s40
	ds_load_b32 v8, v8
	s_waitcnt lgkmcnt(0)
	v_add_nc_u32_e32 v7, v8, v7
	s_or_b32 exec_lo, exec_lo, s41
	s_and_saveexec_b32 s41, s15
	s_cbranch_execz .LBB77_79
.LBB77_95:                              ;   in Loop: Header=BB77_63 Depth=1
	scratch_load_b128 v[8:11], off, off
	v_add3_u32 v12, v4, -1, v7
	s_delay_alu instid0(VALU_DEP_1) | instskip(SKIP_1) | instid1(VALU_DEP_2)
	v_lshlrev_b32_e32 v13, 4, v12
	v_lshl_add_u32 v12, v12, 2, 0
	v_add3_u32 v13, 0, v13, 0x20000
	ds_store_b32 v12, v6
	s_waitcnt vmcnt(0)
	ds_store_2addr_b64 v13, v[8:9], v[10:11] offset1:1
	s_or_b32 exec_lo, exec_lo, s41
	s_and_saveexec_b32 s15, vcc_lo
	s_cbranch_execz .LBB77_62
.LBB77_96:                              ;   in Loop: Header=BB77_63 Depth=1
	v_mov_b32_e32 v6, s31
	ds_store_b32 v6, v7
	s_branch .LBB77_62
.LBB77_97:
	s_or_b32 exec_lo, exec_lo, s16
	s_ashr_i32 s37, s36, 31
	s_mov_b32 s3, exec_lo
	s_lshl_b64 s[0:1], s[36:37], 2
	s_delay_alu instid0(SALU_CYCLE_1) | instskip(SKIP_4) | instid1(SALU_CYCLE_1)
	s_add_u32 s0, s22, s0
	s_addc_u32 s1, s23, s1
	s_load_b64 s[0:1], s[0:1], 0x0
	s_waitcnt lgkmcnt(0)
	s_sub_i32 s2, s1, s0
	v_cmpx_gt_i32_e64 s2, v0
	s_cbranch_execz .LBB77_107
; %bb.98:
	s_sub_i32 s3, s0, s26
	s_sub_i32 s0, s0, s1
	s_and_b32 s1, s2, 7
	s_cmp_lt_u32 s0, -7
	s_mov_b32 s7, 0
	s_cselect_b32 s4, -1, 0
	s_and_b32 s5, s2, -8
	s_cmp_lg_u32 s1, 0
	s_cselect_b32 s6, -1, 0
	s_branch .LBB77_100
.LBB77_99:                              ;   in Loop: Header=BB77_100 Depth=1
	s_waitcnt lgkmcnt(0)
	v_lshlrev_b32_e32 v2, 4, v0
	v_add_nc_u32_e32 v0, 0x400, v0
	s_delay_alu instid0(VALU_DEP_2) | instskip(NEXT) | instid1(VALU_DEP_2)
	v_add3_u32 v2, 0, v2, 0x20000
	v_cmp_le_i32_e32 vcc_lo, s2, v0
	ds_load_2addr_b64 v[3:6], v2 offset1:1
	v_ashrrev_i32_e32 v2, 31, v1
	s_or_b32 s7, vcc_lo, s7
	s_delay_alu instid0(VALU_DEP_1) | instskip(NEXT) | instid1(VALU_DEP_1)
	v_lshlrev_b64 v[1:2], 4, v[1:2]
	v_add_co_u32 v1, s0, s34, v1
	s_delay_alu instid0(VALU_DEP_1)
	v_add_co_ci_u32_e64 v2, s0, s35, v2, s0
	s_waitcnt lgkmcnt(0)
	global_store_b128 v[1:2], v[3:6], off
	s_and_not1_b32 exec_lo, exec_lo, s7
	s_cbranch_execz .LBB77_107
.LBB77_100:                             ; =>This Loop Header: Depth=1
                                        ;     Child Loop BB77_102 Depth 2
                                        ;     Child Loop BB77_106 Depth 2
	v_lshl_add_u32 v1, v0, 2, 0
	s_and_not1_b32 vcc_lo, exec_lo, s4
	s_mov_b32 s0, 0
	ds_load_b32 v2, v1
	v_mov_b32_e32 v1, s3
	s_cbranch_vccnz .LBB77_104
; %bb.101:                              ;   in Loop: Header=BB77_100 Depth=1
	v_mov_b32_e32 v1, s3
	s_mov_b32 s8, 0
	s_set_inst_prefetch_distance 0x1
	.p2align	6
.LBB77_102:                             ;   Parent Loop BB77_100 Depth=1
                                        ; =>  This Inner Loop Header: Depth=2
	v_mov_b32_e32 v9, s8
	s_add_i32 s0, s0, 8
	s_add_i32 s8, s8, 32
	s_cmp_eq_u32 s5, s0
	ds_load_2addr_b32 v[3:4], v9 offset1:1
	ds_load_2addr_b32 v[5:6], v9 offset0:2 offset1:3
	ds_load_2addr_b32 v[7:8], v9 offset0:4 offset1:5
	;; [unrolled: 1-line block ×3, first 2 shown]
	s_waitcnt lgkmcnt(3)
	v_cmp_gt_i32_e32 vcc_lo, v2, v3
	v_cndmask_b32_e64 v3, 0, 1, vcc_lo
	s_waitcnt lgkmcnt(2)
	v_cmp_gt_i32_e32 vcc_lo, v2, v5
	v_cndmask_b32_e64 v5, 0, 1, vcc_lo
	v_cmp_gt_i32_e32 vcc_lo, v2, v4
	v_add_co_ci_u32_e32 v1, vcc_lo, v1, v3, vcc_lo
	s_waitcnt lgkmcnt(1)
	v_cmp_gt_i32_e32 vcc_lo, v2, v7
	v_cndmask_b32_e64 v3, 0, 1, vcc_lo
	v_cmp_gt_i32_e32 vcc_lo, v2, v6
	v_add_co_ci_u32_e32 v1, vcc_lo, v1, v5, vcc_lo
	;; [unrolled: 5-line block ×3, first 2 shown]
	v_cmp_gt_i32_e32 vcc_lo, v2, v10
	s_delay_alu instid0(VALU_DEP_2)
	v_add_co_ci_u32_e32 v1, vcc_lo, v1, v4, vcc_lo
	s_cbranch_scc0 .LBB77_102
; %bb.103:                              ;   in Loop: Header=BB77_100 Depth=1
	s_set_inst_prefetch_distance 0x2
	s_mov_b32 s0, s5
.LBB77_104:                             ;   in Loop: Header=BB77_100 Depth=1
	s_and_not1_b32 vcc_lo, exec_lo, s6
	s_cbranch_vccnz .LBB77_99
; %bb.105:                              ;   in Loop: Header=BB77_100 Depth=1
	s_lshl_b32 s0, s0, 2
	s_mov_b32 s8, s1
	s_add_i32 s0, s0, 0
.LBB77_106:                             ;   Parent Loop BB77_100 Depth=1
                                        ; =>  This Inner Loop Header: Depth=2
	s_delay_alu instid0(SALU_CYCLE_1)
	v_mov_b32_e32 v3, s0
	s_add_i32 s8, s8, -1
	s_add_i32 s0, s0, 4
	s_cmp_lg_u32 s8, 0
	ds_load_b32 v3, v3
	s_waitcnt lgkmcnt(0)
	v_cmp_gt_i32_e32 vcc_lo, v2, v3
	v_add_co_ci_u32_e32 v1, vcc_lo, 0, v1, vcc_lo
	s_cbranch_scc1 .LBB77_106
	s_branch .LBB77_99
.LBB77_107:
	s_nop 0
	s_sendmsg sendmsg(MSG_DEALLOC_VGPRS)
	s_endpgm
	.section	.rodata,"a",@progbits
	.p2align	6, 0x0
	.amdhsa_kernel _ZN9rocsparseL41csrgemm_numeric_fill_block_per_row_kernelILj1024ELj64ELj32768ELj137ELj64Eii21rocsparse_complex_numIdEEEvT5_PKS3_S5_NS_24const_host_device_scalarIT6_EEPKT4_S5_PKS7_SB_S5_SD_S8_SB_S5_SD_SB_S5_PS7_21rocsparse_index_base_SF_SF_SF_bbb
		.amdhsa_group_segment_fixed_size 0
		.amdhsa_private_segment_fixed_size 40
		.amdhsa_kernarg_size 172
		.amdhsa_user_sgpr_count 15
		.amdhsa_user_sgpr_dispatch_ptr 0
		.amdhsa_user_sgpr_queue_ptr 0
		.amdhsa_user_sgpr_kernarg_segment_ptr 1
		.amdhsa_user_sgpr_dispatch_id 0
		.amdhsa_user_sgpr_private_segment_size 0
		.amdhsa_wavefront_size32 1
		.amdhsa_uses_dynamic_stack 0
		.amdhsa_enable_private_segment 1
		.amdhsa_system_sgpr_workgroup_id_x 1
		.amdhsa_system_sgpr_workgroup_id_y 0
		.amdhsa_system_sgpr_workgroup_id_z 0
		.amdhsa_system_sgpr_workgroup_info 0
		.amdhsa_system_vgpr_workitem_id 0
		.amdhsa_next_free_vgpr 32
		.amdhsa_next_free_sgpr 46
		.amdhsa_reserve_vcc 1
		.amdhsa_float_round_mode_32 0
		.amdhsa_float_round_mode_16_64 0
		.amdhsa_float_denorm_mode_32 3
		.amdhsa_float_denorm_mode_16_64 3
		.amdhsa_dx10_clamp 1
		.amdhsa_ieee_mode 1
		.amdhsa_fp16_overflow 0
		.amdhsa_workgroup_processor_mode 1
		.amdhsa_memory_ordered 1
		.amdhsa_forward_progress 0
		.amdhsa_shared_vgpr_count 0
		.amdhsa_exception_fp_ieee_invalid_op 0
		.amdhsa_exception_fp_denorm_src 0
		.amdhsa_exception_fp_ieee_div_zero 0
		.amdhsa_exception_fp_ieee_overflow 0
		.amdhsa_exception_fp_ieee_underflow 0
		.amdhsa_exception_fp_ieee_inexact 0
		.amdhsa_exception_int_div_zero 0
	.end_amdhsa_kernel
	.section	.text._ZN9rocsparseL41csrgemm_numeric_fill_block_per_row_kernelILj1024ELj64ELj32768ELj137ELj64Eii21rocsparse_complex_numIdEEEvT5_PKS3_S5_NS_24const_host_device_scalarIT6_EEPKT4_S5_PKS7_SB_S5_SD_S8_SB_S5_SD_SB_S5_PS7_21rocsparse_index_base_SF_SF_SF_bbb,"axG",@progbits,_ZN9rocsparseL41csrgemm_numeric_fill_block_per_row_kernelILj1024ELj64ELj32768ELj137ELj64Eii21rocsparse_complex_numIdEEEvT5_PKS3_S5_NS_24const_host_device_scalarIT6_EEPKT4_S5_PKS7_SB_S5_SD_S8_SB_S5_SD_SB_S5_PS7_21rocsparse_index_base_SF_SF_SF_bbb,comdat
.Lfunc_end77:
	.size	_ZN9rocsparseL41csrgemm_numeric_fill_block_per_row_kernelILj1024ELj64ELj32768ELj137ELj64Eii21rocsparse_complex_numIdEEEvT5_PKS3_S5_NS_24const_host_device_scalarIT6_EEPKT4_S5_PKS7_SB_S5_SD_S8_SB_S5_SD_SB_S5_PS7_21rocsparse_index_base_SF_SF_SF_bbb, .Lfunc_end77-_ZN9rocsparseL41csrgemm_numeric_fill_block_per_row_kernelILj1024ELj64ELj32768ELj137ELj64Eii21rocsparse_complex_numIdEEEvT5_PKS3_S5_NS_24const_host_device_scalarIT6_EEPKT4_S5_PKS7_SB_S5_SD_S8_SB_S5_SD_SB_S5_PS7_21rocsparse_index_base_SF_SF_SF_bbb
                                        ; -- End function
	.section	.AMDGPU.csdata,"",@progbits
; Kernel info:
; codeLenInByte = 4284
; NumSgprs: 48
; NumVgprs: 32
; ScratchSize: 40
; MemoryBound: 0
; FloatMode: 240
; IeeeMode: 1
; LDSByteSize: 0 bytes/workgroup (compile time only)
; SGPRBlocks: 5
; VGPRBlocks: 3
; NumSGPRsForWavesPerEU: 48
; NumVGPRsForWavesPerEU: 32
; Occupancy: 16
; WaveLimiterHint : 1
; COMPUTE_PGM_RSRC2:SCRATCH_EN: 1
; COMPUTE_PGM_RSRC2:USER_SGPR: 15
; COMPUTE_PGM_RSRC2:TRAP_HANDLER: 0
; COMPUTE_PGM_RSRC2:TGID_X_EN: 1
; COMPUTE_PGM_RSRC2:TGID_Y_EN: 0
; COMPUTE_PGM_RSRC2:TGID_Z_EN: 0
; COMPUTE_PGM_RSRC2:TIDIG_COMP_CNT: 0
	.section	.text._ZN9rocsparseL51csrgemm_numeric_fill_block_per_row_multipass_kernelILj512ELj16ELj2048ELj32Eii21rocsparse_complex_numIdEEEvT4_PKS3_S5_NS_24const_host_device_scalarIT5_EEPKT3_S5_PKS7_SB_S5_SD_S8_SB_S5_SD_SB_S5_PS7_PS9_21rocsparse_index_base_SG_SG_SG_bbb,"axG",@progbits,_ZN9rocsparseL51csrgemm_numeric_fill_block_per_row_multipass_kernelILj512ELj16ELj2048ELj32Eii21rocsparse_complex_numIdEEEvT4_PKS3_S5_NS_24const_host_device_scalarIT5_EEPKT3_S5_PKS7_SB_S5_SD_S8_SB_S5_SD_SB_S5_PS7_PS9_21rocsparse_index_base_SG_SG_SG_bbb,comdat
	.globl	_ZN9rocsparseL51csrgemm_numeric_fill_block_per_row_multipass_kernelILj512ELj16ELj2048ELj32Eii21rocsparse_complex_numIdEEEvT4_PKS3_S5_NS_24const_host_device_scalarIT5_EEPKT3_S5_PKS7_SB_S5_SD_S8_SB_S5_SD_SB_S5_PS7_PS9_21rocsparse_index_base_SG_SG_SG_bbb ; -- Begin function _ZN9rocsparseL51csrgemm_numeric_fill_block_per_row_multipass_kernelILj512ELj16ELj2048ELj32Eii21rocsparse_complex_numIdEEEvT4_PKS3_S5_NS_24const_host_device_scalarIT5_EEPKT3_S5_PKS7_SB_S5_SD_S8_SB_S5_SD_SB_S5_PS7_PS9_21rocsparse_index_base_SG_SG_SG_bbb
	.p2align	8
	.type	_ZN9rocsparseL51csrgemm_numeric_fill_block_per_row_multipass_kernelILj512ELj16ELj2048ELj32Eii21rocsparse_complex_numIdEEEvT4_PKS3_S5_NS_24const_host_device_scalarIT5_EEPKT3_S5_PKS7_SB_S5_SD_S8_SB_S5_SD_SB_S5_PS7_PS9_21rocsparse_index_base_SG_SG_SG_bbb,@function
_ZN9rocsparseL51csrgemm_numeric_fill_block_per_row_multipass_kernelILj512ELj16ELj2048ELj32Eii21rocsparse_complex_numIdEEEvT4_PKS3_S5_NS_24const_host_device_scalarIT5_EEPKT3_S5_PKS7_SB_S5_SD_S8_SB_S5_SD_SB_S5_PS7_PS9_21rocsparse_index_base_SG_SG_SG_bbb: ; @_ZN9rocsparseL51csrgemm_numeric_fill_block_per_row_multipass_kernelILj512ELj16ELj2048ELj32Eii21rocsparse_complex_numIdEEEvT4_PKS3_S5_NS_24const_host_device_scalarIT5_EEPKT3_S5_PKS7_SB_S5_SD_S8_SB_S5_SD_SB_S5_PS7_PS9_21rocsparse_index_base_SG_SG_SG_bbb
; %bb.0:
	s_clause 0x3
	s_load_b32 s5, s[2:3], 0xb0
	s_load_b256 s[16:23], s[2:3], 0x8
	s_load_b128 s[8:11], s[2:3], 0x58
	s_load_b128 s[28:31], s[2:3], 0xa0
	v_mov_b32_e32 v8, 0
	v_mov_b32_e32 v9, 0
	s_waitcnt lgkmcnt(0)
	s_bitcmp1_b32 s5, 0
	v_dual_mov_b32 v1, s20 :: v_dual_mov_b32 v2, s21
	s_cselect_b32 s12, -1, 0
	s_bitcmp1_b32 s5, 16
	v_dual_mov_b32 v11, v9 :: v_dual_mov_b32 v10, v8
	s_cselect_b32 s4, -1, 0
	v_dual_mov_b32 v13, v9 :: v_dual_mov_b32 v12, v8
	v_dual_mov_b32 v3, s8 :: v_dual_mov_b32 v4, s9
	s_xor_b32 s13, s4, -1
	s_bitcmp0_b32 s5, 0
	s_clause 0x1
	scratch_store_b64 off, v[1:2], off
	scratch_store_b64 off, v[3:4], off offset:8
	s_cbranch_scc1 .LBB78_3
; %bb.1:
	s_mov_b64 s[6:7], src_private_base
	s_and_b32 s6, s4, exec_lo
	s_cselect_b32 s6, s7, s21
	s_delay_alu instid0(SALU_CYCLE_1) | instskip(SKIP_2) | instid1(VALU_DEP_2)
	v_dual_mov_b32 v1, 0 :: v_dual_mov_b32 v2, s6
	v_dual_mov_b32 v12, s22 :: v_dual_mov_b32 v13, s23
	s_and_not1_b32 vcc_lo, exec_lo, s13
	v_cndmask_b32_e64 v1, s20, v1, s4
	flat_load_b64 v[10:11], v[1:2]
	s_cbranch_vccnz .LBB78_3
; %bb.2:
	v_dual_mov_b32 v1, s20 :: v_dual_mov_b32 v2, s21
	flat_load_b64 v[12:13], v[1:2] offset:8
.LBB78_3:
	s_load_b64 s[6:7], s[2:3], 0x28
	s_bitcmp1_b32 s5, 8
	v_dual_mov_b32 v15, v9 :: v_dual_mov_b32 v14, v8
	s_cselect_b32 s33, -1, 0
	s_bfe_u32 s5, s5, 0x10008
	s_delay_alu instid0(SALU_CYCLE_1)
	s_cmp_eq_u32 s5, 0
	s_cbranch_scc1 .LBB78_6
; %bb.4:
	s_mov_b64 s[20:21], src_private_base
	s_and_b32 s5, s4, exec_lo
	s_cselect_b32 s5, s21, s9
	s_delay_alu instid0(SALU_CYCLE_1) | instskip(SKIP_2) | instid1(VALU_DEP_2)
	v_dual_mov_b32 v1, 8 :: v_dual_mov_b32 v2, s5
	v_dual_mov_b32 v8, s10 :: v_dual_mov_b32 v9, s11
	s_and_not1_b32 vcc_lo, exec_lo, s13
	v_cndmask_b32_e64 v1, s8, v1, s4
	flat_load_b64 v[14:15], v[1:2]
	s_cbranch_vccnz .LBB78_6
; %bb.5:
	v_dual_mov_b32 v1, s8 :: v_dual_mov_b32 v2, s9
	flat_load_b64 v[8:9], v[1:2] offset:8
.LBB78_6:
	s_load_b32 s4, s[16:17], 0x0
	s_mov_b32 s35, 0
	s_mov_b32 s8, 0
	s_waitcnt lgkmcnt(0)
	s_add_i32 s34, s4, s15
	s_delay_alu instid0(SALU_CYCLE_1) | instskip(NEXT) | instid1(SALU_CYCLE_1)
	s_lshl_b64 s[4:5], s[34:35], 2
	s_add_u32 s4, s18, s4
	s_addc_u32 s5, s19, s5
	s_and_not1_b32 vcc_lo, exec_lo, s12
	s_load_b32 s4, s[4:5], 0x0
	s_cbranch_vccz .LBB78_9
; %bb.7:
	s_and_not1_b32 vcc_lo, exec_lo, s12
	s_cbranch_vccz .LBB78_10
.LBB78_8:
	s_load_b32 s34, s[2:3], 0x0
	s_waitcnt lgkmcnt(0)
	s_cmp_lt_i32 s34, 1
	s_cbranch_scc0 .LBB78_11
	s_branch .LBB78_72
.LBB78_9:
	s_waitcnt lgkmcnt(0)
	s_ashr_i32 s5, s4, 31
	s_delay_alu instid0(SALU_CYCLE_1) | instskip(NEXT) | instid1(SALU_CYCLE_1)
	s_lshl_b64 s[8:9], s[4:5], 2
	s_add_u32 s8, s6, s8
	s_addc_u32 s9, s7, s9
	s_load_b32 s5, s[8:9], 0x0
	s_waitcnt lgkmcnt(0)
	s_sub_i32 s8, s5, s28
	s_and_not1_b32 vcc_lo, exec_lo, s12
	s_cbranch_vccnz .LBB78_8
.LBB78_10:
	s_waitcnt lgkmcnt(0)
	s_ashr_i32 s5, s4, 31
	s_delay_alu instid0(SALU_CYCLE_1) | instskip(NEXT) | instid1(SALU_CYCLE_1)
	s_lshl_b64 s[10:11], s[4:5], 2
	s_add_u32 s6, s6, s10
	s_addc_u32 s7, s7, s11
	s_load_b32 s5, s[6:7], 0x4
	s_waitcnt lgkmcnt(0)
	s_sub_i32 s35, s5, s28
	s_load_b32 s34, s[2:3], 0x0
	s_waitcnt lgkmcnt(0)
	s_cmp_lt_i32 s34, 1
	s_cbranch_scc1 .LBB78_72
.LBB78_11:
	s_load_b64 s[6:7], s[0:1], 0x4
	s_clause 0x3
	s_load_b256 s[20:27], s[2:3], 0x68
	s_load_b128 s[44:47], s[2:3], 0x90
	s_load_b64 s[48:49], s[2:3], 0x50
	s_load_b256 s[36:43], s[2:3], 0x30
	v_mbcnt_lo_u32_b32 v3, -1, 0
	s_ashr_i32 s5, s4, 31
	v_bfe_u32 v2, v0, 10, 10
	s_lshl_b64 s[2:3], s[4:5], 2
	v_mov_b32_e32 v43, 0x800
	v_xor_b32_e32 v5, 8, v3
	v_xor_b32_e32 v6, 4, v3
	;; [unrolled: 1-line block ×5, first 2 shown]
	v_cmp_gt_i32_e32 vcc_lo, 32, v5
	v_and_b32_e32 v1, 0x3ff, v0
	v_bfe_u32 v0, v0, 20, 10
	v_mov_b32_e32 v42, 1
	s_waitcnt lgkmcnt(0)
	s_lshr_b32 s6, s6, 16
	v_lshrrev_b32_e32 v4, 4, v1
	s_add_u32 s4, s26, s2
	s_addc_u32 s5, s27, s3
	s_mul_i32 s6, s6, s7
	s_load_b32 s4, s[4:5], 0x0
	v_add_nc_u32_e32 v32, s8, v4
	v_cndmask_b32_e32 v4, v3, v5, vcc_lo
	v_cmp_gt_i32_e32 vcc_lo, 32, v6
	v_mul_lo_u32 v5, s6, v1
	v_mul_u32_u24_e32 v2, s7, v2
	v_lshrrev_b32_e32 v18, 3, v1
	v_dual_cndmask_b32 v6, v3, v6 :: v_dual_lshlrev_b32 v33, 2, v4
	v_cmp_gt_i32_e32 vcc_lo, 32, v7
	v_and_b32_e32 v30, 15, v1
	v_cmp_eq_u32_e64 s0, 0, v1
	v_add3_u32 v0, v5, v2, v0
	v_subrev_nc_u32_e32 v31, s31, v1
	v_cndmask_b32_e32 v7, v3, v7, vcc_lo
	v_cmp_gt_i32_e32 vcc_lo, 32, v16
	v_cmp_eq_u32_e64 s1, 15, v30
	v_lshl_add_u32 v36, v0, 4, 0x8808
	s_delay_alu instid0(VALU_DEP_4)
	v_dual_mov_b32 v0, 0 :: v_dual_lshlrev_b32 v35, 2, v7
	v_dual_cndmask_b32 v3, v3, v16 :: v_dual_lshlrev_b32 v34, 2, v6
	v_cmp_gt_i32_e32 vcc_lo, s35, v32
	s_waitcnt lgkmcnt(0)
	s_sub_i32 s18, s4, s30
	s_add_u32 s26, s20, s2
	s_addc_u32 s27, s21, s3
	v_lshrrev_b64 v[16:17], v17, -1
	s_and_b32 s21, s12, vcc_lo
	v_dual_mov_b32 v2, v0 :: v_dual_lshlrev_b32 v37, 2, v3
	v_dual_mov_b32 v41, s18 :: v_dual_and_b32 v38, 60, v18
	v_cmp_eq_u32_e64 s2, 0x1ff, v1
	v_cmp_gt_u32_e64 s3, 32, v1
	v_cmp_gt_u32_e64 s4, 64, v1
	;; [unrolled: 1-line block ×15, first 2 shown]
	s_add_u32 s30, s40, 4
	v_or_b32_e32 v39, 0xfffffe00, v1
	v_dual_mov_b32 v1, v0 :: v_dual_lshlrev_b32 v40, 4, v1
	v_mov_b32_e32 v3, v0
	v_mov_b32_e32 v44, v0
	s_addc_u32 s50, s41, 0
	s_add_u32 s44, s44, -16
	s_addc_u32 s45, s45, -1
	s_branch .LBB78_13
.LBB78_12:                              ;   in Loop: Header=BB78_13 Depth=1
	s_or_b32 exec_lo, exec_lo, s18
	ds_load_b32 v44, v0 offset:34816
	s_waitcnt lgkmcnt(0)
	s_barrier
	buffer_gl0_inv
	v_cmp_le_i32_e32 vcc_lo, s34, v44
	v_add_nc_u32_e32 v43, 0x800, v44
	s_cbranch_vccnz .LBB78_72
.LBB78_13:                              ; =>This Loop Header: Depth=1
                                        ;     Child Loop BB78_14 Depth 2
                                        ;     Child Loop BB78_20 Depth 2
                                        ;       Child Loop BB78_26 Depth 3
                                        ;         Child Loop BB78_30 Depth 4
                                        ;         Child Loop BB78_32 Depth 4
                                        ;     Child Loop BB78_47 Depth 2
                                        ;       Child Loop BB78_51 Depth 3
                                        ;       Child Loop BB78_53 Depth 3
                                        ;     Child Loop BB78_63 Depth 2
                                        ;     Child Loop BB78_68 Depth 2
	v_dual_mov_b32 v4, v40 :: v_dual_mov_b32 v5, v39
	s_mov_b32 s18, 0
.LBB78_14:                              ;   Parent Loop BB78_13 Depth=1
                                        ; =>  This Inner Loop Header: Depth=2
	ds_store_b8 v5, v0 offset:33280
	v_add_nc_u32_e32 v5, 0x200, v5
	ds_store_b128 v4, v[0:3]
	v_add_nc_u32_e32 v4, 0x2000, v4
	v_cmp_lt_u32_e32 vcc_lo, 0x5ff, v5
	s_or_b32 s18, vcc_lo, s18
	s_delay_alu instid0(SALU_CYCLE_1)
	s_and_not1_b32 exec_lo, exec_lo, s18
	s_cbranch_execnz .LBB78_14
; %bb.15:                               ;   in Loop: Header=BB78_13 Depth=1
	s_or_b32 exec_lo, exec_lo, s18
	s_and_saveexec_b32 s18, s0
	s_cbranch_execz .LBB78_17
; %bb.16:                               ;   in Loop: Header=BB78_13 Depth=1
	v_mov_b32_e32 v4, s34
	ds_store_b32 v0, v4 offset:34816
.LBB78_17:                              ;   in Loop: Header=BB78_13 Depth=1
	s_or_b32 exec_lo, exec_lo, s18
	v_mov_b32_e32 v45, s34
	s_waitcnt vmcnt(0) lgkmcnt(0)
	s_waitcnt_vscnt null, 0x0
	s_barrier
	buffer_gl0_inv
	s_and_saveexec_b32 s51, s21
	s_cbranch_execz .LBB78_43
; %bb.18:                               ;   in Loop: Header=BB78_13 Depth=1
	v_cmp_ne_u32_e64 s18, 0, v44
	v_mov_b32_e32 v45, s34
	v_mov_b32_e32 v17, v32
	s_mov_b32 s52, 0
	s_branch .LBB78_20
.LBB78_19:                              ;   in Loop: Header=BB78_20 Depth=2
	s_or_b32 exec_lo, exec_lo, s19
	v_add_nc_u32_e32 v17, 32, v17
	s_delay_alu instid0(VALU_DEP_1) | instskip(SKIP_1) | instid1(SALU_CYCLE_1)
	v_cmp_le_i32_e32 vcc_lo, s35, v17
	s_or_b32 s52, vcc_lo, s52
	s_and_not1_b32 exec_lo, exec_lo, s52
	s_cbranch_execz .LBB78_42
.LBB78_20:                              ;   Parent Loop BB78_13 Depth=1
                                        ; =>  This Loop Header: Depth=2
                                        ;       Child Loop BB78_26 Depth 3
                                        ;         Child Loop BB78_30 Depth 4
                                        ;         Child Loop BB78_32 Depth 4
	s_delay_alu instid0(VALU_DEP_1) | instskip(NEXT) | instid1(VALU_DEP_1)
	v_ashrrev_i32_e32 v18, 31, v17
	v_lshlrev_b64 v[19:20], 2, v[17:18]
	v_lshlrev_b64 v[6:7], 4, v[17:18]
	s_delay_alu instid0(VALU_DEP_2) | instskip(SKIP_1) | instid1(VALU_DEP_3)
	v_add_co_u32 v4, vcc_lo, s36, v19
	s_waitcnt lgkmcnt(0)
	v_add_co_ci_u32_e32 v5, vcc_lo, s37, v20, vcc_lo
	global_load_b32 v18, v[4:5], off
	v_add_co_u32 v4, vcc_lo, s38, v6
	v_add_co_ci_u32_e32 v5, vcc_lo, s39, v7, vcc_lo
	s_and_b32 vcc_lo, exec_lo, s18
	global_load_b128 v[4:7], v[4:5], off
	s_waitcnt vmcnt(1)
	v_subrev_nc_u32_e32 v21, s28, v18
	s_delay_alu instid0(VALU_DEP_1)
	v_ashrrev_i32_e32 v22, 31, v21
	s_cbranch_vccz .LBB78_41
; %bb.21:                               ;   in Loop: Header=BB78_20 Depth=2
	v_add_co_u32 v23, vcc_lo, s46, v19
	v_add_co_ci_u32_e32 v24, vcc_lo, s47, v20, vcc_lo
	global_load_b32 v18, v[23:24], off
	s_cbranch_execnz .LBB78_23
.LBB78_22:                              ;   in Loop: Header=BB78_20 Depth=2
	s_delay_alu instid0(VALU_DEP_1) | instskip(NEXT) | instid1(VALU_DEP_1)
	v_lshlrev_b64 v[23:24], 2, v[21:22]
	v_add_co_u32 v23, vcc_lo, s40, v23
	s_delay_alu instid0(VALU_DEP_2)
	v_add_co_ci_u32_e32 v24, vcc_lo, s41, v24, vcc_lo
	global_load_b32 v18, v[23:24], off
	s_waitcnt vmcnt(0)
	v_subrev_nc_u32_e32 v18, s29, v18
.LBB78_23:                              ;   in Loop: Header=BB78_20 Depth=2
	v_lshlrev_b64 v[21:22], 2, v[21:22]
	s_waitcnt vmcnt(0)
	s_delay_alu instid0(VALU_DEP_2) | instskip(SKIP_1) | instid1(VALU_DEP_2)
	v_add_nc_u32_e32 v18, v18, v30
	s_mov_b32 s53, exec_lo
	v_add_co_u32 v21, vcc_lo, s30, v21
	s_delay_alu instid0(VALU_DEP_3) | instskip(SKIP_3) | instid1(VALU_DEP_1)
	v_add_co_ci_u32_e32 v22, vcc_lo, s50, v22, vcc_lo
	global_load_b32 v21, v[21:22], off
	s_waitcnt vmcnt(0)
	v_subrev_nc_u32_e32 v46, s29, v21
	v_cmpx_lt_i32_e64 v18, v46
	s_cbranch_execz .LBB78_39
; %bb.24:                               ;   in Loop: Header=BB78_20 Depth=2
	v_mul_f64 v[21:22], v[6:7], -v[12:13]
	v_mul_f64 v[6:7], v[10:11], v[6:7]
	v_mov_b32_e32 v25, v18
	s_mov_b32 s55, 0
                                        ; implicit-def: $sgpr54
                                        ; implicit-def: $sgpr56
	s_delay_alu instid0(VALU_DEP_3) | instskip(NEXT) | instid1(VALU_DEP_3)
	v_fma_f64 v[21:22], v[10:11], v[4:5], v[21:22]
	v_fma_f64 v[23:24], v[12:13], v[4:5], v[6:7]
	s_branch .LBB78_26
.LBB78_25:                              ;   in Loop: Header=BB78_26 Depth=3
	s_or_b32 exec_lo, exec_lo, s20
	s_delay_alu instid0(SALU_CYCLE_1) | instskip(SKIP_4) | instid1(SALU_CYCLE_1)
	s_and_b32 s19, exec_lo, s57
	v_mov_b32_e32 v25, v5
	s_or_b32 s55, s19, s55
	s_and_not1_b32 s19, s54, exec_lo
	s_and_b32 s20, s56, exec_lo
	s_or_b32 s54, s19, s20
	s_and_not1_b32 exec_lo, exec_lo, s55
	s_cbranch_execz .LBB78_36
.LBB78_26:                              ;   Parent Loop BB78_13 Depth=1
                                        ;     Parent Loop BB78_20 Depth=2
                                        ; =>    This Loop Header: Depth=3
                                        ;         Child Loop BB78_30 Depth 4
                                        ;         Child Loop BB78_32 Depth 4
	v_ashrrev_i32_e32 v26, 31, v25
	s_delay_alu instid0(VALU_DEP_1) | instskip(NEXT) | instid1(VALU_DEP_1)
	v_lshlrev_b64 v[4:5], 2, v[25:26]
	v_add_co_u32 v4, vcc_lo, s42, v4
	s_delay_alu instid0(VALU_DEP_2) | instskip(SKIP_3) | instid1(VALU_DEP_1)
	v_add_co_ci_u32_e32 v5, vcc_lo, s43, v5, vcc_lo
	global_load_b32 v4, v[4:5], off
	s_waitcnt vmcnt(0)
	v_subrev_nc_u32_e32 v47, s29, v4
	v_cmp_lt_i32_e64 s19, v47, v44
	v_cmp_ge_i32_e64 s20, v47, v43
	v_cmp_lt_i32_e32 vcc_lo, v47, v43
	s_delay_alu instid0(VALU_DEP_2) | instskip(SKIP_2) | instid1(SALU_CYCLE_1)
	s_or_b32 s57, s19, s20
	s_mov_b32 s19, 0
                                        ; implicit-def: $sgpr20
	s_and_saveexec_b32 s58, s57
	s_xor_b32 s57, exec_lo, s58
; %bb.27:                               ;   in Loop: Header=BB78_26 Depth=3
	s_mov_b32 s20, -1
	s_and_b32 s19, vcc_lo, exec_lo
; %bb.28:                               ;   in Loop: Header=BB78_26 Depth=3
	s_and_not1_saveexec_b32 s57, s57
	s_cbranch_execz .LBB78_34
; %bb.29:                               ;   in Loop: Header=BB78_26 Depth=3
	v_lshlrev_b64 v[4:5], 4, v[25:26]
	v_sub_nc_u32_e32 v28, v47, v44
	s_mov_b32 s58, 0
	s_delay_alu instid0(VALU_DEP_1) | instskip(NEXT) | instid1(VALU_DEP_3)
	v_lshlrev_b32_e32 v48, 4, v28
	v_add_co_u32 v4, vcc_lo, s48, v4
	s_delay_alu instid0(VALU_DEP_4)
	v_add_co_ci_u32_e32 v5, vcc_lo, s49, v5, vcc_lo
	ds_store_b8 v28, v42 offset:32768
	ds_load_b64 v[28:29], v48
	global_load_b128 v[4:7], v[4:5], off
	s_waitcnt vmcnt(0)
	v_mul_f64 v[26:27], v[6:7], -v[23:24]
	s_delay_alu instid0(VALU_DEP_1)
	v_fma_f64 v[26:27], v[21:22], v[4:5], v[26:27]
.LBB78_30:                              ;   Parent Loop BB78_13 Depth=1
                                        ;     Parent Loop BB78_20 Depth=2
                                        ;       Parent Loop BB78_26 Depth=3
                                        ; =>      This Inner Loop Header: Depth=4
	s_waitcnt lgkmcnt(0)
	s_delay_alu instid0(VALU_DEP_1)
	v_add_f64 v[49:50], v[28:29], v[26:27]
	ds_cmpstore_rtn_b64 v[49:50], v48, v[49:50], v[28:29]
	s_waitcnt lgkmcnt(0)
	v_cmp_eq_u64_e32 vcc_lo, v[49:50], v[28:29]
	v_dual_mov_b32 v28, v49 :: v_dual_mov_b32 v29, v50
	s_or_b32 s58, vcc_lo, s58
	s_delay_alu instid0(SALU_CYCLE_1)
	s_and_not1_b32 exec_lo, exec_lo, s58
	s_cbranch_execnz .LBB78_30
; %bb.31:                               ;   in Loop: Header=BB78_26 Depth=3
	s_or_b32 exec_lo, exec_lo, s58
	v_mul_f64 v[6:7], v[21:22], v[6:7]
	s_mov_b32 s58, 0
	s_delay_alu instid0(VALU_DEP_1)
	v_fma_f64 v[4:5], v[23:24], v[4:5], v[6:7]
	ds_load_b64 v[6:7], v48 offset:8
.LBB78_32:                              ;   Parent Loop BB78_13 Depth=1
                                        ;     Parent Loop BB78_20 Depth=2
                                        ;       Parent Loop BB78_26 Depth=3
                                        ; =>      This Inner Loop Header: Depth=4
	s_waitcnt lgkmcnt(0)
	v_add_f64 v[26:27], v[6:7], v[4:5]
	ds_cmpstore_rtn_b64 v[26:27], v48, v[26:27], v[6:7] offset:8
	s_waitcnt lgkmcnt(0)
	v_cmp_eq_u64_e32 vcc_lo, v[26:27], v[6:7]
	v_dual_mov_b32 v6, v26 :: v_dual_mov_b32 v7, v27
	s_or_b32 s58, vcc_lo, s58
	s_delay_alu instid0(SALU_CYCLE_1)
	s_and_not1_b32 exec_lo, exec_lo, s58
	s_cbranch_execnz .LBB78_32
; %bb.33:                               ;   in Loop: Header=BB78_26 Depth=3
	s_or_b32 exec_lo, exec_lo, s58
	s_delay_alu instid0(SALU_CYCLE_1)
	s_or_b32 s19, s19, exec_lo
.LBB78_34:                              ;   in Loop: Header=BB78_26 Depth=3
	s_or_b32 exec_lo, exec_lo, s57
	v_mov_b32_e32 v4, v25
	s_and_not1_b32 s56, s56, exec_lo
	s_and_b32 s20, s20, exec_lo
	s_mov_b32 s57, -1
	s_or_b32 s56, s56, s20
                                        ; implicit-def: $vgpr5
	s_and_saveexec_b32 s20, s19
	s_cbranch_execz .LBB78_25
; %bb.35:                               ;   in Loop: Header=BB78_26 Depth=3
	v_dual_mov_b32 v4, v25 :: v_dual_add_nc_u32 v5, 16, v25
	s_and_not1_b32 s56, s56, exec_lo
	s_delay_alu instid0(VALU_DEP_1)
	v_cmp_ge_i32_e32 vcc_lo, v5, v46
	s_or_not1_b32 s57, vcc_lo, exec_lo
	s_branch .LBB78_25
.LBB78_36:                              ;   in Loop: Header=BB78_20 Depth=2
	s_or_b32 exec_lo, exec_lo, s55
	s_and_saveexec_b32 s19, s54
	s_delay_alu instid0(SALU_CYCLE_1)
	s_xor_b32 s19, exec_lo, s19
; %bb.37:                               ;   in Loop: Header=BB78_20 Depth=2
	v_min_i32_e32 v45, v47, v45
	v_mov_b32_e32 v18, v4
; %bb.38:                               ;   in Loop: Header=BB78_20 Depth=2
	s_or_b32 exec_lo, exec_lo, s19
.LBB78_39:                              ;   in Loop: Header=BB78_20 Depth=2
	s_delay_alu instid0(SALU_CYCLE_1)
	s_or_b32 exec_lo, exec_lo, s53
	ds_bpermute_b32 v4, v33, v18
	s_waitcnt lgkmcnt(0)
	v_min_i32_e32 v4, v4, v18
	ds_bpermute_b32 v5, v34, v4
	s_waitcnt lgkmcnt(0)
	v_min_i32_e32 v4, v5, v4
	;; [unrolled: 3-line block ×3, first 2 shown]
	ds_bpermute_b32 v5, v37, v4
	s_and_saveexec_b32 s19, s1
	s_cbranch_execz .LBB78_19
; %bb.40:                               ;   in Loop: Header=BB78_20 Depth=2
	s_waitcnt lgkmcnt(0)
	v_min_i32_e32 v6, v5, v4
	v_add_co_u32 v4, vcc_lo, s46, v19
	v_add_co_ci_u32_e32 v5, vcc_lo, s47, v20, vcc_lo
	global_store_b32 v[4:5], v6, off
	s_branch .LBB78_19
.LBB78_41:                              ;   in Loop: Header=BB78_20 Depth=2
                                        ; implicit-def: $vgpr18
	s_branch .LBB78_22
.LBB78_42:                              ;   in Loop: Header=BB78_13 Depth=1
	s_or_b32 exec_lo, exec_lo, s52
.LBB78_43:                              ;   in Loop: Header=BB78_13 Depth=1
	s_delay_alu instid0(SALU_CYCLE_1) | instskip(NEXT) | instid1(SALU_CYCLE_1)
	s_or_b32 exec_lo, exec_lo, s51
	s_and_not1_b32 vcc_lo, exec_lo, s33
	s_cbranch_vccnz .LBB78_61
; %bb.44:                               ;   in Loop: Header=BB78_13 Depth=1
	s_load_b64 s[18:19], s[26:27], 0x0
	s_mov_b32 s20, exec_lo
	s_waitcnt lgkmcnt(0)
	v_add_nc_u32_e32 v17, s18, v31
	s_sub_i32 s51, s19, s31
	s_delay_alu instid0(VALU_DEP_1) | instid1(SALU_CYCLE_1)
	v_cmpx_gt_i32_e64 s51, v17
	s_cbranch_execz .LBB78_60
; %bb.45:                               ;   in Loop: Header=BB78_13 Depth=1
	s_mov_b32 s52, 0
                                        ; implicit-def: $sgpr53
                                        ; implicit-def: $sgpr54
	s_branch .LBB78_47
.LBB78_46:                              ;   in Loop: Header=BB78_47 Depth=2
	s_or_b32 exec_lo, exec_lo, s55
	s_delay_alu instid0(SALU_CYCLE_1) | instskip(NEXT) | instid1(SALU_CYCLE_1)
	s_and_b32 s18, exec_lo, s19
	s_or_b32 s52, s18, s52
	s_and_not1_b32 s18, s53, exec_lo
	s_and_b32 s19, s54, exec_lo
	s_delay_alu instid0(SALU_CYCLE_1)
	s_or_b32 s53, s18, s19
	s_and_not1_b32 exec_lo, exec_lo, s52
	s_cbranch_execz .LBB78_57
.LBB78_47:                              ;   Parent Loop BB78_13 Depth=1
                                        ; =>  This Loop Header: Depth=2
                                        ;       Child Loop BB78_51 Depth 3
                                        ;       Child Loop BB78_53 Depth 3
	v_ashrrev_i32_e32 v18, 31, v17
	s_delay_alu instid0(VALU_DEP_1) | instskip(NEXT) | instid1(VALU_DEP_1)
	v_lshlrev_b64 v[4:5], 2, v[17:18]
	v_add_co_u32 v4, vcc_lo, s22, v4
	s_delay_alu instid0(VALU_DEP_2) | instskip(SKIP_3) | instid1(VALU_DEP_1)
	v_add_co_ci_u32_e32 v5, vcc_lo, s23, v5, vcc_lo
	global_load_b32 v4, v[4:5], off
	s_waitcnt vmcnt(0)
	v_subrev_nc_u32_e32 v22, s31, v4
	v_cmp_lt_i32_e64 s18, v22, v44
	v_cmp_ge_i32_e64 s19, v22, v43
	v_cmp_lt_i32_e32 vcc_lo, v22, v43
	s_delay_alu instid0(VALU_DEP_2) | instskip(SKIP_2) | instid1(SALU_CYCLE_1)
	s_or_b32 s55, s18, s19
	s_mov_b32 s18, 0
                                        ; implicit-def: $sgpr19
	s_and_saveexec_b32 s56, s55
	s_xor_b32 s55, exec_lo, s56
; %bb.48:                               ;   in Loop: Header=BB78_47 Depth=2
	s_mov_b32 s19, -1
	s_and_b32 s18, vcc_lo, exec_lo
; %bb.49:                               ;   in Loop: Header=BB78_47 Depth=2
	s_and_not1_saveexec_b32 s55, s55
	s_cbranch_execz .LBB78_55
; %bb.50:                               ;   in Loop: Header=BB78_47 Depth=2
	v_lshlrev_b64 v[4:5], 4, v[17:18]
	v_sub_nc_u32_e32 v20, v22, v44
	s_mov_b32 s56, 0
	s_delay_alu instid0(VALU_DEP_1) | instskip(NEXT) | instid1(VALU_DEP_3)
	v_lshlrev_b32_e32 v23, 4, v20
	v_add_co_u32 v4, vcc_lo, s24, v4
	s_delay_alu instid0(VALU_DEP_4)
	v_add_co_ci_u32_e32 v5, vcc_lo, s25, v5, vcc_lo
	ds_store_b8 v20, v42 offset:32768
	ds_load_b64 v[20:21], v23
	global_load_b128 v[4:7], v[4:5], off
	s_waitcnt vmcnt(0)
	v_mul_f64 v[18:19], v[6:7], -v[8:9]
	s_delay_alu instid0(VALU_DEP_1)
	v_fma_f64 v[18:19], v[14:15], v[4:5], v[18:19]
.LBB78_51:                              ;   Parent Loop BB78_13 Depth=1
                                        ;     Parent Loop BB78_47 Depth=2
                                        ; =>    This Inner Loop Header: Depth=3
	s_waitcnt lgkmcnt(0)
	s_delay_alu instid0(VALU_DEP_1)
	v_add_f64 v[24:25], v[20:21], v[18:19]
	ds_cmpstore_rtn_b64 v[24:25], v23, v[24:25], v[20:21]
	s_waitcnt lgkmcnt(0)
	v_cmp_eq_u64_e32 vcc_lo, v[24:25], v[20:21]
	v_dual_mov_b32 v20, v24 :: v_dual_mov_b32 v21, v25
	s_or_b32 s56, vcc_lo, s56
	s_delay_alu instid0(SALU_CYCLE_1)
	s_and_not1_b32 exec_lo, exec_lo, s56
	s_cbranch_execnz .LBB78_51
; %bb.52:                               ;   in Loop: Header=BB78_47 Depth=2
	s_or_b32 exec_lo, exec_lo, s56
	v_mul_f64 v[6:7], v[14:15], v[6:7]
	s_mov_b32 s56, 0
	s_delay_alu instid0(VALU_DEP_1)
	v_fma_f64 v[4:5], v[8:9], v[4:5], v[6:7]
	ds_load_b64 v[6:7], v23 offset:8
.LBB78_53:                              ;   Parent Loop BB78_13 Depth=1
                                        ;     Parent Loop BB78_47 Depth=2
                                        ; =>    This Inner Loop Header: Depth=3
	s_waitcnt lgkmcnt(0)
	v_add_f64 v[18:19], v[6:7], v[4:5]
	ds_cmpstore_rtn_b64 v[18:19], v23, v[18:19], v[6:7] offset:8
	s_waitcnt lgkmcnt(0)
	v_cmp_eq_u64_e32 vcc_lo, v[18:19], v[6:7]
	v_dual_mov_b32 v6, v18 :: v_dual_mov_b32 v7, v19
	s_or_b32 s56, vcc_lo, s56
	s_delay_alu instid0(SALU_CYCLE_1)
	s_and_not1_b32 exec_lo, exec_lo, s56
	s_cbranch_execnz .LBB78_53
; %bb.54:                               ;   in Loop: Header=BB78_47 Depth=2
	s_or_b32 exec_lo, exec_lo, s56
	s_delay_alu instid0(SALU_CYCLE_1)
	s_or_b32 s18, s18, exec_lo
.LBB78_55:                              ;   in Loop: Header=BB78_47 Depth=2
	s_or_b32 exec_lo, exec_lo, s55
	s_delay_alu instid0(SALU_CYCLE_1)
	s_and_not1_b32 s54, s54, exec_lo
	s_and_b32 s55, s19, exec_lo
	s_mov_b32 s19, -1
	s_or_b32 s54, s54, s55
	s_and_saveexec_b32 s55, s18
	s_cbranch_execz .LBB78_46
; %bb.56:                               ;   in Loop: Header=BB78_47 Depth=2
	v_add_nc_u32_e32 v17, 0x200, v17
	s_and_not1_b32 s54, s54, exec_lo
	s_delay_alu instid0(VALU_DEP_1)
	v_cmp_le_i32_e32 vcc_lo, s51, v17
	s_or_not1_b32 s19, vcc_lo, exec_lo
	s_branch .LBB78_46
.LBB78_57:                              ;   in Loop: Header=BB78_13 Depth=1
	s_or_b32 exec_lo, exec_lo, s52
	s_and_saveexec_b32 s18, s53
	s_delay_alu instid0(SALU_CYCLE_1)
	s_xor_b32 s18, exec_lo, s18
; %bb.58:                               ;   in Loop: Header=BB78_13 Depth=1
	v_min_i32_e32 v45, v22, v45
; %bb.59:                               ;   in Loop: Header=BB78_13 Depth=1
	s_or_b32 exec_lo, exec_lo, s18
.LBB78_60:                              ;   in Loop: Header=BB78_13 Depth=1
	s_delay_alu instid0(SALU_CYCLE_1)
	s_or_b32 exec_lo, exec_lo, s20
.LBB78_61:                              ;   in Loop: Header=BB78_13 Depth=1
	ds_bpermute_b32 v4, v33, v45
	s_waitcnt lgkmcnt(0)
	v_min_i32_e32 v4, v4, v45
	ds_bpermute_b32 v5, v34, v4
	s_waitcnt lgkmcnt(0)
	v_min_i32_e32 v4, v5, v4
	;; [unrolled: 3-line block ×3, first 2 shown]
	ds_bpermute_b32 v5, v37, v4
	s_and_saveexec_b32 s18, s1
	s_cbranch_execz .LBB78_66
; %bb.62:                               ;   in Loop: Header=BB78_13 Depth=1
	s_waitcnt lgkmcnt(0)
	v_min_i32_e32 v4, v5, v4
	s_mov_b32 s20, exec_lo
	s_brev_b32 s19, -2
.LBB78_63:                              ;   Parent Loop BB78_13 Depth=1
                                        ; =>  This Inner Loop Header: Depth=2
	s_ctz_i32_b32 s51, s20
	s_delay_alu instid0(VALU_DEP_1) | instid1(SALU_CYCLE_1)
	v_readlane_b32 s52, v4, s51
	s_lshl_b32 s51, 1, s51
	s_delay_alu instid0(SALU_CYCLE_1) | instskip(NEXT) | instid1(VALU_DEP_1)
	s_and_not1_b32 s20, s20, s51
	s_min_i32 s19, s19, s52
	s_cmp_lg_u32 s20, 0
	s_cbranch_scc1 .LBB78_63
; %bb.64:                               ;   in Loop: Header=BB78_13 Depth=1
	v_mbcnt_lo_u32_b32 v4, exec_lo, 0
	s_mov_b32 s20, exec_lo
	s_delay_alu instid0(VALU_DEP_1)
	v_cmpx_eq_u32_e32 0, v4
	s_xor_b32 s20, exec_lo, s20
	s_cbranch_execz .LBB78_66
; %bb.65:                               ;   in Loop: Header=BB78_13 Depth=1
	v_mov_b32_e32 v4, s19
	ds_min_i32 v0, v4 offset:34816
.LBB78_66:                              ;   in Loop: Header=BB78_13 Depth=1
	s_or_b32 exec_lo, exec_lo, s18
	s_waitcnt lgkmcnt(0)
	v_dual_mov_b32 v4, v40 :: v_dual_mov_b32 v5, v39
	s_mov_b32 s18, 0
	s_waitcnt_vscnt null, 0x0
	s_barrier
	buffer_gl0_inv
	s_branch .LBB78_68
.LBB78_67:                              ;   in Loop: Header=BB78_68 Depth=2
	s_or_b32 exec_lo, exec_lo, s19
	s_waitcnt lgkmcnt(0)
	s_waitcnt_vscnt null, 0x0
	s_barrier
	buffer_gl0_inv
	ds_load_b32 v6, v0 offset:60
	v_add_nc_u32_e32 v5, 0x200, v5
	v_add_nc_u32_e32 v4, 0x2000, v4
	s_delay_alu instid0(VALU_DEP_2)
	v_cmp_lt_u32_e32 vcc_lo, 0x5ff, v5
	s_or_b32 s18, vcc_lo, s18
	s_waitcnt lgkmcnt(0)
	v_add_nc_u32_e32 v41, v6, v41
	s_and_not1_b32 exec_lo, exec_lo, s18
	s_cbranch_execz .LBB78_12
.LBB78_68:                              ;   Parent Loop BB78_13 Depth=1
                                        ; =>  This Inner Loop Header: Depth=2
	ds_load_u8 v6, v5 offset:33280
	ds_load_2addr_b64 v[17:20], v4 offset1:1
	s_waitcnt lgkmcnt(1)
	v_cmp_ne_u16_e32 vcc_lo, 0, v6
	s_waitcnt lgkmcnt(0)
	ds_store_2addr_b64 v36, v[17:18], v[19:20] offset1:1
	s_waitcnt lgkmcnt(0)
	s_barrier
	buffer_gl0_inv
	s_bcnt1_i32_b32 s19, vcc_lo
	s_delay_alu instid0(SALU_CYCLE_1)
	v_mov_b32_e32 v7, s19
	s_mov_b32 s19, exec_lo
	ds_store_b32 v38, v7
	s_waitcnt lgkmcnt(0)
	s_barrier
	buffer_gl0_inv
	ds_load_b128 v[17:20], v0
	ds_load_b128 v[21:24], v0 offset:16
	v_and_b32_e32 v7, vcc_lo, v16
	ds_load_b128 v[25:28], v0 offset:32
	s_waitcnt lgkmcnt(2)
	v_cndmask_b32_e64 v17, v17, 0, s3
	v_cndmask_b32_e64 v29, v18, 0, s4
	;; [unrolled: 1-line block ×4, first 2 shown]
	s_waitcnt lgkmcnt(1)
	v_cndmask_b32_e64 v21, v21, 0, s7
	v_bcnt_u32_b32 v7, v7, v17
	ds_load_b96 v[17:19], v0 offset:48
	v_cndmask_b32_e64 v22, v22, 0, s8
	v_cndmask_b32_e64 v23, v23, 0, s9
	v_add3_u32 v7, v7, v29, v43
	s_delay_alu instid0(VALU_DEP_1) | instskip(SKIP_3) | instid1(VALU_DEP_3)
	v_add3_u32 v7, v7, v20, v21
	v_cndmask_b32_e64 v20, v24, 0, s10
	s_waitcnt lgkmcnt(1)
	v_cndmask_b32_e64 v21, v25, 0, s11
	v_add3_u32 v7, v7, v22, v23
	v_cndmask_b32_e64 v22, v26, 0, s12
	v_cndmask_b32_e64 v23, v27, 0, s13
	s_delay_alu instid0(VALU_DEP_3)
	v_add3_u32 v7, v7, v20, v21
	v_cndmask_b32_e64 v20, v28, 0, s14
	s_waitcnt lgkmcnt(0)
	v_cndmask_b32_e64 v17, v17, 0, s15
	v_cndmask_b32_e64 v18, v18, 0, s16
	;; [unrolled: 1-line block ×3, first 2 shown]
	v_add3_u32 v7, v7, v22, v23
	s_delay_alu instid0(VALU_DEP_1) | instskip(SKIP_1) | instid1(VALU_DEP_2)
	v_add3_u32 v7, v7, v20, v17
	v_and_b32_e32 v17, 1, v6
	v_add3_u32 v6, v7, v18, v19
	s_delay_alu instid0(VALU_DEP_2)
	v_cmpx_eq_u32_e32 1, v17
	s_cbranch_execz .LBB78_70
; %bb.69:                               ;   in Loop: Header=BB78_68 Depth=2
	s_delay_alu instid0(VALU_DEP_2) | instskip(SKIP_2) | instid1(VALU_DEP_1)
	v_add_nc_u32_e32 v21, v6, v41
	ds_load_2addr_b64 v[17:20], v36 offset1:1
	v_ashrrev_i32_e32 v22, 31, v21
	v_lshlrev_b64 v[21:22], 4, v[21:22]
	s_delay_alu instid0(VALU_DEP_1) | instskip(NEXT) | instid1(VALU_DEP_2)
	v_add_co_u32 v21, vcc_lo, s44, v21
	v_add_co_ci_u32_e32 v22, vcc_lo, s45, v22, vcc_lo
	s_waitcnt lgkmcnt(0)
	global_store_b128 v[21:22], v[17:20], off
.LBB78_70:                              ;   in Loop: Header=BB78_68 Depth=2
	s_or_b32 exec_lo, exec_lo, s19
	s_and_saveexec_b32 s19, s2
	s_cbranch_execz .LBB78_67
; %bb.71:                               ;   in Loop: Header=BB78_68 Depth=2
	ds_store_b32 v0, v6 offset:60
	s_branch .LBB78_67
.LBB78_72:
	s_endpgm
	.section	.rodata,"a",@progbits
	.p2align	6, 0x0
	.amdhsa_kernel _ZN9rocsparseL51csrgemm_numeric_fill_block_per_row_multipass_kernelILj512ELj16ELj2048ELj32Eii21rocsparse_complex_numIdEEEvT4_PKS3_S5_NS_24const_host_device_scalarIT5_EEPKT3_S5_PKS7_SB_S5_SD_S8_SB_S5_SD_SB_S5_PS7_PS9_21rocsparse_index_base_SG_SG_SG_bbb
		.amdhsa_group_segment_fixed_size 43016
		.amdhsa_private_segment_fixed_size 24
		.amdhsa_kernarg_size 180
		.amdhsa_user_sgpr_count 15
		.amdhsa_user_sgpr_dispatch_ptr 1
		.amdhsa_user_sgpr_queue_ptr 0
		.amdhsa_user_sgpr_kernarg_segment_ptr 1
		.amdhsa_user_sgpr_dispatch_id 0
		.amdhsa_user_sgpr_private_segment_size 0
		.amdhsa_wavefront_size32 1
		.amdhsa_uses_dynamic_stack 0
		.amdhsa_enable_private_segment 1
		.amdhsa_system_sgpr_workgroup_id_x 1
		.amdhsa_system_sgpr_workgroup_id_y 0
		.amdhsa_system_sgpr_workgroup_id_z 0
		.amdhsa_system_sgpr_workgroup_info 0
		.amdhsa_system_vgpr_workitem_id 2
		.amdhsa_next_free_vgpr 51
		.amdhsa_next_free_sgpr 59
		.amdhsa_reserve_vcc 1
		.amdhsa_float_round_mode_32 0
		.amdhsa_float_round_mode_16_64 0
		.amdhsa_float_denorm_mode_32 3
		.amdhsa_float_denorm_mode_16_64 3
		.amdhsa_dx10_clamp 1
		.amdhsa_ieee_mode 1
		.amdhsa_fp16_overflow 0
		.amdhsa_workgroup_processor_mode 1
		.amdhsa_memory_ordered 1
		.amdhsa_forward_progress 0
		.amdhsa_shared_vgpr_count 0
		.amdhsa_exception_fp_ieee_invalid_op 0
		.amdhsa_exception_fp_denorm_src 0
		.amdhsa_exception_fp_ieee_div_zero 0
		.amdhsa_exception_fp_ieee_overflow 0
		.amdhsa_exception_fp_ieee_underflow 0
		.amdhsa_exception_fp_ieee_inexact 0
		.amdhsa_exception_int_div_zero 0
	.end_amdhsa_kernel
	.section	.text._ZN9rocsparseL51csrgemm_numeric_fill_block_per_row_multipass_kernelILj512ELj16ELj2048ELj32Eii21rocsparse_complex_numIdEEEvT4_PKS3_S5_NS_24const_host_device_scalarIT5_EEPKT3_S5_PKS7_SB_S5_SD_S8_SB_S5_SD_SB_S5_PS7_PS9_21rocsparse_index_base_SG_SG_SG_bbb,"axG",@progbits,_ZN9rocsparseL51csrgemm_numeric_fill_block_per_row_multipass_kernelILj512ELj16ELj2048ELj32Eii21rocsparse_complex_numIdEEEvT4_PKS3_S5_NS_24const_host_device_scalarIT5_EEPKT3_S5_PKS7_SB_S5_SD_S8_SB_S5_SD_SB_S5_PS7_PS9_21rocsparse_index_base_SG_SG_SG_bbb,comdat
.Lfunc_end78:
	.size	_ZN9rocsparseL51csrgemm_numeric_fill_block_per_row_multipass_kernelILj512ELj16ELj2048ELj32Eii21rocsparse_complex_numIdEEEvT4_PKS3_S5_NS_24const_host_device_scalarIT5_EEPKT3_S5_PKS7_SB_S5_SD_S8_SB_S5_SD_SB_S5_PS7_PS9_21rocsparse_index_base_SG_SG_SG_bbb, .Lfunc_end78-_ZN9rocsparseL51csrgemm_numeric_fill_block_per_row_multipass_kernelILj512ELj16ELj2048ELj32Eii21rocsparse_complex_numIdEEEvT4_PKS3_S5_NS_24const_host_device_scalarIT5_EEPKT3_S5_PKS7_SB_S5_SD_S8_SB_S5_SD_SB_S5_PS7_PS9_21rocsparse_index_base_SG_SG_SG_bbb
                                        ; -- End function
	.section	.AMDGPU.csdata,"",@progbits
; Kernel info:
; codeLenInByte = 3408
; NumSgprs: 61
; NumVgprs: 51
; ScratchSize: 24
; MemoryBound: 0
; FloatMode: 240
; IeeeMode: 1
; LDSByteSize: 43016 bytes/workgroup (compile time only)
; SGPRBlocks: 7
; VGPRBlocks: 6
; NumSGPRsForWavesPerEU: 61
; NumVGPRsForWavesPerEU: 51
; Occupancy: 12
; WaveLimiterHint : 1
; COMPUTE_PGM_RSRC2:SCRATCH_EN: 1
; COMPUTE_PGM_RSRC2:USER_SGPR: 15
; COMPUTE_PGM_RSRC2:TRAP_HANDLER: 0
; COMPUTE_PGM_RSRC2:TGID_X_EN: 1
; COMPUTE_PGM_RSRC2:TGID_Y_EN: 0
; COMPUTE_PGM_RSRC2:TGID_Z_EN: 0
; COMPUTE_PGM_RSRC2:TIDIG_COMP_CNT: 2
	.section	.text._ZN9rocsparseL51csrgemm_numeric_fill_block_per_row_multipass_kernelILj512ELj16ELj2048ELj64Eii21rocsparse_complex_numIdEEEvT4_PKS3_S5_NS_24const_host_device_scalarIT5_EEPKT3_S5_PKS7_SB_S5_SD_S8_SB_S5_SD_SB_S5_PS7_PS9_21rocsparse_index_base_SG_SG_SG_bbb,"axG",@progbits,_ZN9rocsparseL51csrgemm_numeric_fill_block_per_row_multipass_kernelILj512ELj16ELj2048ELj64Eii21rocsparse_complex_numIdEEEvT4_PKS3_S5_NS_24const_host_device_scalarIT5_EEPKT3_S5_PKS7_SB_S5_SD_S8_SB_S5_SD_SB_S5_PS7_PS9_21rocsparse_index_base_SG_SG_SG_bbb,comdat
	.globl	_ZN9rocsparseL51csrgemm_numeric_fill_block_per_row_multipass_kernelILj512ELj16ELj2048ELj64Eii21rocsparse_complex_numIdEEEvT4_PKS3_S5_NS_24const_host_device_scalarIT5_EEPKT3_S5_PKS7_SB_S5_SD_S8_SB_S5_SD_SB_S5_PS7_PS9_21rocsparse_index_base_SG_SG_SG_bbb ; -- Begin function _ZN9rocsparseL51csrgemm_numeric_fill_block_per_row_multipass_kernelILj512ELj16ELj2048ELj64Eii21rocsparse_complex_numIdEEEvT4_PKS3_S5_NS_24const_host_device_scalarIT5_EEPKT3_S5_PKS7_SB_S5_SD_S8_SB_S5_SD_SB_S5_PS7_PS9_21rocsparse_index_base_SG_SG_SG_bbb
	.p2align	8
	.type	_ZN9rocsparseL51csrgemm_numeric_fill_block_per_row_multipass_kernelILj512ELj16ELj2048ELj64Eii21rocsparse_complex_numIdEEEvT4_PKS3_S5_NS_24const_host_device_scalarIT5_EEPKT3_S5_PKS7_SB_S5_SD_S8_SB_S5_SD_SB_S5_PS7_PS9_21rocsparse_index_base_SG_SG_SG_bbb,@function
_ZN9rocsparseL51csrgemm_numeric_fill_block_per_row_multipass_kernelILj512ELj16ELj2048ELj64Eii21rocsparse_complex_numIdEEEvT4_PKS3_S5_NS_24const_host_device_scalarIT5_EEPKT3_S5_PKS7_SB_S5_SD_S8_SB_S5_SD_SB_S5_PS7_PS9_21rocsparse_index_base_SG_SG_SG_bbb: ; @_ZN9rocsparseL51csrgemm_numeric_fill_block_per_row_multipass_kernelILj512ELj16ELj2048ELj64Eii21rocsparse_complex_numIdEEEvT4_PKS3_S5_NS_24const_host_device_scalarIT5_EEPKT3_S5_PKS7_SB_S5_SD_S8_SB_S5_SD_SB_S5_PS7_PS9_21rocsparse_index_base_SG_SG_SG_bbb
; %bb.0:
	s_clause 0x3
	s_load_b32 s5, s[2:3], 0xb0
	s_load_b256 s[16:23], s[2:3], 0x8
	s_load_b128 s[8:11], s[2:3], 0x58
	s_load_b128 s[28:31], s[2:3], 0xa0
	v_mov_b32_e32 v8, 0
	v_mov_b32_e32 v9, 0
	s_waitcnt lgkmcnt(0)
	s_bitcmp1_b32 s5, 0
	v_dual_mov_b32 v1, s20 :: v_dual_mov_b32 v2, s21
	s_cselect_b32 s42, -1, 0
	s_bitcmp1_b32 s5, 16
	v_dual_mov_b32 v11, v9 :: v_dual_mov_b32 v10, v8
	s_cselect_b32 s4, -1, 0
	v_dual_mov_b32 v13, v9 :: v_dual_mov_b32 v12, v8
	v_dual_mov_b32 v3, s8 :: v_dual_mov_b32 v4, s9
	s_xor_b32 s12, s4, -1
	s_bitcmp0_b32 s5, 0
	s_clause 0x1
	scratch_store_b64 off, v[1:2], off
	scratch_store_b64 off, v[3:4], off offset:8
	s_cbranch_scc1 .LBB79_3
; %bb.1:
	s_mov_b64 s[6:7], src_private_base
	s_and_b32 s6, s4, exec_lo
	s_cselect_b32 s6, s7, s21
	s_delay_alu instid0(SALU_CYCLE_1) | instskip(SKIP_2) | instid1(VALU_DEP_2)
	v_dual_mov_b32 v1, 0 :: v_dual_mov_b32 v2, s6
	v_dual_mov_b32 v12, s22 :: v_dual_mov_b32 v13, s23
	s_and_not1_b32 vcc_lo, exec_lo, s12
	v_cndmask_b32_e64 v1, s20, v1, s4
	flat_load_b64 v[10:11], v[1:2]
	s_cbranch_vccnz .LBB79_3
; %bb.2:
	v_dual_mov_b32 v1, s20 :: v_dual_mov_b32 v2, s21
	flat_load_b64 v[12:13], v[1:2] offset:8
.LBB79_3:
	s_load_b64 s[6:7], s[2:3], 0x28
	s_bitcmp1_b32 s5, 8
	v_dual_mov_b32 v15, v9 :: v_dual_mov_b32 v14, v8
	s_cselect_b32 s33, -1, 0
	s_bfe_u32 s5, s5, 0x10008
	s_delay_alu instid0(SALU_CYCLE_1)
	s_cmp_eq_u32 s5, 0
	s_cbranch_scc1 .LBB79_6
; %bb.4:
	s_mov_b64 s[20:21], src_private_base
	s_and_b32 s5, s4, exec_lo
	s_cselect_b32 s5, s21, s9
	s_delay_alu instid0(SALU_CYCLE_1) | instskip(SKIP_2) | instid1(VALU_DEP_2)
	v_dual_mov_b32 v1, 8 :: v_dual_mov_b32 v2, s5
	v_dual_mov_b32 v8, s10 :: v_dual_mov_b32 v9, s11
	s_and_not1_b32 vcc_lo, exec_lo, s12
	v_cndmask_b32_e64 v1, s8, v1, s4
	flat_load_b64 v[14:15], v[1:2]
	s_cbranch_vccnz .LBB79_6
; %bb.5:
	v_dual_mov_b32 v1, s8 :: v_dual_mov_b32 v2, s9
	flat_load_b64 v[8:9], v[1:2] offset:8
.LBB79_6:
	s_load_b32 s4, s[16:17], 0x0
	s_mov_b32 s35, 0
	s_mov_b32 s8, 0
	s_waitcnt lgkmcnt(0)
	s_add_i32 s34, s4, s15
	s_delay_alu instid0(SALU_CYCLE_1) | instskip(NEXT) | instid1(SALU_CYCLE_1)
	s_lshl_b64 s[4:5], s[34:35], 2
	s_add_u32 s4, s18, s4
	s_addc_u32 s5, s19, s5
	s_and_not1_b32 vcc_lo, exec_lo, s42
	s_load_b32 s4, s[4:5], 0x0
	s_cbranch_vccz .LBB79_9
; %bb.7:
	s_and_not1_b32 vcc_lo, exec_lo, s42
	s_cbranch_vccz .LBB79_10
.LBB79_8:
	s_load_b32 s34, s[2:3], 0x0
	s_waitcnt lgkmcnt(0)
	s_cmp_lt_i32 s34, 1
	s_cbranch_scc0 .LBB79_11
	s_branch .LBB79_72
.LBB79_9:
	s_waitcnt lgkmcnt(0)
	s_ashr_i32 s5, s4, 31
	s_delay_alu instid0(SALU_CYCLE_1) | instskip(NEXT) | instid1(SALU_CYCLE_1)
	s_lshl_b64 s[8:9], s[4:5], 2
	s_add_u32 s8, s6, s8
	s_addc_u32 s9, s7, s9
	s_load_b32 s5, s[8:9], 0x0
	s_waitcnt lgkmcnt(0)
	s_sub_i32 s8, s5, s28
	s_and_not1_b32 vcc_lo, exec_lo, s42
	s_cbranch_vccnz .LBB79_8
.LBB79_10:
	s_waitcnt lgkmcnt(0)
	s_ashr_i32 s5, s4, 31
	s_delay_alu instid0(SALU_CYCLE_1) | instskip(NEXT) | instid1(SALU_CYCLE_1)
	s_lshl_b64 s[10:11], s[4:5], 2
	s_add_u32 s6, s6, s10
	s_addc_u32 s7, s7, s11
	s_load_b32 s5, s[6:7], 0x4
	s_waitcnt lgkmcnt(0)
	s_sub_i32 s35, s5, s28
	s_load_b32 s34, s[2:3], 0x0
	s_waitcnt lgkmcnt(0)
	s_cmp_lt_i32 s34, 1
	s_cbranch_scc1 .LBB79_72
.LBB79_11:
	s_load_b64 s[6:7], s[0:1], 0x4
	s_clause 0x3
	s_load_b256 s[12:19], s[2:3], 0x68
	s_load_b128 s[36:39], s[2:3], 0x90
	s_load_b64 s[40:41], s[2:3], 0x50
	s_load_b256 s[20:27], s[2:3], 0x30
	v_mbcnt_lo_u32_b32 v3, -1, 0
	s_ashr_i32 s5, s4, 31
	v_bfe_u32 v2, v0, 10, 10
	s_lshl_b64 s[2:3], s[4:5], 2
	v_mov_b32_e32 v43, 0x800
	v_xor_b32_e32 v5, 8, v3
	v_xor_b32_e32 v6, 4, v3
	;; [unrolled: 1-line block ×5, first 2 shown]
	v_cmp_gt_i32_e32 vcc_lo, 32, v5
	v_mov_b32_e32 v42, 1
	s_waitcnt lgkmcnt(0)
	s_lshr_b32 s6, s6, 16
	s_add_u32 s4, s18, s2
	s_addc_u32 s5, s19, s3
	v_cndmask_b32_e32 v5, v3, v5, vcc_lo
	s_load_b32 s4, s[4:5], 0x0
	v_cmp_gt_i32_e32 vcc_lo, 32, v6
	v_and_b32_e32 v1, 0x3ff, v0
	s_mul_i32 s6, s6, s7
	v_bfe_u32 v0, v0, 20, 10
	v_mul_u32_u24_e32 v2, s7, v2
	v_cndmask_b32_e32 v6, v3, v6, vcc_lo
	v_mul_lo_u32 v18, s6, v1
	v_lshrrev_b32_e32 v4, 4, v1
	v_cmp_gt_i32_e32 vcc_lo, 32, v7
	v_and_b32_e32 v30, 15, v1
	v_cmp_eq_u32_e64 s0, 0, v1
	v_subrev_nc_u32_e32 v31, s31, v1
	v_dual_cndmask_b32 v7, v3, v7 :: v_dual_add_nc_u32 v32, s8, v4
	v_cmp_gt_i32_e32 vcc_lo, 32, v16
	v_add3_u32 v0, v18, v2, v0
	v_cmp_eq_u32_e64 s1, 15, v30
	v_lshlrev_b32_e32 v34, 2, v6
	v_lshlrev_b32_e32 v35, 2, v7
	v_cndmask_b32_e32 v3, v3, v16, vcc_lo
	v_cmp_gt_i32_e32 vcc_lo, s35, v32
	v_lshl_add_u32 v37, v0, 4, 0x8808
	v_mov_b32_e32 v0, 0
	s_waitcnt lgkmcnt(0)
	s_sub_i32 s10, s4, s30
	s_add_u32 s18, s12, s2
	s_addc_u32 s19, s13, s3
	v_lshrrev_b64 v[16:17], v17, -1
	s_and_b32 s13, s42, vcc_lo
	v_dual_mov_b32 v2, v0 :: v_dual_lshlrev_b32 v33, 2, v5
	v_dual_mov_b32 v41, s10 :: v_dual_lshlrev_b32 v36, 2, v3
	v_and_b32_e32 v38, 28, v4
	v_cmp_eq_u32_e64 s2, 0x1ff, v1
	v_cmp_gt_u32_e64 s3, 64, v1
	v_cmp_gt_u32_e64 s4, 0x80, v1
	v_cmp_gt_u32_e64 s5, 0xc0, v1
	v_cmp_gt_u32_e64 s6, 0x100, v1
	v_cmp_gt_u32_e64 s7, 0x140, v1
	v_cmp_gt_u32_e64 s8, 0x180, v1
	v_cmp_gt_u32_e64 s9, 0x1c0, v1
	s_add_u32 s30, s24, 4
	v_or_b32_e32 v39, 0xfffffe00, v1
	v_dual_mov_b32 v3, v0 :: v_dual_lshlrev_b32 v40, 4, v1
	v_mov_b32_e32 v1, v0
	v_mov_b32_e32 v44, v0
	s_addc_u32 s42, s25, 0
	s_add_u32 s36, s36, -16
	s_addc_u32 s37, s37, -1
	s_branch .LBB79_13
.LBB79_12:                              ;   in Loop: Header=BB79_13 Depth=1
	s_or_b32 exec_lo, exec_lo, s10
	ds_load_b32 v44, v0 offset:34816
	s_waitcnt lgkmcnt(0)
	s_barrier
	buffer_gl0_inv
	v_cmp_le_i32_e32 vcc_lo, s34, v44
	v_add_nc_u32_e32 v43, 0x800, v44
	s_cbranch_vccnz .LBB79_72
.LBB79_13:                              ; =>This Loop Header: Depth=1
                                        ;     Child Loop BB79_14 Depth 2
                                        ;     Child Loop BB79_20 Depth 2
                                        ;       Child Loop BB79_26 Depth 3
                                        ;         Child Loop BB79_30 Depth 4
                                        ;         Child Loop BB79_32 Depth 4
                                        ;     Child Loop BB79_47 Depth 2
                                        ;       Child Loop BB79_51 Depth 3
                                        ;       Child Loop BB79_53 Depth 3
                                        ;     Child Loop BB79_63 Depth 2
                                        ;     Child Loop BB79_68 Depth 2
	v_dual_mov_b32 v4, v40 :: v_dual_mov_b32 v5, v39
	s_mov_b32 s10, 0
.LBB79_14:                              ;   Parent Loop BB79_13 Depth=1
                                        ; =>  This Inner Loop Header: Depth=2
	ds_store_b8 v5, v0 offset:33280
	v_add_nc_u32_e32 v5, 0x200, v5
	ds_store_b128 v4, v[0:3]
	v_add_nc_u32_e32 v4, 0x2000, v4
	v_cmp_lt_u32_e32 vcc_lo, 0x5ff, v5
	s_or_b32 s10, vcc_lo, s10
	s_delay_alu instid0(SALU_CYCLE_1)
	s_and_not1_b32 exec_lo, exec_lo, s10
	s_cbranch_execnz .LBB79_14
; %bb.15:                               ;   in Loop: Header=BB79_13 Depth=1
	s_or_b32 exec_lo, exec_lo, s10
	s_and_saveexec_b32 s10, s0
	s_cbranch_execz .LBB79_17
; %bb.16:                               ;   in Loop: Header=BB79_13 Depth=1
	v_mov_b32_e32 v4, s34
	ds_store_b32 v0, v4 offset:34816
.LBB79_17:                              ;   in Loop: Header=BB79_13 Depth=1
	s_or_b32 exec_lo, exec_lo, s10
	v_mov_b32_e32 v45, s34
	s_waitcnt vmcnt(0) lgkmcnt(0)
	s_waitcnt_vscnt null, 0x0
	s_barrier
	buffer_gl0_inv
	s_and_saveexec_b32 s43, s13
	s_cbranch_execz .LBB79_43
; %bb.18:                               ;   in Loop: Header=BB79_13 Depth=1
	v_cmp_ne_u32_e64 s10, 0, v44
	v_mov_b32_e32 v45, s34
	v_mov_b32_e32 v17, v32
	s_mov_b32 s44, 0
	s_branch .LBB79_20
.LBB79_19:                              ;   in Loop: Header=BB79_20 Depth=2
	s_or_b32 exec_lo, exec_lo, s11
	v_add_nc_u32_e32 v17, 32, v17
	s_delay_alu instid0(VALU_DEP_1) | instskip(SKIP_1) | instid1(SALU_CYCLE_1)
	v_cmp_le_i32_e32 vcc_lo, s35, v17
	s_or_b32 s44, vcc_lo, s44
	s_and_not1_b32 exec_lo, exec_lo, s44
	s_cbranch_execz .LBB79_42
.LBB79_20:                              ;   Parent Loop BB79_13 Depth=1
                                        ; =>  This Loop Header: Depth=2
                                        ;       Child Loop BB79_26 Depth 3
                                        ;         Child Loop BB79_30 Depth 4
                                        ;         Child Loop BB79_32 Depth 4
	s_delay_alu instid0(VALU_DEP_1) | instskip(NEXT) | instid1(VALU_DEP_1)
	v_ashrrev_i32_e32 v18, 31, v17
	v_lshlrev_b64 v[19:20], 2, v[17:18]
	v_lshlrev_b64 v[6:7], 4, v[17:18]
	s_delay_alu instid0(VALU_DEP_2) | instskip(SKIP_1) | instid1(VALU_DEP_3)
	v_add_co_u32 v4, vcc_lo, s20, v19
	s_waitcnt lgkmcnt(0)
	v_add_co_ci_u32_e32 v5, vcc_lo, s21, v20, vcc_lo
	global_load_b32 v18, v[4:5], off
	v_add_co_u32 v4, vcc_lo, s22, v6
	v_add_co_ci_u32_e32 v5, vcc_lo, s23, v7, vcc_lo
	s_and_b32 vcc_lo, exec_lo, s10
	global_load_b128 v[4:7], v[4:5], off
	s_waitcnt vmcnt(1)
	v_subrev_nc_u32_e32 v21, s28, v18
	s_delay_alu instid0(VALU_DEP_1)
	v_ashrrev_i32_e32 v22, 31, v21
	s_cbranch_vccz .LBB79_41
; %bb.21:                               ;   in Loop: Header=BB79_20 Depth=2
	v_add_co_u32 v23, vcc_lo, s38, v19
	v_add_co_ci_u32_e32 v24, vcc_lo, s39, v20, vcc_lo
	global_load_b32 v18, v[23:24], off
	s_cbranch_execnz .LBB79_23
.LBB79_22:                              ;   in Loop: Header=BB79_20 Depth=2
	s_delay_alu instid0(VALU_DEP_1) | instskip(NEXT) | instid1(VALU_DEP_1)
	v_lshlrev_b64 v[23:24], 2, v[21:22]
	v_add_co_u32 v23, vcc_lo, s24, v23
	s_delay_alu instid0(VALU_DEP_2)
	v_add_co_ci_u32_e32 v24, vcc_lo, s25, v24, vcc_lo
	global_load_b32 v18, v[23:24], off
	s_waitcnt vmcnt(0)
	v_subrev_nc_u32_e32 v18, s29, v18
.LBB79_23:                              ;   in Loop: Header=BB79_20 Depth=2
	v_lshlrev_b64 v[21:22], 2, v[21:22]
	s_waitcnt vmcnt(0)
	s_delay_alu instid0(VALU_DEP_2) | instskip(SKIP_1) | instid1(VALU_DEP_2)
	v_add_nc_u32_e32 v18, v18, v30
	s_mov_b32 s45, exec_lo
	v_add_co_u32 v21, vcc_lo, s30, v21
	s_delay_alu instid0(VALU_DEP_3) | instskip(SKIP_3) | instid1(VALU_DEP_1)
	v_add_co_ci_u32_e32 v22, vcc_lo, s42, v22, vcc_lo
	global_load_b32 v21, v[21:22], off
	s_waitcnt vmcnt(0)
	v_subrev_nc_u32_e32 v46, s29, v21
	v_cmpx_lt_i32_e64 v18, v46
	s_cbranch_execz .LBB79_39
; %bb.24:                               ;   in Loop: Header=BB79_20 Depth=2
	v_mul_f64 v[21:22], v[6:7], -v[12:13]
	v_mul_f64 v[6:7], v[10:11], v[6:7]
	v_mov_b32_e32 v25, v18
	s_mov_b32 s47, 0
                                        ; implicit-def: $sgpr46
                                        ; implicit-def: $sgpr48
	s_delay_alu instid0(VALU_DEP_3) | instskip(NEXT) | instid1(VALU_DEP_3)
	v_fma_f64 v[21:22], v[10:11], v[4:5], v[21:22]
	v_fma_f64 v[23:24], v[12:13], v[4:5], v[6:7]
	s_branch .LBB79_26
.LBB79_25:                              ;   in Loop: Header=BB79_26 Depth=3
	s_or_b32 exec_lo, exec_lo, s12
	s_delay_alu instid0(SALU_CYCLE_1) | instskip(SKIP_4) | instid1(SALU_CYCLE_1)
	s_and_b32 s11, exec_lo, s49
	v_mov_b32_e32 v25, v5
	s_or_b32 s47, s11, s47
	s_and_not1_b32 s11, s46, exec_lo
	s_and_b32 s12, s48, exec_lo
	s_or_b32 s46, s11, s12
	s_and_not1_b32 exec_lo, exec_lo, s47
	s_cbranch_execz .LBB79_36
.LBB79_26:                              ;   Parent Loop BB79_13 Depth=1
                                        ;     Parent Loop BB79_20 Depth=2
                                        ; =>    This Loop Header: Depth=3
                                        ;         Child Loop BB79_30 Depth 4
                                        ;         Child Loop BB79_32 Depth 4
	v_ashrrev_i32_e32 v26, 31, v25
	s_delay_alu instid0(VALU_DEP_1) | instskip(NEXT) | instid1(VALU_DEP_1)
	v_lshlrev_b64 v[4:5], 2, v[25:26]
	v_add_co_u32 v4, vcc_lo, s26, v4
	s_delay_alu instid0(VALU_DEP_2) | instskip(SKIP_3) | instid1(VALU_DEP_1)
	v_add_co_ci_u32_e32 v5, vcc_lo, s27, v5, vcc_lo
	global_load_b32 v4, v[4:5], off
	s_waitcnt vmcnt(0)
	v_subrev_nc_u32_e32 v47, s29, v4
	v_cmp_lt_i32_e64 s11, v47, v44
	v_cmp_ge_i32_e64 s12, v47, v43
	v_cmp_lt_i32_e32 vcc_lo, v47, v43
	s_delay_alu instid0(VALU_DEP_2) | instskip(SKIP_2) | instid1(SALU_CYCLE_1)
	s_or_b32 s49, s11, s12
	s_mov_b32 s11, 0
                                        ; implicit-def: $sgpr12
	s_and_saveexec_b32 s50, s49
	s_xor_b32 s49, exec_lo, s50
; %bb.27:                               ;   in Loop: Header=BB79_26 Depth=3
	s_mov_b32 s12, -1
	s_and_b32 s11, vcc_lo, exec_lo
; %bb.28:                               ;   in Loop: Header=BB79_26 Depth=3
	s_and_not1_saveexec_b32 s49, s49
	s_cbranch_execz .LBB79_34
; %bb.29:                               ;   in Loop: Header=BB79_26 Depth=3
	v_lshlrev_b64 v[4:5], 4, v[25:26]
	v_sub_nc_u32_e32 v28, v47, v44
	s_mov_b32 s50, 0
	s_delay_alu instid0(VALU_DEP_1) | instskip(NEXT) | instid1(VALU_DEP_3)
	v_lshlrev_b32_e32 v48, 4, v28
	v_add_co_u32 v4, vcc_lo, s40, v4
	s_delay_alu instid0(VALU_DEP_4)
	v_add_co_ci_u32_e32 v5, vcc_lo, s41, v5, vcc_lo
	ds_store_b8 v28, v42 offset:32768
	ds_load_b64 v[28:29], v48
	global_load_b128 v[4:7], v[4:5], off
	s_waitcnt vmcnt(0)
	v_mul_f64 v[26:27], v[6:7], -v[23:24]
	s_delay_alu instid0(VALU_DEP_1)
	v_fma_f64 v[26:27], v[21:22], v[4:5], v[26:27]
.LBB79_30:                              ;   Parent Loop BB79_13 Depth=1
                                        ;     Parent Loop BB79_20 Depth=2
                                        ;       Parent Loop BB79_26 Depth=3
                                        ; =>      This Inner Loop Header: Depth=4
	s_waitcnt lgkmcnt(0)
	s_delay_alu instid0(VALU_DEP_1)
	v_add_f64 v[49:50], v[28:29], v[26:27]
	ds_cmpstore_rtn_b64 v[49:50], v48, v[49:50], v[28:29]
	s_waitcnt lgkmcnt(0)
	v_cmp_eq_u64_e32 vcc_lo, v[49:50], v[28:29]
	v_dual_mov_b32 v28, v49 :: v_dual_mov_b32 v29, v50
	s_or_b32 s50, vcc_lo, s50
	s_delay_alu instid0(SALU_CYCLE_1)
	s_and_not1_b32 exec_lo, exec_lo, s50
	s_cbranch_execnz .LBB79_30
; %bb.31:                               ;   in Loop: Header=BB79_26 Depth=3
	s_or_b32 exec_lo, exec_lo, s50
	v_mul_f64 v[6:7], v[21:22], v[6:7]
	s_mov_b32 s50, 0
	s_delay_alu instid0(VALU_DEP_1)
	v_fma_f64 v[4:5], v[23:24], v[4:5], v[6:7]
	ds_load_b64 v[6:7], v48 offset:8
.LBB79_32:                              ;   Parent Loop BB79_13 Depth=1
                                        ;     Parent Loop BB79_20 Depth=2
                                        ;       Parent Loop BB79_26 Depth=3
                                        ; =>      This Inner Loop Header: Depth=4
	s_waitcnt lgkmcnt(0)
	v_add_f64 v[26:27], v[6:7], v[4:5]
	ds_cmpstore_rtn_b64 v[26:27], v48, v[26:27], v[6:7] offset:8
	s_waitcnt lgkmcnt(0)
	v_cmp_eq_u64_e32 vcc_lo, v[26:27], v[6:7]
	v_dual_mov_b32 v6, v26 :: v_dual_mov_b32 v7, v27
	s_or_b32 s50, vcc_lo, s50
	s_delay_alu instid0(SALU_CYCLE_1)
	s_and_not1_b32 exec_lo, exec_lo, s50
	s_cbranch_execnz .LBB79_32
; %bb.33:                               ;   in Loop: Header=BB79_26 Depth=3
	s_or_b32 exec_lo, exec_lo, s50
	s_delay_alu instid0(SALU_CYCLE_1)
	s_or_b32 s11, s11, exec_lo
.LBB79_34:                              ;   in Loop: Header=BB79_26 Depth=3
	s_or_b32 exec_lo, exec_lo, s49
	v_mov_b32_e32 v4, v25
	s_and_not1_b32 s48, s48, exec_lo
	s_and_b32 s12, s12, exec_lo
	s_mov_b32 s49, -1
	s_or_b32 s48, s48, s12
                                        ; implicit-def: $vgpr5
	s_and_saveexec_b32 s12, s11
	s_cbranch_execz .LBB79_25
; %bb.35:                               ;   in Loop: Header=BB79_26 Depth=3
	v_dual_mov_b32 v4, v25 :: v_dual_add_nc_u32 v5, 16, v25
	s_and_not1_b32 s48, s48, exec_lo
	s_delay_alu instid0(VALU_DEP_1)
	v_cmp_ge_i32_e32 vcc_lo, v5, v46
	s_or_not1_b32 s49, vcc_lo, exec_lo
	s_branch .LBB79_25
.LBB79_36:                              ;   in Loop: Header=BB79_20 Depth=2
	s_or_b32 exec_lo, exec_lo, s47
	s_and_saveexec_b32 s11, s46
	s_delay_alu instid0(SALU_CYCLE_1)
	s_xor_b32 s11, exec_lo, s11
; %bb.37:                               ;   in Loop: Header=BB79_20 Depth=2
	v_min_i32_e32 v45, v47, v45
	v_mov_b32_e32 v18, v4
; %bb.38:                               ;   in Loop: Header=BB79_20 Depth=2
	s_or_b32 exec_lo, exec_lo, s11
.LBB79_39:                              ;   in Loop: Header=BB79_20 Depth=2
	s_delay_alu instid0(SALU_CYCLE_1)
	s_or_b32 exec_lo, exec_lo, s45
	ds_bpermute_b32 v4, v33, v18
	s_waitcnt lgkmcnt(0)
	v_min_i32_e32 v4, v4, v18
	ds_bpermute_b32 v5, v34, v4
	s_waitcnt lgkmcnt(0)
	v_min_i32_e32 v4, v5, v4
	;; [unrolled: 3-line block ×3, first 2 shown]
	ds_bpermute_b32 v5, v36, v4
	s_and_saveexec_b32 s11, s1
	s_cbranch_execz .LBB79_19
; %bb.40:                               ;   in Loop: Header=BB79_20 Depth=2
	s_waitcnt lgkmcnt(0)
	v_min_i32_e32 v6, v5, v4
	v_add_co_u32 v4, vcc_lo, s38, v19
	v_add_co_ci_u32_e32 v5, vcc_lo, s39, v20, vcc_lo
	global_store_b32 v[4:5], v6, off
	s_branch .LBB79_19
.LBB79_41:                              ;   in Loop: Header=BB79_20 Depth=2
                                        ; implicit-def: $vgpr18
	s_branch .LBB79_22
.LBB79_42:                              ;   in Loop: Header=BB79_13 Depth=1
	s_or_b32 exec_lo, exec_lo, s44
.LBB79_43:                              ;   in Loop: Header=BB79_13 Depth=1
	s_delay_alu instid0(SALU_CYCLE_1) | instskip(NEXT) | instid1(SALU_CYCLE_1)
	s_or_b32 exec_lo, exec_lo, s43
	s_and_not1_b32 vcc_lo, exec_lo, s33
	s_cbranch_vccnz .LBB79_61
; %bb.44:                               ;   in Loop: Header=BB79_13 Depth=1
	s_load_b64 s[10:11], s[18:19], 0x0
	s_mov_b32 s12, exec_lo
	s_waitcnt lgkmcnt(0)
	v_add_nc_u32_e32 v17, s10, v31
	s_sub_i32 s43, s11, s31
	s_delay_alu instid0(VALU_DEP_1) | instid1(SALU_CYCLE_1)
	v_cmpx_gt_i32_e64 s43, v17
	s_cbranch_execz .LBB79_60
; %bb.45:                               ;   in Loop: Header=BB79_13 Depth=1
	s_mov_b32 s44, 0
                                        ; implicit-def: $sgpr45
                                        ; implicit-def: $sgpr46
	s_branch .LBB79_47
.LBB79_46:                              ;   in Loop: Header=BB79_47 Depth=2
	s_or_b32 exec_lo, exec_lo, s47
	s_delay_alu instid0(SALU_CYCLE_1) | instskip(NEXT) | instid1(SALU_CYCLE_1)
	s_and_b32 s10, exec_lo, s11
	s_or_b32 s44, s10, s44
	s_and_not1_b32 s10, s45, exec_lo
	s_and_b32 s11, s46, exec_lo
	s_delay_alu instid0(SALU_CYCLE_1)
	s_or_b32 s45, s10, s11
	s_and_not1_b32 exec_lo, exec_lo, s44
	s_cbranch_execz .LBB79_57
.LBB79_47:                              ;   Parent Loop BB79_13 Depth=1
                                        ; =>  This Loop Header: Depth=2
                                        ;       Child Loop BB79_51 Depth 3
                                        ;       Child Loop BB79_53 Depth 3
	v_ashrrev_i32_e32 v18, 31, v17
	s_delay_alu instid0(VALU_DEP_1) | instskip(NEXT) | instid1(VALU_DEP_1)
	v_lshlrev_b64 v[4:5], 2, v[17:18]
	v_add_co_u32 v4, vcc_lo, s14, v4
	s_delay_alu instid0(VALU_DEP_2) | instskip(SKIP_3) | instid1(VALU_DEP_1)
	v_add_co_ci_u32_e32 v5, vcc_lo, s15, v5, vcc_lo
	global_load_b32 v4, v[4:5], off
	s_waitcnt vmcnt(0)
	v_subrev_nc_u32_e32 v22, s31, v4
	v_cmp_lt_i32_e64 s10, v22, v44
	v_cmp_ge_i32_e64 s11, v22, v43
	v_cmp_lt_i32_e32 vcc_lo, v22, v43
	s_delay_alu instid0(VALU_DEP_2) | instskip(SKIP_2) | instid1(SALU_CYCLE_1)
	s_or_b32 s47, s10, s11
	s_mov_b32 s10, 0
                                        ; implicit-def: $sgpr11
	s_and_saveexec_b32 s48, s47
	s_xor_b32 s47, exec_lo, s48
; %bb.48:                               ;   in Loop: Header=BB79_47 Depth=2
	s_mov_b32 s11, -1
	s_and_b32 s10, vcc_lo, exec_lo
; %bb.49:                               ;   in Loop: Header=BB79_47 Depth=2
	s_and_not1_saveexec_b32 s47, s47
	s_cbranch_execz .LBB79_55
; %bb.50:                               ;   in Loop: Header=BB79_47 Depth=2
	v_lshlrev_b64 v[4:5], 4, v[17:18]
	v_sub_nc_u32_e32 v20, v22, v44
	s_mov_b32 s48, 0
	s_delay_alu instid0(VALU_DEP_1) | instskip(NEXT) | instid1(VALU_DEP_3)
	v_lshlrev_b32_e32 v23, 4, v20
	v_add_co_u32 v4, vcc_lo, s16, v4
	s_delay_alu instid0(VALU_DEP_4)
	v_add_co_ci_u32_e32 v5, vcc_lo, s17, v5, vcc_lo
	ds_store_b8 v20, v42 offset:32768
	ds_load_b64 v[20:21], v23
	global_load_b128 v[4:7], v[4:5], off
	s_waitcnt vmcnt(0)
	v_mul_f64 v[18:19], v[6:7], -v[8:9]
	s_delay_alu instid0(VALU_DEP_1)
	v_fma_f64 v[18:19], v[14:15], v[4:5], v[18:19]
.LBB79_51:                              ;   Parent Loop BB79_13 Depth=1
                                        ;     Parent Loop BB79_47 Depth=2
                                        ; =>    This Inner Loop Header: Depth=3
	s_waitcnt lgkmcnt(0)
	s_delay_alu instid0(VALU_DEP_1)
	v_add_f64 v[24:25], v[20:21], v[18:19]
	ds_cmpstore_rtn_b64 v[24:25], v23, v[24:25], v[20:21]
	s_waitcnt lgkmcnt(0)
	v_cmp_eq_u64_e32 vcc_lo, v[24:25], v[20:21]
	v_dual_mov_b32 v20, v24 :: v_dual_mov_b32 v21, v25
	s_or_b32 s48, vcc_lo, s48
	s_delay_alu instid0(SALU_CYCLE_1)
	s_and_not1_b32 exec_lo, exec_lo, s48
	s_cbranch_execnz .LBB79_51
; %bb.52:                               ;   in Loop: Header=BB79_47 Depth=2
	s_or_b32 exec_lo, exec_lo, s48
	v_mul_f64 v[6:7], v[14:15], v[6:7]
	s_mov_b32 s48, 0
	s_delay_alu instid0(VALU_DEP_1)
	v_fma_f64 v[4:5], v[8:9], v[4:5], v[6:7]
	ds_load_b64 v[6:7], v23 offset:8
.LBB79_53:                              ;   Parent Loop BB79_13 Depth=1
                                        ;     Parent Loop BB79_47 Depth=2
                                        ; =>    This Inner Loop Header: Depth=3
	s_waitcnt lgkmcnt(0)
	v_add_f64 v[18:19], v[6:7], v[4:5]
	ds_cmpstore_rtn_b64 v[18:19], v23, v[18:19], v[6:7] offset:8
	s_waitcnt lgkmcnt(0)
	v_cmp_eq_u64_e32 vcc_lo, v[18:19], v[6:7]
	v_dual_mov_b32 v6, v18 :: v_dual_mov_b32 v7, v19
	s_or_b32 s48, vcc_lo, s48
	s_delay_alu instid0(SALU_CYCLE_1)
	s_and_not1_b32 exec_lo, exec_lo, s48
	s_cbranch_execnz .LBB79_53
; %bb.54:                               ;   in Loop: Header=BB79_47 Depth=2
	s_or_b32 exec_lo, exec_lo, s48
	s_delay_alu instid0(SALU_CYCLE_1)
	s_or_b32 s10, s10, exec_lo
.LBB79_55:                              ;   in Loop: Header=BB79_47 Depth=2
	s_or_b32 exec_lo, exec_lo, s47
	s_delay_alu instid0(SALU_CYCLE_1)
	s_and_not1_b32 s46, s46, exec_lo
	s_and_b32 s47, s11, exec_lo
	s_mov_b32 s11, -1
	s_or_b32 s46, s46, s47
	s_and_saveexec_b32 s47, s10
	s_cbranch_execz .LBB79_46
; %bb.56:                               ;   in Loop: Header=BB79_47 Depth=2
	v_add_nc_u32_e32 v17, 0x200, v17
	s_and_not1_b32 s46, s46, exec_lo
	s_delay_alu instid0(VALU_DEP_1)
	v_cmp_le_i32_e32 vcc_lo, s43, v17
	s_or_not1_b32 s11, vcc_lo, exec_lo
	s_branch .LBB79_46
.LBB79_57:                              ;   in Loop: Header=BB79_13 Depth=1
	s_or_b32 exec_lo, exec_lo, s44
	s_and_saveexec_b32 s10, s45
	s_delay_alu instid0(SALU_CYCLE_1)
	s_xor_b32 s10, exec_lo, s10
; %bb.58:                               ;   in Loop: Header=BB79_13 Depth=1
	v_min_i32_e32 v45, v22, v45
; %bb.59:                               ;   in Loop: Header=BB79_13 Depth=1
	s_or_b32 exec_lo, exec_lo, s10
.LBB79_60:                              ;   in Loop: Header=BB79_13 Depth=1
	s_delay_alu instid0(SALU_CYCLE_1)
	s_or_b32 exec_lo, exec_lo, s12
.LBB79_61:                              ;   in Loop: Header=BB79_13 Depth=1
	ds_bpermute_b32 v4, v33, v45
	s_waitcnt lgkmcnt(0)
	v_min_i32_e32 v4, v4, v45
	ds_bpermute_b32 v5, v34, v4
	s_waitcnt lgkmcnt(0)
	v_min_i32_e32 v4, v5, v4
	;; [unrolled: 3-line block ×3, first 2 shown]
	ds_bpermute_b32 v5, v36, v4
	s_and_saveexec_b32 s10, s1
	s_cbranch_execz .LBB79_66
; %bb.62:                               ;   in Loop: Header=BB79_13 Depth=1
	s_waitcnt lgkmcnt(0)
	v_min_i32_e32 v4, v5, v4
	s_mov_b32 s12, exec_lo
	s_brev_b32 s11, -2
.LBB79_63:                              ;   Parent Loop BB79_13 Depth=1
                                        ; =>  This Inner Loop Header: Depth=2
	s_ctz_i32_b32 s43, s12
	s_delay_alu instid0(VALU_DEP_1) | instid1(SALU_CYCLE_1)
	v_readlane_b32 s44, v4, s43
	s_lshl_b32 s43, 1, s43
	s_delay_alu instid0(SALU_CYCLE_1) | instskip(NEXT) | instid1(VALU_DEP_1)
	s_and_not1_b32 s12, s12, s43
	s_min_i32 s11, s11, s44
	s_cmp_lg_u32 s12, 0
	s_cbranch_scc1 .LBB79_63
; %bb.64:                               ;   in Loop: Header=BB79_13 Depth=1
	v_mbcnt_lo_u32_b32 v4, exec_lo, 0
	s_mov_b32 s12, exec_lo
	s_delay_alu instid0(VALU_DEP_1)
	v_cmpx_eq_u32_e32 0, v4
	s_xor_b32 s12, exec_lo, s12
	s_cbranch_execz .LBB79_66
; %bb.65:                               ;   in Loop: Header=BB79_13 Depth=1
	v_mov_b32_e32 v4, s11
	ds_min_i32 v0, v4 offset:34816
.LBB79_66:                              ;   in Loop: Header=BB79_13 Depth=1
	s_or_b32 exec_lo, exec_lo, s10
	s_waitcnt lgkmcnt(0)
	v_dual_mov_b32 v4, v40 :: v_dual_mov_b32 v5, v39
	s_mov_b32 s10, 0
	s_waitcnt_vscnt null, 0x0
	s_barrier
	buffer_gl0_inv
	s_branch .LBB79_68
.LBB79_67:                              ;   in Loop: Header=BB79_68 Depth=2
	s_or_b32 exec_lo, exec_lo, s11
	s_waitcnt lgkmcnt(0)
	s_waitcnt_vscnt null, 0x0
	s_barrier
	buffer_gl0_inv
	ds_load_b32 v6, v0 offset:28
	v_add_nc_u32_e32 v5, 0x200, v5
	v_add_nc_u32_e32 v4, 0x2000, v4
	s_delay_alu instid0(VALU_DEP_2)
	v_cmp_lt_u32_e32 vcc_lo, 0x5ff, v5
	s_or_b32 s10, vcc_lo, s10
	s_waitcnt lgkmcnt(0)
	v_add_nc_u32_e32 v41, v6, v41
	s_and_not1_b32 exec_lo, exec_lo, s10
	s_cbranch_execz .LBB79_12
.LBB79_68:                              ;   Parent Loop BB79_13 Depth=1
                                        ; =>  This Inner Loop Header: Depth=2
	ds_load_u8 v6, v5 offset:33280
	ds_load_2addr_b64 v[17:20], v4 offset1:1
	s_waitcnt lgkmcnt(1)
	v_cmp_ne_u16_e32 vcc_lo, 0, v6
	s_waitcnt lgkmcnt(0)
	ds_store_2addr_b64 v37, v[17:18], v[19:20] offset1:1
	s_waitcnt lgkmcnt(0)
	s_barrier
	buffer_gl0_inv
	s_bcnt1_i32_b32 s11, vcc_lo
	s_delay_alu instid0(SALU_CYCLE_1)
	v_mov_b32_e32 v7, s11
	s_mov_b32 s11, exec_lo
	ds_store_b32 v38, v7
	s_waitcnt lgkmcnt(0)
	s_barrier
	buffer_gl0_inv
	ds_load_b128 v[17:20], v0
	ds_load_b96 v[21:23], v0 offset:16
	v_and_b32_e32 v7, vcc_lo, v16
	s_waitcnt lgkmcnt(1)
	v_cndmask_b32_e64 v17, v17, 0, s3
	v_cndmask_b32_e64 v18, v18, 0, s4
	;; [unrolled: 1-line block ×3, first 2 shown]
	s_delay_alu instid0(VALU_DEP_3) | instskip(SKIP_3) | instid1(VALU_DEP_3)
	v_bcnt_u32_b32 v7, v7, v17
	v_cndmask_b32_e64 v17, v20, 0, s6
	s_waitcnt lgkmcnt(0)
	v_cndmask_b32_e64 v20, v21, 0, s7
	v_add3_u32 v7, v7, v18, v19
	v_cndmask_b32_e64 v18, v22, 0, s8
	v_cndmask_b32_e64 v19, v23, 0, s9
	s_delay_alu instid0(VALU_DEP_3) | instskip(SKIP_1) | instid1(VALU_DEP_2)
	v_add3_u32 v7, v7, v17, v20
	v_and_b32_e32 v17, 1, v6
	v_add3_u32 v6, v7, v18, v19
	s_delay_alu instid0(VALU_DEP_2)
	v_cmpx_eq_u32_e32 1, v17
	s_cbranch_execz .LBB79_70
; %bb.69:                               ;   in Loop: Header=BB79_68 Depth=2
	s_delay_alu instid0(VALU_DEP_2) | instskip(SKIP_2) | instid1(VALU_DEP_1)
	v_add_nc_u32_e32 v21, v6, v41
	ds_load_2addr_b64 v[17:20], v37 offset1:1
	v_ashrrev_i32_e32 v22, 31, v21
	v_lshlrev_b64 v[21:22], 4, v[21:22]
	s_delay_alu instid0(VALU_DEP_1) | instskip(NEXT) | instid1(VALU_DEP_2)
	v_add_co_u32 v21, vcc_lo, s36, v21
	v_add_co_ci_u32_e32 v22, vcc_lo, s37, v22, vcc_lo
	s_waitcnt lgkmcnt(0)
	global_store_b128 v[21:22], v[17:20], off
.LBB79_70:                              ;   in Loop: Header=BB79_68 Depth=2
	s_or_b32 exec_lo, exec_lo, s11
	s_and_saveexec_b32 s11, s2
	s_cbranch_execz .LBB79_67
; %bb.71:                               ;   in Loop: Header=BB79_68 Depth=2
	ds_store_b32 v0, v6 offset:28
	s_branch .LBB79_67
.LBB79_72:
	s_endpgm
	.section	.rodata,"a",@progbits
	.p2align	6, 0x0
	.amdhsa_kernel _ZN9rocsparseL51csrgemm_numeric_fill_block_per_row_multipass_kernelILj512ELj16ELj2048ELj64Eii21rocsparse_complex_numIdEEEvT4_PKS3_S5_NS_24const_host_device_scalarIT5_EEPKT3_S5_PKS7_SB_S5_SD_S8_SB_S5_SD_SB_S5_PS7_PS9_21rocsparse_index_base_SG_SG_SG_bbb
		.amdhsa_group_segment_fixed_size 43016
		.amdhsa_private_segment_fixed_size 24
		.amdhsa_kernarg_size 180
		.amdhsa_user_sgpr_count 15
		.amdhsa_user_sgpr_dispatch_ptr 1
		.amdhsa_user_sgpr_queue_ptr 0
		.amdhsa_user_sgpr_kernarg_segment_ptr 1
		.amdhsa_user_sgpr_dispatch_id 0
		.amdhsa_user_sgpr_private_segment_size 0
		.amdhsa_wavefront_size32 1
		.amdhsa_uses_dynamic_stack 0
		.amdhsa_enable_private_segment 1
		.amdhsa_system_sgpr_workgroup_id_x 1
		.amdhsa_system_sgpr_workgroup_id_y 0
		.amdhsa_system_sgpr_workgroup_id_z 0
		.amdhsa_system_sgpr_workgroup_info 0
		.amdhsa_system_vgpr_workitem_id 2
		.amdhsa_next_free_vgpr 51
		.amdhsa_next_free_sgpr 51
		.amdhsa_reserve_vcc 1
		.amdhsa_float_round_mode_32 0
		.amdhsa_float_round_mode_16_64 0
		.amdhsa_float_denorm_mode_32 3
		.amdhsa_float_denorm_mode_16_64 3
		.amdhsa_dx10_clamp 1
		.amdhsa_ieee_mode 1
		.amdhsa_fp16_overflow 0
		.amdhsa_workgroup_processor_mode 1
		.amdhsa_memory_ordered 1
		.amdhsa_forward_progress 0
		.amdhsa_shared_vgpr_count 0
		.amdhsa_exception_fp_ieee_invalid_op 0
		.amdhsa_exception_fp_denorm_src 0
		.amdhsa_exception_fp_ieee_div_zero 0
		.amdhsa_exception_fp_ieee_overflow 0
		.amdhsa_exception_fp_ieee_underflow 0
		.amdhsa_exception_fp_ieee_inexact 0
		.amdhsa_exception_int_div_zero 0
	.end_amdhsa_kernel
	.section	.text._ZN9rocsparseL51csrgemm_numeric_fill_block_per_row_multipass_kernelILj512ELj16ELj2048ELj64Eii21rocsparse_complex_numIdEEEvT4_PKS3_S5_NS_24const_host_device_scalarIT5_EEPKT3_S5_PKS7_SB_S5_SD_S8_SB_S5_SD_SB_S5_PS7_PS9_21rocsparse_index_base_SG_SG_SG_bbb,"axG",@progbits,_ZN9rocsparseL51csrgemm_numeric_fill_block_per_row_multipass_kernelILj512ELj16ELj2048ELj64Eii21rocsparse_complex_numIdEEEvT4_PKS3_S5_NS_24const_host_device_scalarIT5_EEPKT3_S5_PKS7_SB_S5_SD_S8_SB_S5_SD_SB_S5_PS7_PS9_21rocsparse_index_base_SG_SG_SG_bbb,comdat
.Lfunc_end79:
	.size	_ZN9rocsparseL51csrgemm_numeric_fill_block_per_row_multipass_kernelILj512ELj16ELj2048ELj64Eii21rocsparse_complex_numIdEEEvT4_PKS3_S5_NS_24const_host_device_scalarIT5_EEPKT3_S5_PKS7_SB_S5_SD_S8_SB_S5_SD_SB_S5_PS7_PS9_21rocsparse_index_base_SG_SG_SG_bbb, .Lfunc_end79-_ZN9rocsparseL51csrgemm_numeric_fill_block_per_row_multipass_kernelILj512ELj16ELj2048ELj64Eii21rocsparse_complex_numIdEEEvT4_PKS3_S5_NS_24const_host_device_scalarIT5_EEPKT3_S5_PKS7_SB_S5_SD_S8_SB_S5_SD_SB_S5_PS7_PS9_21rocsparse_index_base_SG_SG_SG_bbb
                                        ; -- End function
	.section	.AMDGPU.csdata,"",@progbits
; Kernel info:
; codeLenInByte = 3184
; NumSgprs: 53
; NumVgprs: 51
; ScratchSize: 24
; MemoryBound: 0
; FloatMode: 240
; IeeeMode: 1
; LDSByteSize: 43016 bytes/workgroup (compile time only)
; SGPRBlocks: 6
; VGPRBlocks: 6
; NumSGPRsForWavesPerEU: 53
; NumVGPRsForWavesPerEU: 51
; Occupancy: 12
; WaveLimiterHint : 1
; COMPUTE_PGM_RSRC2:SCRATCH_EN: 1
; COMPUTE_PGM_RSRC2:USER_SGPR: 15
; COMPUTE_PGM_RSRC2:TRAP_HANDLER: 0
; COMPUTE_PGM_RSRC2:TGID_X_EN: 1
; COMPUTE_PGM_RSRC2:TGID_Y_EN: 0
; COMPUTE_PGM_RSRC2:TGID_Z_EN: 0
; COMPUTE_PGM_RSRC2:TIDIG_COMP_CNT: 2
	.section	.text._ZN9rocsparseL38csrgemm_numeric_fill_wf_per_row_kernelILj256ELj8ELj16ELj137EllfEEvT4_S1_PKS1_S3_NS_24const_host_device_scalarIT5_EEPKT3_S3_PKS5_S9_S3_SB_S6_S9_S3_SB_S9_S3_PS5_21rocsparse_index_base_SD_SD_SD_bbb,"axG",@progbits,_ZN9rocsparseL38csrgemm_numeric_fill_wf_per_row_kernelILj256ELj8ELj16ELj137EllfEEvT4_S1_PKS1_S3_NS_24const_host_device_scalarIT5_EEPKT3_S3_PKS5_S9_S3_SB_S6_S9_S3_SB_S9_S3_PS5_21rocsparse_index_base_SD_SD_SD_bbb,comdat
	.globl	_ZN9rocsparseL38csrgemm_numeric_fill_wf_per_row_kernelILj256ELj8ELj16ELj137EllfEEvT4_S1_PKS1_S3_NS_24const_host_device_scalarIT5_EEPKT3_S3_PKS5_S9_S3_SB_S6_S9_S3_SB_S9_S3_PS5_21rocsparse_index_base_SD_SD_SD_bbb ; -- Begin function _ZN9rocsparseL38csrgemm_numeric_fill_wf_per_row_kernelILj256ELj8ELj16ELj137EllfEEvT4_S1_PKS1_S3_NS_24const_host_device_scalarIT5_EEPKT3_S3_PKS5_S9_S3_SB_S6_S9_S3_SB_S9_S3_PS5_21rocsparse_index_base_SD_SD_SD_bbb
	.p2align	8
	.type	_ZN9rocsparseL38csrgemm_numeric_fill_wf_per_row_kernelILj256ELj8ELj16ELj137EllfEEvT4_S1_PKS1_S3_NS_24const_host_device_scalarIT5_EEPKT3_S3_PKS5_S9_S3_SB_S6_S9_S3_SB_S9_S3_PS5_21rocsparse_index_base_SD_SD_SD_bbb,@function
_ZN9rocsparseL38csrgemm_numeric_fill_wf_per_row_kernelILj256ELj8ELj16ELj137EllfEEvT4_S1_PKS1_S3_NS_24const_host_device_scalarIT5_EEPKT3_S3_PKS5_S9_S3_SB_S6_S9_S3_SB_S9_S3_PS5_21rocsparse_index_base_SD_SD_SD_bbb: ; @_ZN9rocsparseL38csrgemm_numeric_fill_wf_per_row_kernelILj256ELj8ELj16ELj137EllfEEvT4_S1_PKS1_S3_NS_24const_host_device_scalarIT5_EEPKT3_S3_PKS5_S9_S3_SB_S6_S9_S3_SB_S9_S3_PS5_21rocsparse_index_base_SD_SD_SD_bbb
; %bb.0:
	s_clause 0x3
	s_load_b32 s14, s[0:1], 0xa0
	s_load_b128 s[24:27], s[0:1], 0x90
	s_load_b64 s[4:5], s[0:1], 0x20
	s_load_b64 s[2:3], s[0:1], 0x58
	s_waitcnt lgkmcnt(0)
	s_bitcmp1_b32 s14, 0
	s_cselect_b32 s33, -1, 0
	s_bitcmp1_b32 s14, 16
	s_cselect_b32 s34, -1, 0
	s_xor_b32 s6, s33, -1
	s_delay_alu instid0(SALU_CYCLE_1) | instskip(NEXT) | instid1(SALU_CYCLE_1)
	s_or_b32 s6, s6, s34
	s_and_b32 vcc_lo, exec_lo, s6
	s_cbranch_vccnz .LBB80_2
; %bb.1:
	s_load_b32 s4, s[4:5], 0x0
	s_waitcnt lgkmcnt(0)
	v_mov_b32_e32 v20, s4
	s_branch .LBB80_3
.LBB80_2:
	v_cndmask_b32_e64 v20, 0, s4, s33
.LBB80_3:
	s_clause 0x4
	s_load_b64 s[12:13], s[0:1], 0x88
	s_load_b256 s[4:11], s[0:1], 0x60
	s_load_b128 s[28:31], s[0:1], 0x48
	s_load_b128 s[36:39], s[0:1], 0x10
	s_load_b256 s[16:23], s[0:1], 0x28
	s_bitcmp1_b32 s14, 8
	s_cselect_b32 s14, -1, 0
	s_delay_alu instid0(SALU_CYCLE_1) | instskip(NEXT) | instid1(SALU_CYCLE_1)
	s_xor_b32 s35, s14, -1
	s_or_b32 s34, s35, s34
	s_delay_alu instid0(SALU_CYCLE_1)
	s_and_b32 vcc_lo, exec_lo, s34
	s_cbranch_vccnz .LBB80_5
; %bb.4:
	s_load_b32 s2, s[2:3], 0x0
	s_waitcnt lgkmcnt(0)
	v_mov_b32_e32 v18, s2
	s_branch .LBB80_6
.LBB80_5:
	v_cndmask_b32_e64 v18, 0, s2, s14
.LBB80_6:
	v_and_b32_e32 v21, 7, v0
	s_load_b128 s[0:3], s[0:1], 0x0
	v_lshrrev_b32_e32 v2, 3, v0
	s_mov_b32 s34, 0
	s_delay_alu instid0(VALU_DEP_2) | instskip(NEXT) | instid1(VALU_DEP_2)
	v_lshlrev_b32_e32 v1, 3, v21
	v_lshlrev_b32_e32 v0, 6, v2
	s_delay_alu instid0(VALU_DEP_2) | instskip(NEXT) | instid1(VALU_DEP_1)
	v_lshl_or_b32 v14, v2, 7, v1
	v_dual_mov_b32 v4, v14 :: v_dual_lshlrev_b32 v3, 2, v21
	v_or_b32_e32 v16, -8, v21
	s_delay_alu instid0(VALU_DEP_2) | instskip(SKIP_2) | instid1(VALU_DEP_3)
	v_or3_b32 v15, v0, v3, 0x1000
	s_waitcnt lgkmcnt(0)
	v_dual_mov_b32 v0, s2 :: v_dual_mov_b32 v3, 0
	v_dual_mov_b32 v1, s3 :: v_dual_mov_b32 v6, v16
	s_delay_alu instid0(VALU_DEP_3)
	v_mov_b32_e32 v5, v15
.LBB80_7:                               ; =>This Inner Loop Header: Depth=1
	s_delay_alu instid0(VALU_DEP_2) | instskip(NEXT) | instid1(VALU_DEP_1)
	v_add_co_u32 v6, s35, v6, 8
	s_xor_b32 s35, s35, -1
	ds_store_b64 v4, v[0:1]
	ds_store_b32 v5, v3
	v_add_nc_u32_e32 v5, 32, v5
	v_add_nc_u32_e32 v4, 64, v4
	s_and_b32 s35, exec_lo, s35
	s_delay_alu instid0(SALU_CYCLE_1) | instskip(NEXT) | instid1(SALU_CYCLE_1)
	s_or_b32 s34, s35, s34
	s_and_not1_b32 exec_lo, exec_lo, s34
	s_cbranch_execnz .LBB80_7
; %bb.8:
	s_or_b32 exec_lo, exec_lo, s34
	s_lshl_b32 s15, s15, 5
	v_mov_b32_e32 v1, 0
	v_and_or_b32 v0, 0x1fffffe0, s15, v2
	s_waitcnt lgkmcnt(0)
	buffer_gl0_inv
	v_cmp_gt_i64_e32 vcc_lo, s[0:1], v[0:1]
	s_and_saveexec_b32 s0, vcc_lo
	s_cbranch_execz .LBB80_52
; %bb.9:
	s_cmp_eq_u64 s[38:39], 0
	s_cbranch_scc1 .LBB80_11
; %bb.10:
	s_load_b64 s[0:1], s[36:37], 0x0
	v_lshlrev_b32_e32 v0, 3, v0
	s_waitcnt lgkmcnt(0)
	s_lshl_b64 s[0:1], s[0:1], 3
	s_delay_alu instid0(SALU_CYCLE_1)
	s_add_u32 s0, s38, s0
	s_addc_u32 s1, s39, s1
	global_load_b64 v[0:1], v0, s[0:1]
.LBB80_11:
	s_waitcnt vmcnt(0)
	v_lshlrev_b64 v[4:5], 3, v[0:1]
	v_lshlrev_b32_e32 v17, 7, v2
	v_lshl_or_b32 v19, v2, 6, 0x1000
	s_and_not1_b32 vcc_lo, exec_lo, s33
	s_cbranch_vccnz .LBB80_31
; %bb.12:
	s_delay_alu instid0(VALU_DEP_3) | instskip(SKIP_2) | instid1(VALU_DEP_1)
	v_add_co_u32 v0, vcc_lo, s16, v4
	v_add_co_ci_u32_e32 v1, vcc_lo, s17, v5, vcc_lo
	v_sub_co_u32 v8, s0, v21, s24
	v_sub_co_ci_u32_e64 v9, null, 0, 0, s0
	global_load_b128 v[0:3], v[0:1], off
	s_mov_b32 s1, 0
	s_mov_b32 s0, exec_lo
	s_waitcnt vmcnt(0)
	v_sub_co_u32 v6, vcc_lo, v2, s24
	v_subrev_co_ci_u32_e32 v7, vcc_lo, 0, v3, vcc_lo
	v_add_co_u32 v8, vcc_lo, v0, v8
	v_add_co_ci_u32_e32 v9, vcc_lo, v1, v9, vcc_lo
	s_delay_alu instid0(VALU_DEP_1)
	v_cmpx_lt_i64_e64 v[8:9], v[6:7]
	s_cbranch_execz .LBB80_30
; %bb.13:
	s_mov_b32 s15, s25
	s_branch .LBB80_15
.LBB80_14:                              ;   in Loop: Header=BB80_15 Depth=1
	s_or_b32 exec_lo, exec_lo, s16
	v_add_co_u32 v8, vcc_lo, v8, 8
	v_add_co_ci_u32_e32 v9, vcc_lo, 0, v9, vcc_lo
	s_delay_alu instid0(VALU_DEP_1) | instskip(SKIP_1) | instid1(SALU_CYCLE_1)
	v_cmp_ge_i64_e32 vcc_lo, v[8:9], v[6:7]
	s_or_b32 s1, vcc_lo, s1
	s_and_not1_b32 exec_lo, exec_lo, s1
	s_cbranch_execz .LBB80_30
.LBB80_15:                              ; =>This Loop Header: Depth=1
                                        ;     Child Loop BB80_18 Depth 2
                                        ;       Child Loop BB80_20 Depth 3
	v_lshlrev_b64 v[0:1], 3, v[8:9]
	s_mov_b32 s16, exec_lo
	s_delay_alu instid0(VALU_DEP_1) | instskip(NEXT) | instid1(VALU_DEP_2)
	v_add_co_u32 v0, vcc_lo, s18, v0
	v_add_co_ci_u32_e32 v1, vcc_lo, s19, v1, vcc_lo
	global_load_b64 v[0:1], v[0:1], off
	s_waitcnt vmcnt(0)
	v_sub_co_u32 v0, vcc_lo, v0, s24
	v_subrev_co_ci_u32_e32 v1, vcc_lo, 0, v1, vcc_lo
	s_delay_alu instid0(VALU_DEP_1) | instskip(NEXT) | instid1(VALU_DEP_1)
	v_lshlrev_b64 v[0:1], 3, v[0:1]
	v_add_co_u32 v0, vcc_lo, s22, v0
	s_delay_alu instid0(VALU_DEP_2)
	v_add_co_ci_u32_e32 v1, vcc_lo, s23, v1, vcc_lo
	global_load_b128 v[0:3], v[0:1], off
	s_waitcnt vmcnt(0)
	v_cmpx_lt_i64_e64 v[0:1], v[2:3]
	s_cbranch_execz .LBB80_14
; %bb.16:                               ;   in Loop: Header=BB80_15 Depth=1
	v_lshlrev_b64 v[10:11], 2, v[8:9]
	s_mov_b32 s17, 0
	s_delay_alu instid0(VALU_DEP_1) | instskip(NEXT) | instid1(VALU_DEP_2)
	v_add_co_u32 v10, vcc_lo, s20, v10
	v_add_co_ci_u32_e32 v11, vcc_lo, s21, v11, vcc_lo
	v_sub_co_u32 v2, vcc_lo, v2, s15
	v_subrev_co_ci_u32_e32 v3, vcc_lo, 0, v3, vcc_lo
	global_load_b32 v10, v[10:11], off
	v_sub_co_u32 v0, vcc_lo, v0, s15
	v_subrev_co_ci_u32_e32 v1, vcc_lo, 0, v1, vcc_lo
	s_waitcnt vmcnt(0)
	v_mul_f32_e32 v22, v20, v10
	s_branch .LBB80_18
.LBB80_17:                              ;   in Loop: Header=BB80_18 Depth=2
	s_or_b32 exec_lo, exec_lo, s25
	v_add_co_u32 v0, vcc_lo, v0, 1
	v_add_co_ci_u32_e32 v1, vcc_lo, 0, v1, vcc_lo
	s_delay_alu instid0(VALU_DEP_1) | instskip(SKIP_1) | instid1(SALU_CYCLE_1)
	v_cmp_ge_i64_e32 vcc_lo, v[0:1], v[2:3]
	s_or_b32 s17, vcc_lo, s17
	s_and_not1_b32 exec_lo, exec_lo, s17
	s_cbranch_execz .LBB80_14
.LBB80_18:                              ;   Parent Loop BB80_15 Depth=1
                                        ; =>  This Loop Header: Depth=2
                                        ;       Child Loop BB80_20 Depth 3
	s_delay_alu instid0(VALU_DEP_2) | instskip(SKIP_2) | instid1(VALU_DEP_2)
	v_lshlrev_b64 v[10:11], 3, v[0:1]
	v_lshlrev_b64 v[12:13], 2, v[0:1]
	s_mov_b32 s25, 0
	v_add_co_u32 v10, vcc_lo, s28, v10
	s_delay_alu instid0(VALU_DEP_3) | instskip(NEXT) | instid1(VALU_DEP_3)
	v_add_co_ci_u32_e32 v11, vcc_lo, s29, v11, vcc_lo
	v_add_co_u32 v12, vcc_lo, s30, v12
	s_delay_alu instid0(VALU_DEP_4)
	v_add_co_ci_u32_e32 v13, vcc_lo, s31, v13, vcc_lo
	global_load_b64 v[10:11], v[10:11], off
	global_load_b32 v12, v[12:13], off
	s_waitcnt vmcnt(1)
	v_sub_co_u32 v10, vcc_lo, v10, s15
	v_subrev_co_ci_u32_e32 v11, vcc_lo, 0, v11, vcc_lo
	s_delay_alu instid0(VALU_DEP_2) | instskip(SKIP_1) | instid1(VALU_DEP_1)
	v_lshl_add_u32 v13, v10, 3, v10
	s_waitcnt vmcnt(0)
	v_dual_mul_f32 v23, v22, v12 :: v_dual_and_b32 v24, 15, v13
	s_branch .LBB80_20
.LBB80_19:                              ;   in Loop: Header=BB80_20 Depth=3
	s_or_b32 exec_lo, exec_lo, s33
	s_xor_b32 s33, s34, -1
	s_delay_alu instid0(SALU_CYCLE_1) | instskip(NEXT) | instid1(SALU_CYCLE_1)
	s_and_b32 s33, exec_lo, s33
	s_or_b32 s25, s33, s25
	s_delay_alu instid0(SALU_CYCLE_1)
	s_and_not1_b32 exec_lo, exec_lo, s25
	s_cbranch_execz .LBB80_17
.LBB80_20:                              ;   Parent Loop BB80_15 Depth=1
                                        ;     Parent Loop BB80_18 Depth=2
                                        ; =>    This Inner Loop Header: Depth=3
	s_delay_alu instid0(VALU_DEP_1)
	v_lshl_add_u32 v25, v24, 3, v17
	s_mov_b32 s33, exec_lo
                                        ; implicit-def: $sgpr34
	ds_load_b64 v[12:13], v25
	s_waitcnt lgkmcnt(0)
	v_cmpx_ne_u64_e64 v[12:13], v[10:11]
	s_xor_b32 s33, exec_lo, s33
	s_cbranch_execz .LBB80_28
; %bb.21:                               ;   in Loop: Header=BB80_20 Depth=3
	s_mov_b32 s35, exec_lo
                                        ; implicit-def: $sgpr34
	v_cmpx_ne_u64_e64 s[2:3], v[12:13]
	s_xor_b32 s35, exec_lo, s35
; %bb.22:                               ;   in Loop: Header=BB80_20 Depth=3
	v_add_nc_u32_e32 v12, 1, v24
	s_mov_b32 s34, -1
                                        ; implicit-def: $vgpr25
	s_delay_alu instid0(VALU_DEP_1)
	v_and_b32_e32 v24, 15, v12
; %bb.23:                               ;   in Loop: Header=BB80_20 Depth=3
	s_and_not1_saveexec_b32 s35, s35
	s_cbranch_execz .LBB80_27
; %bb.24:                               ;   in Loop: Header=BB80_20 Depth=3
	v_dual_mov_b32 v13, s3 :: v_dual_mov_b32 v12, s2
	s_mov_b32 s36, -1
	s_mov_b32 s37, exec_lo
	ds_cmpstore_rtn_b64 v[12:13], v25, v[10:11], v[12:13]
	s_waitcnt lgkmcnt(0)
	v_cmpx_eq_u64_e64 s[2:3], v[12:13]
	s_cbranch_execz .LBB80_26
; %bb.25:                               ;   in Loop: Header=BB80_20 Depth=3
	v_lshl_add_u32 v12, v24, 2, v19
	s_xor_b32 s36, exec_lo, -1
	ds_add_f32 v12, v23
.LBB80_26:                              ;   in Loop: Header=BB80_20 Depth=3
	s_or_b32 exec_lo, exec_lo, s37
	s_delay_alu instid0(SALU_CYCLE_1) | instskip(SKIP_1) | instid1(SALU_CYCLE_1)
	s_and_not1_b32 s34, s34, exec_lo
	s_and_b32 s36, s36, exec_lo
	s_or_b32 s34, s34, s36
.LBB80_27:                              ;   in Loop: Header=BB80_20 Depth=3
	s_or_b32 exec_lo, exec_lo, s35
	s_delay_alu instid0(SALU_CYCLE_1)
	s_and_b32 s34, s34, exec_lo
.LBB80_28:                              ;   in Loop: Header=BB80_20 Depth=3
	s_and_not1_saveexec_b32 s33, s33
	s_cbranch_execz .LBB80_19
; %bb.29:                               ;   in Loop: Header=BB80_20 Depth=3
	v_lshl_add_u32 v12, v24, 2, v19
	s_and_not1_b32 s34, s34, exec_lo
	ds_add_f32 v12, v23
	s_branch .LBB80_19
.LBB80_30:
	s_or_b32 exec_lo, exec_lo, s0
.LBB80_31:
	s_delay_alu instid0(SALU_CYCLE_1)
	s_and_not1_b32 vcc_lo, exec_lo, s14
	s_cbranch_vccnz .LBB80_48
; %bb.32:
	v_add_co_u32 v0, vcc_lo, s4, v4
	v_add_co_ci_u32_e32 v1, vcc_lo, s5, v5, vcc_lo
	v_sub_co_u32 v2, s0, v21, s27
	s_delay_alu instid0(VALU_DEP_1)
	v_sub_co_ci_u32_e64 v3, null, 0, 0, s0
	global_load_b128 v[6:9], v[0:1], off
	s_mov_b32 s0, 0
	s_mov_b32 s1, exec_lo
	s_waitcnt vmcnt(0)
	v_sub_co_u32 v0, vcc_lo, v8, s27
	v_subrev_co_ci_u32_e32 v1, vcc_lo, 0, v9, vcc_lo
	v_add_co_u32 v2, vcc_lo, v6, v2
	v_add_co_ci_u32_e32 v3, vcc_lo, v7, v3, vcc_lo
	s_delay_alu instid0(VALU_DEP_1)
	v_cmpx_lt_i64_e64 v[2:3], v[0:1]
	s_cbranch_execz .LBB80_47
; %bb.33:
	s_mov_b32 s4, s27
	s_branch .LBB80_35
.LBB80_34:                              ;   in Loop: Header=BB80_35 Depth=1
	s_or_b32 exec_lo, exec_lo, s5
	v_add_co_u32 v2, vcc_lo, v2, 8
	v_add_co_ci_u32_e32 v3, vcc_lo, 0, v3, vcc_lo
	s_delay_alu instid0(VALU_DEP_1) | instskip(SKIP_1) | instid1(SALU_CYCLE_1)
	v_cmp_ge_i64_e32 vcc_lo, v[2:3], v[0:1]
	s_or_b32 s0, vcc_lo, s0
	s_and_not1_b32 exec_lo, exec_lo, s0
	s_cbranch_execz .LBB80_47
.LBB80_35:                              ; =>This Loop Header: Depth=1
                                        ;     Child Loop BB80_37 Depth 2
	v_lshlrev_b64 v[6:7], 3, v[2:3]
	v_lshlrev_b64 v[8:9], 2, v[2:3]
	s_mov_b32 s5, 0
	s_delay_alu instid0(VALU_DEP_2) | instskip(NEXT) | instid1(VALU_DEP_3)
	v_add_co_u32 v6, vcc_lo, s6, v6
	v_add_co_ci_u32_e32 v7, vcc_lo, s7, v7, vcc_lo
	s_delay_alu instid0(VALU_DEP_3) | instskip(NEXT) | instid1(VALU_DEP_4)
	v_add_co_u32 v8, vcc_lo, s8, v8
	v_add_co_ci_u32_e32 v9, vcc_lo, s9, v9, vcc_lo
	global_load_b64 v[6:7], v[6:7], off
	global_load_b32 v8, v[8:9], off
	s_waitcnt vmcnt(1)
	v_sub_co_u32 v6, vcc_lo, v6, s4
	v_subrev_co_ci_u32_e32 v7, vcc_lo, 0, v7, vcc_lo
	s_delay_alu instid0(VALU_DEP_2) | instskip(SKIP_1) | instid1(VALU_DEP_1)
	v_lshl_add_u32 v9, v6, 3, v6
	s_waitcnt vmcnt(0)
	v_dual_mul_f32 v10, v18, v8 :: v_dual_and_b32 v11, 15, v9
	s_branch .LBB80_37
.LBB80_36:                              ;   in Loop: Header=BB80_37 Depth=2
	s_or_b32 exec_lo, exec_lo, s14
	s_xor_b32 s14, s15, -1
	s_delay_alu instid0(SALU_CYCLE_1) | instskip(NEXT) | instid1(SALU_CYCLE_1)
	s_and_b32 s14, exec_lo, s14
	s_or_b32 s5, s14, s5
	s_delay_alu instid0(SALU_CYCLE_1)
	s_and_not1_b32 exec_lo, exec_lo, s5
	s_cbranch_execz .LBB80_34
.LBB80_37:                              ;   Parent Loop BB80_35 Depth=1
                                        ; =>  This Inner Loop Header: Depth=2
	s_delay_alu instid0(VALU_DEP_1)
	v_lshl_add_u32 v12, v11, 3, v17
	s_mov_b32 s14, exec_lo
                                        ; implicit-def: $sgpr15
	ds_load_b64 v[8:9], v12
	s_waitcnt lgkmcnt(0)
	v_cmpx_ne_u64_e64 v[8:9], v[6:7]
	s_xor_b32 s14, exec_lo, s14
	s_cbranch_execz .LBB80_45
; %bb.38:                               ;   in Loop: Header=BB80_37 Depth=2
	s_mov_b32 s16, exec_lo
                                        ; implicit-def: $sgpr15
	v_cmpx_ne_u64_e64 s[2:3], v[8:9]
	s_xor_b32 s16, exec_lo, s16
; %bb.39:                               ;   in Loop: Header=BB80_37 Depth=2
	v_add_nc_u32_e32 v8, 1, v11
	s_mov_b32 s15, -1
                                        ; implicit-def: $vgpr12
	s_delay_alu instid0(VALU_DEP_1)
	v_and_b32_e32 v11, 15, v8
; %bb.40:                               ;   in Loop: Header=BB80_37 Depth=2
	s_and_not1_saveexec_b32 s16, s16
	s_cbranch_execz .LBB80_44
; %bb.41:                               ;   in Loop: Header=BB80_37 Depth=2
	v_dual_mov_b32 v9, s3 :: v_dual_mov_b32 v8, s2
	s_mov_b32 s17, -1
	s_mov_b32 s18, exec_lo
	ds_cmpstore_rtn_b64 v[8:9], v12, v[6:7], v[8:9]
	s_waitcnt lgkmcnt(0)
	v_cmpx_eq_u64_e64 s[2:3], v[8:9]
	s_cbranch_execz .LBB80_43
; %bb.42:                               ;   in Loop: Header=BB80_37 Depth=2
	v_lshl_add_u32 v8, v11, 2, v19
	s_xor_b32 s17, exec_lo, -1
	ds_add_f32 v8, v10
.LBB80_43:                              ;   in Loop: Header=BB80_37 Depth=2
	s_or_b32 exec_lo, exec_lo, s18
	s_delay_alu instid0(SALU_CYCLE_1) | instskip(SKIP_1) | instid1(SALU_CYCLE_1)
	s_and_not1_b32 s15, s15, exec_lo
	s_and_b32 s17, s17, exec_lo
	s_or_b32 s15, s15, s17
.LBB80_44:                              ;   in Loop: Header=BB80_37 Depth=2
	s_or_b32 exec_lo, exec_lo, s16
	s_delay_alu instid0(SALU_CYCLE_1)
	s_and_b32 s15, s15, exec_lo
.LBB80_45:                              ;   in Loop: Header=BB80_37 Depth=2
	s_and_not1_saveexec_b32 s14, s14
	s_cbranch_execz .LBB80_36
; %bb.46:                               ;   in Loop: Header=BB80_37 Depth=2
	v_lshl_add_u32 v8, v11, 2, v19
	s_and_not1_b32 s15, s15, exec_lo
	ds_add_f32 v8, v10
	s_branch .LBB80_36
.LBB80_47:
	s_or_b32 exec_lo, exec_lo, s1
.LBB80_48:
	v_add_co_u32 v0, vcc_lo, s10, v4
	v_add_co_ci_u32_e32 v1, vcc_lo, s11, v5, vcc_lo
	s_waitcnt lgkmcnt(0)
	buffer_gl0_inv
	s_mov_b32 s0, 0
	global_load_b64 v[0:1], v[0:1], off
	s_waitcnt vmcnt(0)
	v_sub_co_u32 v0, vcc_lo, v0, s26
	v_subrev_co_ci_u32_e32 v1, vcc_lo, 0, v1, vcc_lo
	s_delay_alu instid0(VALU_DEP_1) | instskip(NEXT) | instid1(VALU_DEP_1)
	v_lshlrev_b64 v[0:1], 2, v[0:1]
	v_add_co_u32 v2, vcc_lo, s12, v0
	s_delay_alu instid0(VALU_DEP_2)
	v_add_co_ci_u32_e32 v3, vcc_lo, s13, v1, vcc_lo
	s_branch .LBB80_50
.LBB80_49:                              ;   in Loop: Header=BB80_50 Depth=1
	s_or_b32 exec_lo, exec_lo, s1
	v_add_co_u32 v16, s1, v16, 8
	s_delay_alu instid0(VALU_DEP_1) | instskip(SKIP_3) | instid1(SALU_CYCLE_1)
	s_xor_b32 s1, s1, -1
	v_add_nc_u32_e32 v15, 32, v15
	v_add_nc_u32_e32 v14, 64, v14
	s_and_b32 s1, exec_lo, s1
	s_or_b32 s0, s1, s0
	s_delay_alu instid0(SALU_CYCLE_1)
	s_and_not1_b32 exec_lo, exec_lo, s0
	s_cbranch_execz .LBB80_52
.LBB80_50:                              ; =>This Inner Loop Header: Depth=1
	ds_load_b64 v[0:1], v14
	s_mov_b32 s1, exec_lo
	s_waitcnt lgkmcnt(0)
	v_cmpx_gt_i64_e64 s[2:3], v[0:1]
	s_cbranch_execz .LBB80_49
; %bb.51:                               ;   in Loop: Header=BB80_50 Depth=1
	ds_load_b128 v[4:7], v17
	ds_load_b128 v[8:11], v17 offset:16
	ds_load_b128 v[18:21], v17 offset:32
	;; [unrolled: 1-line block ×7, first 2 shown]
	ds_load_b32 v12, v15
	s_waitcnt lgkmcnt(8)
	v_cmp_gt_i64_e32 vcc_lo, v[0:1], v[4:5]
	v_cndmask_b32_e64 v4, 0, 1, vcc_lo
	v_cmp_gt_i64_e32 vcc_lo, v[0:1], v[6:7]
	s_delay_alu instid0(VALU_DEP_2) | instskip(SKIP_3) | instid1(VALU_DEP_2)
	v_lshlrev_b32_e32 v4, 2, v4
	v_cndmask_b32_e64 v5, 0, 1, vcc_lo
	s_waitcnt lgkmcnt(7)
	v_cmp_gt_i64_e32 vcc_lo, v[0:1], v[8:9]
	v_lshlrev_b32_e32 v5, 2, v5
	v_cndmask_b32_e64 v6, 0, 1, vcc_lo
	v_cmp_gt_i64_e32 vcc_lo, v[0:1], v[10:11]
	s_delay_alu instid0(VALU_DEP_2) | instskip(SKIP_3) | instid1(VALU_DEP_2)
	v_lshlrev_b32_e32 v6, 2, v6
	v_cndmask_b32_e64 v7, 0, 1, vcc_lo
	s_waitcnt lgkmcnt(6)
	v_cmp_gt_i64_e32 vcc_lo, v[0:1], v[18:19]
	v_lshlrev_b32_e32 v7, 2, v7
	v_cndmask_b32_e64 v8, 0, 1, vcc_lo
	v_cmp_gt_i64_e32 vcc_lo, v[0:1], v[20:21]
	v_cndmask_b32_e64 v9, 0, 1, vcc_lo
	s_waitcnt lgkmcnt(5)
	v_cmp_gt_i64_e32 vcc_lo, v[0:1], v[22:23]
	v_cndmask_b32_e64 v10, 0, 1, vcc_lo
	v_cmp_gt_i64_e32 vcc_lo, v[0:1], v[24:25]
	v_cndmask_b32_e64 v11, 0, 1, vcc_lo
	v_add_co_u32 v4, vcc_lo, v2, v4
	v_add_co_ci_u32_e32 v13, vcc_lo, 0, v3, vcc_lo
	s_delay_alu instid0(VALU_DEP_2) | instskip(NEXT) | instid1(VALU_DEP_2)
	v_add_co_u32 v4, vcc_lo, v4, v5
	v_add_co_ci_u32_e32 v5, vcc_lo, 0, v13, vcc_lo
	s_delay_alu instid0(VALU_DEP_2) | instskip(NEXT) | instid1(VALU_DEP_2)
	v_add_co_u32 v4, vcc_lo, v4, v6
	v_add_co_ci_u32_e32 v5, vcc_lo, 0, v5, vcc_lo
	v_lshlrev_b32_e32 v6, 2, v8
	s_delay_alu instid0(VALU_DEP_3) | instskip(NEXT) | instid1(VALU_DEP_3)
	v_add_co_u32 v4, vcc_lo, v4, v7
	v_add_co_ci_u32_e32 v5, vcc_lo, 0, v5, vcc_lo
	v_lshlrev_b32_e32 v7, 2, v9
	s_delay_alu instid0(VALU_DEP_3) | instskip(NEXT) | instid1(VALU_DEP_3)
	;; [unrolled: 4-line block ×4, first 2 shown]
	v_add_co_u32 v4, vcc_lo, v4, v6
	v_add_co_ci_u32_e32 v5, vcc_lo, 0, v5, vcc_lo
	s_waitcnt lgkmcnt(4)
	v_cmp_gt_i64_e32 vcc_lo, v[0:1], v[26:27]
	v_cndmask_b32_e64 v6, 0, 1, vcc_lo
	v_add_co_u32 v4, vcc_lo, v4, v7
	v_add_co_ci_u32_e32 v5, vcc_lo, 0, v5, vcc_lo
	v_cmp_gt_i64_e32 vcc_lo, v[0:1], v[28:29]
	s_delay_alu instid0(VALU_DEP_4)
	v_lshlrev_b32_e32 v6, 2, v6
	v_cndmask_b32_e64 v7, 0, 1, vcc_lo
	s_waitcnt lgkmcnt(3)
	v_cmp_gt_i64_e32 vcc_lo, v[0:1], v[30:31]
	v_cndmask_b32_e64 v8, 0, 1, vcc_lo
	v_add_co_u32 v4, vcc_lo, v4, v6
	v_add_co_ci_u32_e32 v5, vcc_lo, 0, v5, vcc_lo
	v_cmp_gt_i64_e32 vcc_lo, v[0:1], v[32:33]
	v_lshlrev_b32_e32 v6, 2, v7
	v_lshlrev_b32_e32 v7, 2, v8
	v_cndmask_b32_e64 v8, 0, 1, vcc_lo
	s_delay_alu instid0(VALU_DEP_3) | instskip(SKIP_1) | instid1(VALU_DEP_3)
	v_add_co_u32 v4, vcc_lo, v4, v6
	v_add_co_ci_u32_e32 v5, vcc_lo, 0, v5, vcc_lo
	v_lshlrev_b32_e32 v6, 2, v8
	s_delay_alu instid0(VALU_DEP_3) | instskip(NEXT) | instid1(VALU_DEP_3)
	v_add_co_u32 v4, vcc_lo, v4, v7
	v_add_co_ci_u32_e32 v5, vcc_lo, 0, v5, vcc_lo
	s_waitcnt lgkmcnt(2)
	v_cmp_gt_i64_e32 vcc_lo, v[0:1], v[34:35]
	v_cndmask_b32_e64 v7, 0, 1, vcc_lo
	v_add_co_u32 v4, vcc_lo, v4, v6
	v_add_co_ci_u32_e32 v5, vcc_lo, 0, v5, vcc_lo
	v_cmp_gt_i64_e32 vcc_lo, v[0:1], v[36:37]
	s_delay_alu instid0(VALU_DEP_4)
	v_lshlrev_b32_e32 v6, 2, v7
	v_cndmask_b32_e64 v7, 0, 1, vcc_lo
	s_waitcnt lgkmcnt(1)
	v_cmp_gt_i64_e32 vcc_lo, v[0:1], v[38:39]
	v_cndmask_b32_e64 v8, 0, 1, vcc_lo
	v_add_co_u32 v4, vcc_lo, v4, v6
	v_add_co_ci_u32_e32 v5, vcc_lo, 0, v5, vcc_lo
	v_cmp_gt_i64_e32 vcc_lo, v[0:1], v[40:41]
	v_lshlrev_b32_e32 v6, 2, v7
	v_lshlrev_b32_e32 v7, 2, v8
	v_cndmask_b32_e64 v0, 0, 1, vcc_lo
	s_delay_alu instid0(VALU_DEP_3) | instskip(SKIP_1) | instid1(VALU_DEP_3)
	v_add_co_u32 v1, vcc_lo, v4, v6
	v_add_co_ci_u32_e32 v4, vcc_lo, 0, v5, vcc_lo
	v_lshlrev_b32_e32 v0, 2, v0
	s_delay_alu instid0(VALU_DEP_3) | instskip(NEXT) | instid1(VALU_DEP_3)
	v_add_co_u32 v1, vcc_lo, v1, v7
	v_add_co_ci_u32_e32 v4, vcc_lo, 0, v4, vcc_lo
	s_delay_alu instid0(VALU_DEP_2) | instskip(NEXT) | instid1(VALU_DEP_2)
	v_add_co_u32 v0, vcc_lo, v1, v0
	v_add_co_ci_u32_e32 v1, vcc_lo, 0, v4, vcc_lo
	s_waitcnt lgkmcnt(0)
	global_store_b32 v[0:1], v12, off
	s_branch .LBB80_49
.LBB80_52:
	s_nop 0
	s_sendmsg sendmsg(MSG_DEALLOC_VGPRS)
	s_endpgm
	.section	.rodata,"a",@progbits
	.p2align	6, 0x0
	.amdhsa_kernel _ZN9rocsparseL38csrgemm_numeric_fill_wf_per_row_kernelILj256ELj8ELj16ELj137EllfEEvT4_S1_PKS1_S3_NS_24const_host_device_scalarIT5_EEPKT3_S3_PKS5_S9_S3_SB_S6_S9_S3_SB_S9_S3_PS5_21rocsparse_index_base_SD_SD_SD_bbb
		.amdhsa_group_segment_fixed_size 6144
		.amdhsa_private_segment_fixed_size 0
		.amdhsa_kernarg_size 164
		.amdhsa_user_sgpr_count 15
		.amdhsa_user_sgpr_dispatch_ptr 0
		.amdhsa_user_sgpr_queue_ptr 0
		.amdhsa_user_sgpr_kernarg_segment_ptr 1
		.amdhsa_user_sgpr_dispatch_id 0
		.amdhsa_user_sgpr_private_segment_size 0
		.amdhsa_wavefront_size32 1
		.amdhsa_uses_dynamic_stack 0
		.amdhsa_enable_private_segment 0
		.amdhsa_system_sgpr_workgroup_id_x 1
		.amdhsa_system_sgpr_workgroup_id_y 0
		.amdhsa_system_sgpr_workgroup_id_z 0
		.amdhsa_system_sgpr_workgroup_info 0
		.amdhsa_system_vgpr_workitem_id 0
		.amdhsa_next_free_vgpr 42
		.amdhsa_next_free_sgpr 40
		.amdhsa_reserve_vcc 1
		.amdhsa_float_round_mode_32 0
		.amdhsa_float_round_mode_16_64 0
		.amdhsa_float_denorm_mode_32 3
		.amdhsa_float_denorm_mode_16_64 3
		.amdhsa_dx10_clamp 1
		.amdhsa_ieee_mode 1
		.amdhsa_fp16_overflow 0
		.amdhsa_workgroup_processor_mode 1
		.amdhsa_memory_ordered 1
		.amdhsa_forward_progress 0
		.amdhsa_shared_vgpr_count 0
		.amdhsa_exception_fp_ieee_invalid_op 0
		.amdhsa_exception_fp_denorm_src 0
		.amdhsa_exception_fp_ieee_div_zero 0
		.amdhsa_exception_fp_ieee_overflow 0
		.amdhsa_exception_fp_ieee_underflow 0
		.amdhsa_exception_fp_ieee_inexact 0
		.amdhsa_exception_int_div_zero 0
	.end_amdhsa_kernel
	.section	.text._ZN9rocsparseL38csrgemm_numeric_fill_wf_per_row_kernelILj256ELj8ELj16ELj137EllfEEvT4_S1_PKS1_S3_NS_24const_host_device_scalarIT5_EEPKT3_S3_PKS5_S9_S3_SB_S6_S9_S3_SB_S9_S3_PS5_21rocsparse_index_base_SD_SD_SD_bbb,"axG",@progbits,_ZN9rocsparseL38csrgemm_numeric_fill_wf_per_row_kernelILj256ELj8ELj16ELj137EllfEEvT4_S1_PKS1_S3_NS_24const_host_device_scalarIT5_EEPKT3_S3_PKS5_S9_S3_SB_S6_S9_S3_SB_S9_S3_PS5_21rocsparse_index_base_SD_SD_SD_bbb,comdat
.Lfunc_end80:
	.size	_ZN9rocsparseL38csrgemm_numeric_fill_wf_per_row_kernelILj256ELj8ELj16ELj137EllfEEvT4_S1_PKS1_S3_NS_24const_host_device_scalarIT5_EEPKT3_S3_PKS5_S9_S3_SB_S6_S9_S3_SB_S9_S3_PS5_21rocsparse_index_base_SD_SD_SD_bbb, .Lfunc_end80-_ZN9rocsparseL38csrgemm_numeric_fill_wf_per_row_kernelILj256ELj8ELj16ELj137EllfEEvT4_S1_PKS1_S3_NS_24const_host_device_scalarIT5_EEPKT3_S3_PKS5_S9_S3_SB_S6_S9_S3_SB_S9_S3_PS5_21rocsparse_index_base_SD_SD_SD_bbb
                                        ; -- End function
	.section	.AMDGPU.csdata,"",@progbits
; Kernel info:
; codeLenInByte = 2512
; NumSgprs: 42
; NumVgprs: 42
; ScratchSize: 0
; MemoryBound: 0
; FloatMode: 240
; IeeeMode: 1
; LDSByteSize: 6144 bytes/workgroup (compile time only)
; SGPRBlocks: 5
; VGPRBlocks: 5
; NumSGPRsForWavesPerEU: 42
; NumVGPRsForWavesPerEU: 42
; Occupancy: 16
; WaveLimiterHint : 1
; COMPUTE_PGM_RSRC2:SCRATCH_EN: 0
; COMPUTE_PGM_RSRC2:USER_SGPR: 15
; COMPUTE_PGM_RSRC2:TRAP_HANDLER: 0
; COMPUTE_PGM_RSRC2:TGID_X_EN: 1
; COMPUTE_PGM_RSRC2:TGID_Y_EN: 0
; COMPUTE_PGM_RSRC2:TGID_Z_EN: 0
; COMPUTE_PGM_RSRC2:TIDIG_COMP_CNT: 0
	.section	.text._ZN9rocsparseL38csrgemm_numeric_fill_wf_per_row_kernelILj256ELj16ELj32ELj137EllfEEvT4_S1_PKS1_S3_NS_24const_host_device_scalarIT5_EEPKT3_S3_PKS5_S9_S3_SB_S6_S9_S3_SB_S9_S3_PS5_21rocsparse_index_base_SD_SD_SD_bbb,"axG",@progbits,_ZN9rocsparseL38csrgemm_numeric_fill_wf_per_row_kernelILj256ELj16ELj32ELj137EllfEEvT4_S1_PKS1_S3_NS_24const_host_device_scalarIT5_EEPKT3_S3_PKS5_S9_S3_SB_S6_S9_S3_SB_S9_S3_PS5_21rocsparse_index_base_SD_SD_SD_bbb,comdat
	.globl	_ZN9rocsparseL38csrgemm_numeric_fill_wf_per_row_kernelILj256ELj16ELj32ELj137EllfEEvT4_S1_PKS1_S3_NS_24const_host_device_scalarIT5_EEPKT3_S3_PKS5_S9_S3_SB_S6_S9_S3_SB_S9_S3_PS5_21rocsparse_index_base_SD_SD_SD_bbb ; -- Begin function _ZN9rocsparseL38csrgemm_numeric_fill_wf_per_row_kernelILj256ELj16ELj32ELj137EllfEEvT4_S1_PKS1_S3_NS_24const_host_device_scalarIT5_EEPKT3_S3_PKS5_S9_S3_SB_S6_S9_S3_SB_S9_S3_PS5_21rocsparse_index_base_SD_SD_SD_bbb
	.p2align	8
	.type	_ZN9rocsparseL38csrgemm_numeric_fill_wf_per_row_kernelILj256ELj16ELj32ELj137EllfEEvT4_S1_PKS1_S3_NS_24const_host_device_scalarIT5_EEPKT3_S3_PKS5_S9_S3_SB_S6_S9_S3_SB_S9_S3_PS5_21rocsparse_index_base_SD_SD_SD_bbb,@function
_ZN9rocsparseL38csrgemm_numeric_fill_wf_per_row_kernelILj256ELj16ELj32ELj137EllfEEvT4_S1_PKS1_S3_NS_24const_host_device_scalarIT5_EEPKT3_S3_PKS5_S9_S3_SB_S6_S9_S3_SB_S9_S3_PS5_21rocsparse_index_base_SD_SD_SD_bbb: ; @_ZN9rocsparseL38csrgemm_numeric_fill_wf_per_row_kernelILj256ELj16ELj32ELj137EllfEEvT4_S1_PKS1_S3_NS_24const_host_device_scalarIT5_EEPKT3_S3_PKS5_S9_S3_SB_S6_S9_S3_SB_S9_S3_PS5_21rocsparse_index_base_SD_SD_SD_bbb
; %bb.0:
	s_clause 0x3
	s_load_b32 s14, s[0:1], 0xa0
	s_load_b128 s[24:27], s[0:1], 0x90
	s_load_b64 s[4:5], s[0:1], 0x20
	s_load_b64 s[2:3], s[0:1], 0x58
	s_waitcnt lgkmcnt(0)
	s_bitcmp1_b32 s14, 0
	s_cselect_b32 s33, -1, 0
	s_bitcmp1_b32 s14, 16
	s_cselect_b32 s34, -1, 0
	s_xor_b32 s6, s33, -1
	s_delay_alu instid0(SALU_CYCLE_1) | instskip(NEXT) | instid1(SALU_CYCLE_1)
	s_or_b32 s6, s6, s34
	s_and_b32 vcc_lo, exec_lo, s6
	s_cbranch_vccnz .LBB81_2
; %bb.1:
	s_load_b32 s4, s[4:5], 0x0
	s_waitcnt lgkmcnt(0)
	v_mov_b32_e32 v20, s4
	s_branch .LBB81_3
.LBB81_2:
	v_cndmask_b32_e64 v20, 0, s4, s33
.LBB81_3:
	s_clause 0x4
	s_load_b64 s[12:13], s[0:1], 0x88
	s_load_b256 s[4:11], s[0:1], 0x60
	s_load_b128 s[28:31], s[0:1], 0x48
	s_load_b128 s[36:39], s[0:1], 0x10
	s_load_b256 s[16:23], s[0:1], 0x28
	s_bitcmp1_b32 s14, 8
	s_cselect_b32 s14, -1, 0
	s_delay_alu instid0(SALU_CYCLE_1) | instskip(NEXT) | instid1(SALU_CYCLE_1)
	s_xor_b32 s35, s14, -1
	s_or_b32 s34, s35, s34
	s_delay_alu instid0(SALU_CYCLE_1)
	s_and_b32 vcc_lo, exec_lo, s34
	s_cbranch_vccnz .LBB81_5
; %bb.4:
	s_load_b32 s2, s[2:3], 0x0
	s_waitcnt lgkmcnt(0)
	v_mov_b32_e32 v18, s2
	s_branch .LBB81_6
.LBB81_5:
	v_cndmask_b32_e64 v18, 0, s2, s14
.LBB81_6:
	v_and_b32_e32 v21, 15, v0
	s_load_b128 s[0:3], s[0:1], 0x0
	v_lshrrev_b32_e32 v2, 4, v0
	s_mov_b32 s34, 0
	s_delay_alu instid0(VALU_DEP_2) | instskip(NEXT) | instid1(VALU_DEP_2)
	v_lshlrev_b32_e32 v1, 3, v21
	v_lshlrev_b32_e32 v0, 7, v2
	s_delay_alu instid0(VALU_DEP_2) | instskip(NEXT) | instid1(VALU_DEP_1)
	v_lshl_or_b32 v14, v2, 8, v1
	v_dual_mov_b32 v4, v14 :: v_dual_lshlrev_b32 v3, 2, v21
	v_or_b32_e32 v16, -16, v21
	s_delay_alu instid0(VALU_DEP_2) | instskip(SKIP_2) | instid1(VALU_DEP_3)
	v_or3_b32 v15, v0, v3, 0x1000
	s_waitcnt lgkmcnt(0)
	v_dual_mov_b32 v0, s2 :: v_dual_mov_b32 v3, 0
	v_dual_mov_b32 v1, s3 :: v_dual_mov_b32 v6, v16
	s_delay_alu instid0(VALU_DEP_3)
	v_mov_b32_e32 v5, v15
.LBB81_7:                               ; =>This Inner Loop Header: Depth=1
	s_delay_alu instid0(VALU_DEP_2) | instskip(NEXT) | instid1(VALU_DEP_1)
	v_add_co_u32 v6, s35, v6, 16
	s_xor_b32 s35, s35, -1
	ds_store_b64 v4, v[0:1]
	ds_store_b32 v5, v3
	v_add_nc_u32_e32 v5, 64, v5
	v_add_nc_u32_e32 v4, 0x80, v4
	s_and_b32 s35, exec_lo, s35
	s_delay_alu instid0(SALU_CYCLE_1) | instskip(NEXT) | instid1(SALU_CYCLE_1)
	s_or_b32 s34, s35, s34
	s_and_not1_b32 exec_lo, exec_lo, s34
	s_cbranch_execnz .LBB81_7
; %bb.8:
	s_or_b32 exec_lo, exec_lo, s34
	s_lshl_b32 s15, s15, 4
	v_mov_b32_e32 v1, 0
	v_and_or_b32 v0, 0xffffff0, s15, v2
	s_waitcnt lgkmcnt(0)
	buffer_gl0_inv
	v_cmp_gt_i64_e32 vcc_lo, s[0:1], v[0:1]
	s_and_saveexec_b32 s0, vcc_lo
	s_cbranch_execz .LBB81_52
; %bb.9:
	s_cmp_eq_u64 s[38:39], 0
	s_cbranch_scc1 .LBB81_11
; %bb.10:
	s_load_b64 s[0:1], s[36:37], 0x0
	v_lshlrev_b32_e32 v0, 3, v0
	s_waitcnt lgkmcnt(0)
	s_lshl_b64 s[0:1], s[0:1], 3
	s_delay_alu instid0(SALU_CYCLE_1)
	s_add_u32 s0, s38, s0
	s_addc_u32 s1, s39, s1
	global_load_b64 v[0:1], v0, s[0:1]
.LBB81_11:
	s_waitcnt vmcnt(0)
	v_lshlrev_b64 v[4:5], 3, v[0:1]
	v_lshlrev_b32_e32 v17, 8, v2
	v_lshl_or_b32 v19, v2, 7, 0x1000
	s_and_not1_b32 vcc_lo, exec_lo, s33
	s_cbranch_vccnz .LBB81_31
; %bb.12:
	s_delay_alu instid0(VALU_DEP_3) | instskip(SKIP_2) | instid1(VALU_DEP_1)
	v_add_co_u32 v0, vcc_lo, s16, v4
	v_add_co_ci_u32_e32 v1, vcc_lo, s17, v5, vcc_lo
	v_sub_co_u32 v8, s0, v21, s24
	v_sub_co_ci_u32_e64 v9, null, 0, 0, s0
	global_load_b128 v[0:3], v[0:1], off
	s_mov_b32 s1, 0
	s_mov_b32 s0, exec_lo
	s_waitcnt vmcnt(0)
	v_sub_co_u32 v6, vcc_lo, v2, s24
	v_subrev_co_ci_u32_e32 v7, vcc_lo, 0, v3, vcc_lo
	v_add_co_u32 v8, vcc_lo, v0, v8
	v_add_co_ci_u32_e32 v9, vcc_lo, v1, v9, vcc_lo
	s_delay_alu instid0(VALU_DEP_1)
	v_cmpx_lt_i64_e64 v[8:9], v[6:7]
	s_cbranch_execz .LBB81_30
; %bb.13:
	s_mov_b32 s15, s25
	s_branch .LBB81_15
.LBB81_14:                              ;   in Loop: Header=BB81_15 Depth=1
	s_or_b32 exec_lo, exec_lo, s16
	v_add_co_u32 v8, vcc_lo, v8, 16
	v_add_co_ci_u32_e32 v9, vcc_lo, 0, v9, vcc_lo
	s_delay_alu instid0(VALU_DEP_1) | instskip(SKIP_1) | instid1(SALU_CYCLE_1)
	v_cmp_ge_i64_e32 vcc_lo, v[8:9], v[6:7]
	s_or_b32 s1, vcc_lo, s1
	s_and_not1_b32 exec_lo, exec_lo, s1
	s_cbranch_execz .LBB81_30
.LBB81_15:                              ; =>This Loop Header: Depth=1
                                        ;     Child Loop BB81_18 Depth 2
                                        ;       Child Loop BB81_20 Depth 3
	v_lshlrev_b64 v[0:1], 3, v[8:9]
	s_mov_b32 s16, exec_lo
	s_delay_alu instid0(VALU_DEP_1) | instskip(NEXT) | instid1(VALU_DEP_2)
	v_add_co_u32 v0, vcc_lo, s18, v0
	v_add_co_ci_u32_e32 v1, vcc_lo, s19, v1, vcc_lo
	global_load_b64 v[0:1], v[0:1], off
	s_waitcnt vmcnt(0)
	v_sub_co_u32 v0, vcc_lo, v0, s24
	v_subrev_co_ci_u32_e32 v1, vcc_lo, 0, v1, vcc_lo
	s_delay_alu instid0(VALU_DEP_1) | instskip(NEXT) | instid1(VALU_DEP_1)
	v_lshlrev_b64 v[0:1], 3, v[0:1]
	v_add_co_u32 v0, vcc_lo, s22, v0
	s_delay_alu instid0(VALU_DEP_2)
	v_add_co_ci_u32_e32 v1, vcc_lo, s23, v1, vcc_lo
	global_load_b128 v[0:3], v[0:1], off
	s_waitcnt vmcnt(0)
	v_cmpx_lt_i64_e64 v[0:1], v[2:3]
	s_cbranch_execz .LBB81_14
; %bb.16:                               ;   in Loop: Header=BB81_15 Depth=1
	v_lshlrev_b64 v[10:11], 2, v[8:9]
	s_mov_b32 s17, 0
	s_delay_alu instid0(VALU_DEP_1) | instskip(NEXT) | instid1(VALU_DEP_2)
	v_add_co_u32 v10, vcc_lo, s20, v10
	v_add_co_ci_u32_e32 v11, vcc_lo, s21, v11, vcc_lo
	v_sub_co_u32 v2, vcc_lo, v2, s15
	v_subrev_co_ci_u32_e32 v3, vcc_lo, 0, v3, vcc_lo
	global_load_b32 v10, v[10:11], off
	v_sub_co_u32 v0, vcc_lo, v0, s15
	v_subrev_co_ci_u32_e32 v1, vcc_lo, 0, v1, vcc_lo
	s_waitcnt vmcnt(0)
	v_mul_f32_e32 v22, v20, v10
	s_branch .LBB81_18
.LBB81_17:                              ;   in Loop: Header=BB81_18 Depth=2
	s_or_b32 exec_lo, exec_lo, s25
	v_add_co_u32 v0, vcc_lo, v0, 1
	v_add_co_ci_u32_e32 v1, vcc_lo, 0, v1, vcc_lo
	s_delay_alu instid0(VALU_DEP_1) | instskip(SKIP_1) | instid1(SALU_CYCLE_1)
	v_cmp_ge_i64_e32 vcc_lo, v[0:1], v[2:3]
	s_or_b32 s17, vcc_lo, s17
	s_and_not1_b32 exec_lo, exec_lo, s17
	s_cbranch_execz .LBB81_14
.LBB81_18:                              ;   Parent Loop BB81_15 Depth=1
                                        ; =>  This Loop Header: Depth=2
                                        ;       Child Loop BB81_20 Depth 3
	s_delay_alu instid0(VALU_DEP_2) | instskip(SKIP_2) | instid1(VALU_DEP_2)
	v_lshlrev_b64 v[10:11], 3, v[0:1]
	v_lshlrev_b64 v[12:13], 2, v[0:1]
	s_mov_b32 s25, 0
	v_add_co_u32 v10, vcc_lo, s28, v10
	s_delay_alu instid0(VALU_DEP_3) | instskip(NEXT) | instid1(VALU_DEP_3)
	v_add_co_ci_u32_e32 v11, vcc_lo, s29, v11, vcc_lo
	v_add_co_u32 v12, vcc_lo, s30, v12
	s_delay_alu instid0(VALU_DEP_4)
	v_add_co_ci_u32_e32 v13, vcc_lo, s31, v13, vcc_lo
	global_load_b64 v[10:11], v[10:11], off
	global_load_b32 v12, v[12:13], off
	s_waitcnt vmcnt(1)
	v_sub_co_u32 v10, vcc_lo, v10, s15
	v_subrev_co_ci_u32_e32 v11, vcc_lo, 0, v11, vcc_lo
	s_delay_alu instid0(VALU_DEP_2) | instskip(SKIP_1) | instid1(VALU_DEP_1)
	v_lshl_add_u32 v13, v10, 3, v10
	s_waitcnt vmcnt(0)
	v_dual_mul_f32 v23, v22, v12 :: v_dual_and_b32 v24, 31, v13
	s_branch .LBB81_20
.LBB81_19:                              ;   in Loop: Header=BB81_20 Depth=3
	s_or_b32 exec_lo, exec_lo, s33
	s_xor_b32 s33, s34, -1
	s_delay_alu instid0(SALU_CYCLE_1) | instskip(NEXT) | instid1(SALU_CYCLE_1)
	s_and_b32 s33, exec_lo, s33
	s_or_b32 s25, s33, s25
	s_delay_alu instid0(SALU_CYCLE_1)
	s_and_not1_b32 exec_lo, exec_lo, s25
	s_cbranch_execz .LBB81_17
.LBB81_20:                              ;   Parent Loop BB81_15 Depth=1
                                        ;     Parent Loop BB81_18 Depth=2
                                        ; =>    This Inner Loop Header: Depth=3
	s_delay_alu instid0(VALU_DEP_1)
	v_lshl_add_u32 v25, v24, 3, v17
	s_mov_b32 s33, exec_lo
                                        ; implicit-def: $sgpr34
	ds_load_b64 v[12:13], v25
	s_waitcnt lgkmcnt(0)
	v_cmpx_ne_u64_e64 v[12:13], v[10:11]
	s_xor_b32 s33, exec_lo, s33
	s_cbranch_execz .LBB81_28
; %bb.21:                               ;   in Loop: Header=BB81_20 Depth=3
	s_mov_b32 s35, exec_lo
                                        ; implicit-def: $sgpr34
	v_cmpx_ne_u64_e64 s[2:3], v[12:13]
	s_xor_b32 s35, exec_lo, s35
; %bb.22:                               ;   in Loop: Header=BB81_20 Depth=3
	v_add_nc_u32_e32 v12, 1, v24
	s_mov_b32 s34, -1
                                        ; implicit-def: $vgpr25
	s_delay_alu instid0(VALU_DEP_1)
	v_and_b32_e32 v24, 31, v12
; %bb.23:                               ;   in Loop: Header=BB81_20 Depth=3
	s_and_not1_saveexec_b32 s35, s35
	s_cbranch_execz .LBB81_27
; %bb.24:                               ;   in Loop: Header=BB81_20 Depth=3
	v_dual_mov_b32 v13, s3 :: v_dual_mov_b32 v12, s2
	s_mov_b32 s36, -1
	s_mov_b32 s37, exec_lo
	ds_cmpstore_rtn_b64 v[12:13], v25, v[10:11], v[12:13]
	s_waitcnt lgkmcnt(0)
	v_cmpx_eq_u64_e64 s[2:3], v[12:13]
	s_cbranch_execz .LBB81_26
; %bb.25:                               ;   in Loop: Header=BB81_20 Depth=3
	v_lshl_add_u32 v12, v24, 2, v19
	s_xor_b32 s36, exec_lo, -1
	ds_add_f32 v12, v23
.LBB81_26:                              ;   in Loop: Header=BB81_20 Depth=3
	s_or_b32 exec_lo, exec_lo, s37
	s_delay_alu instid0(SALU_CYCLE_1) | instskip(SKIP_1) | instid1(SALU_CYCLE_1)
	s_and_not1_b32 s34, s34, exec_lo
	s_and_b32 s36, s36, exec_lo
	s_or_b32 s34, s34, s36
.LBB81_27:                              ;   in Loop: Header=BB81_20 Depth=3
	s_or_b32 exec_lo, exec_lo, s35
	s_delay_alu instid0(SALU_CYCLE_1)
	s_and_b32 s34, s34, exec_lo
.LBB81_28:                              ;   in Loop: Header=BB81_20 Depth=3
	s_and_not1_saveexec_b32 s33, s33
	s_cbranch_execz .LBB81_19
; %bb.29:                               ;   in Loop: Header=BB81_20 Depth=3
	v_lshl_add_u32 v12, v24, 2, v19
	s_and_not1_b32 s34, s34, exec_lo
	ds_add_f32 v12, v23
	s_branch .LBB81_19
.LBB81_30:
	s_or_b32 exec_lo, exec_lo, s0
.LBB81_31:
	s_delay_alu instid0(SALU_CYCLE_1)
	s_and_not1_b32 vcc_lo, exec_lo, s14
	s_cbranch_vccnz .LBB81_48
; %bb.32:
	v_add_co_u32 v0, vcc_lo, s4, v4
	v_add_co_ci_u32_e32 v1, vcc_lo, s5, v5, vcc_lo
	v_sub_co_u32 v2, s0, v21, s27
	s_delay_alu instid0(VALU_DEP_1)
	v_sub_co_ci_u32_e64 v3, null, 0, 0, s0
	global_load_b128 v[6:9], v[0:1], off
	s_mov_b32 s0, 0
	s_mov_b32 s1, exec_lo
	s_waitcnt vmcnt(0)
	v_sub_co_u32 v0, vcc_lo, v8, s27
	v_subrev_co_ci_u32_e32 v1, vcc_lo, 0, v9, vcc_lo
	v_add_co_u32 v2, vcc_lo, v6, v2
	v_add_co_ci_u32_e32 v3, vcc_lo, v7, v3, vcc_lo
	s_delay_alu instid0(VALU_DEP_1)
	v_cmpx_lt_i64_e64 v[2:3], v[0:1]
	s_cbranch_execz .LBB81_47
; %bb.33:
	s_mov_b32 s4, s27
	s_branch .LBB81_35
.LBB81_34:                              ;   in Loop: Header=BB81_35 Depth=1
	s_or_b32 exec_lo, exec_lo, s5
	v_add_co_u32 v2, vcc_lo, v2, 16
	v_add_co_ci_u32_e32 v3, vcc_lo, 0, v3, vcc_lo
	s_delay_alu instid0(VALU_DEP_1) | instskip(SKIP_1) | instid1(SALU_CYCLE_1)
	v_cmp_ge_i64_e32 vcc_lo, v[2:3], v[0:1]
	s_or_b32 s0, vcc_lo, s0
	s_and_not1_b32 exec_lo, exec_lo, s0
	s_cbranch_execz .LBB81_47
.LBB81_35:                              ; =>This Loop Header: Depth=1
                                        ;     Child Loop BB81_37 Depth 2
	v_lshlrev_b64 v[6:7], 3, v[2:3]
	v_lshlrev_b64 v[8:9], 2, v[2:3]
	s_mov_b32 s5, 0
	s_delay_alu instid0(VALU_DEP_2) | instskip(NEXT) | instid1(VALU_DEP_3)
	v_add_co_u32 v6, vcc_lo, s6, v6
	v_add_co_ci_u32_e32 v7, vcc_lo, s7, v7, vcc_lo
	s_delay_alu instid0(VALU_DEP_3) | instskip(NEXT) | instid1(VALU_DEP_4)
	v_add_co_u32 v8, vcc_lo, s8, v8
	v_add_co_ci_u32_e32 v9, vcc_lo, s9, v9, vcc_lo
	global_load_b64 v[6:7], v[6:7], off
	global_load_b32 v8, v[8:9], off
	s_waitcnt vmcnt(1)
	v_sub_co_u32 v6, vcc_lo, v6, s4
	v_subrev_co_ci_u32_e32 v7, vcc_lo, 0, v7, vcc_lo
	s_delay_alu instid0(VALU_DEP_2) | instskip(SKIP_1) | instid1(VALU_DEP_1)
	v_lshl_add_u32 v9, v6, 3, v6
	s_waitcnt vmcnt(0)
	v_dual_mul_f32 v10, v18, v8 :: v_dual_and_b32 v11, 31, v9
	s_branch .LBB81_37
.LBB81_36:                              ;   in Loop: Header=BB81_37 Depth=2
	s_or_b32 exec_lo, exec_lo, s14
	s_xor_b32 s14, s15, -1
	s_delay_alu instid0(SALU_CYCLE_1) | instskip(NEXT) | instid1(SALU_CYCLE_1)
	s_and_b32 s14, exec_lo, s14
	s_or_b32 s5, s14, s5
	s_delay_alu instid0(SALU_CYCLE_1)
	s_and_not1_b32 exec_lo, exec_lo, s5
	s_cbranch_execz .LBB81_34
.LBB81_37:                              ;   Parent Loop BB81_35 Depth=1
                                        ; =>  This Inner Loop Header: Depth=2
	s_delay_alu instid0(VALU_DEP_1)
	v_lshl_add_u32 v12, v11, 3, v17
	s_mov_b32 s14, exec_lo
                                        ; implicit-def: $sgpr15
	ds_load_b64 v[8:9], v12
	s_waitcnt lgkmcnt(0)
	v_cmpx_ne_u64_e64 v[8:9], v[6:7]
	s_xor_b32 s14, exec_lo, s14
	s_cbranch_execz .LBB81_45
; %bb.38:                               ;   in Loop: Header=BB81_37 Depth=2
	s_mov_b32 s16, exec_lo
                                        ; implicit-def: $sgpr15
	v_cmpx_ne_u64_e64 s[2:3], v[8:9]
	s_xor_b32 s16, exec_lo, s16
; %bb.39:                               ;   in Loop: Header=BB81_37 Depth=2
	v_add_nc_u32_e32 v8, 1, v11
	s_mov_b32 s15, -1
                                        ; implicit-def: $vgpr12
	s_delay_alu instid0(VALU_DEP_1)
	v_and_b32_e32 v11, 31, v8
; %bb.40:                               ;   in Loop: Header=BB81_37 Depth=2
	s_and_not1_saveexec_b32 s16, s16
	s_cbranch_execz .LBB81_44
; %bb.41:                               ;   in Loop: Header=BB81_37 Depth=2
	v_dual_mov_b32 v9, s3 :: v_dual_mov_b32 v8, s2
	s_mov_b32 s17, -1
	s_mov_b32 s18, exec_lo
	ds_cmpstore_rtn_b64 v[8:9], v12, v[6:7], v[8:9]
	s_waitcnt lgkmcnt(0)
	v_cmpx_eq_u64_e64 s[2:3], v[8:9]
	s_cbranch_execz .LBB81_43
; %bb.42:                               ;   in Loop: Header=BB81_37 Depth=2
	v_lshl_add_u32 v8, v11, 2, v19
	s_xor_b32 s17, exec_lo, -1
	ds_add_f32 v8, v10
.LBB81_43:                              ;   in Loop: Header=BB81_37 Depth=2
	s_or_b32 exec_lo, exec_lo, s18
	s_delay_alu instid0(SALU_CYCLE_1) | instskip(SKIP_1) | instid1(SALU_CYCLE_1)
	s_and_not1_b32 s15, s15, exec_lo
	s_and_b32 s17, s17, exec_lo
	s_or_b32 s15, s15, s17
.LBB81_44:                              ;   in Loop: Header=BB81_37 Depth=2
	s_or_b32 exec_lo, exec_lo, s16
	s_delay_alu instid0(SALU_CYCLE_1)
	s_and_b32 s15, s15, exec_lo
.LBB81_45:                              ;   in Loop: Header=BB81_37 Depth=2
	s_and_not1_saveexec_b32 s14, s14
	s_cbranch_execz .LBB81_36
; %bb.46:                               ;   in Loop: Header=BB81_37 Depth=2
	v_lshl_add_u32 v8, v11, 2, v19
	s_and_not1_b32 s15, s15, exec_lo
	ds_add_f32 v8, v10
	s_branch .LBB81_36
.LBB81_47:
	s_or_b32 exec_lo, exec_lo, s1
.LBB81_48:
	v_add_co_u32 v0, vcc_lo, s10, v4
	v_add_co_ci_u32_e32 v1, vcc_lo, s11, v5, vcc_lo
	s_waitcnt lgkmcnt(0)
	buffer_gl0_inv
	s_mov_b32 s0, 0
	global_load_b64 v[0:1], v[0:1], off
	s_waitcnt vmcnt(0)
	v_sub_co_u32 v0, vcc_lo, v0, s26
	v_subrev_co_ci_u32_e32 v1, vcc_lo, 0, v1, vcc_lo
	s_delay_alu instid0(VALU_DEP_1) | instskip(NEXT) | instid1(VALU_DEP_1)
	v_lshlrev_b64 v[0:1], 2, v[0:1]
	v_add_co_u32 v2, vcc_lo, s12, v0
	s_delay_alu instid0(VALU_DEP_2)
	v_add_co_ci_u32_e32 v3, vcc_lo, s13, v1, vcc_lo
	s_branch .LBB81_50
.LBB81_49:                              ;   in Loop: Header=BB81_50 Depth=1
	s_or_b32 exec_lo, exec_lo, s1
	v_add_co_u32 v16, s1, v16, 16
	s_delay_alu instid0(VALU_DEP_1) | instskip(SKIP_3) | instid1(SALU_CYCLE_1)
	s_xor_b32 s1, s1, -1
	v_add_nc_u32_e32 v15, 64, v15
	v_add_nc_u32_e32 v14, 0x80, v14
	s_and_b32 s1, exec_lo, s1
	s_or_b32 s0, s1, s0
	s_delay_alu instid0(SALU_CYCLE_1)
	s_and_not1_b32 exec_lo, exec_lo, s0
	s_cbranch_execz .LBB81_52
.LBB81_50:                              ; =>This Inner Loop Header: Depth=1
	ds_load_b64 v[0:1], v14
	s_mov_b32 s1, exec_lo
	s_waitcnt lgkmcnt(0)
	v_cmpx_gt_i64_e64 s[2:3], v[0:1]
	s_cbranch_execz .LBB81_49
; %bb.51:                               ;   in Loop: Header=BB81_50 Depth=1
	ds_load_b128 v[4:7], v17
	ds_load_b128 v[8:11], v17 offset:16
	ds_load_b128 v[18:21], v17 offset:32
	;; [unrolled: 1-line block ×15, first 2 shown]
	ds_load_b32 v12, v15
	s_waitcnt lgkmcnt(16)
	v_cmp_gt_i64_e32 vcc_lo, v[0:1], v[4:5]
	v_cndmask_b32_e64 v4, 0, 1, vcc_lo
	v_cmp_gt_i64_e32 vcc_lo, v[0:1], v[6:7]
	s_delay_alu instid0(VALU_DEP_2) | instskip(SKIP_3) | instid1(VALU_DEP_2)
	v_lshlrev_b32_e32 v4, 2, v4
	v_cndmask_b32_e64 v5, 0, 1, vcc_lo
	s_waitcnt lgkmcnt(15)
	v_cmp_gt_i64_e32 vcc_lo, v[0:1], v[8:9]
	v_lshlrev_b32_e32 v5, 2, v5
	v_cndmask_b32_e64 v6, 0, 1, vcc_lo
	v_cmp_gt_i64_e32 vcc_lo, v[0:1], v[10:11]
	s_delay_alu instid0(VALU_DEP_2) | instskip(SKIP_3) | instid1(VALU_DEP_3)
	v_lshlrev_b32_e32 v6, 2, v6
	v_cndmask_b32_e64 v7, 0, 1, vcc_lo
	v_add_co_u32 v4, vcc_lo, v2, v4
	v_add_co_ci_u32_e32 v8, vcc_lo, 0, v3, vcc_lo
	v_lshlrev_b32_e32 v7, 2, v7
	s_delay_alu instid0(VALU_DEP_3) | instskip(NEXT) | instid1(VALU_DEP_3)
	v_add_co_u32 v4, vcc_lo, v4, v5
	v_add_co_ci_u32_e32 v5, vcc_lo, 0, v8, vcc_lo
	s_delay_alu instid0(VALU_DEP_2) | instskip(NEXT) | instid1(VALU_DEP_2)
	v_add_co_u32 v4, vcc_lo, v4, v6
	v_add_co_ci_u32_e32 v5, vcc_lo, 0, v5, vcc_lo
	s_waitcnt lgkmcnt(14)
	v_cmp_gt_i64_e32 vcc_lo, v[0:1], v[18:19]
	v_cndmask_b32_e64 v6, 0, 1, vcc_lo
	v_add_co_u32 v4, vcc_lo, v4, v7
	v_add_co_ci_u32_e32 v5, vcc_lo, 0, v5, vcc_lo
	v_cmp_gt_i64_e32 vcc_lo, v[0:1], v[20:21]
	s_delay_alu instid0(VALU_DEP_4)
	v_lshlrev_b32_e32 v6, 2, v6
	v_cndmask_b32_e64 v7, 0, 1, vcc_lo
	s_waitcnt lgkmcnt(13)
	v_cmp_gt_i64_e32 vcc_lo, v[0:1], v[22:23]
	v_cndmask_b32_e64 v8, 0, 1, vcc_lo
	v_add_co_u32 v4, vcc_lo, v4, v6
	v_add_co_ci_u32_e32 v5, vcc_lo, 0, v5, vcc_lo
	v_cmp_gt_i64_e32 vcc_lo, v[0:1], v[24:25]
	v_lshlrev_b32_e32 v6, 2, v7
	v_lshlrev_b32_e32 v7, 2, v8
	v_cndmask_b32_e64 v8, 0, 1, vcc_lo
	s_delay_alu instid0(VALU_DEP_3) | instskip(SKIP_1) | instid1(VALU_DEP_3)
	v_add_co_u32 v4, vcc_lo, v4, v6
	v_add_co_ci_u32_e32 v5, vcc_lo, 0, v5, vcc_lo
	v_lshlrev_b32_e32 v6, 2, v8
	s_delay_alu instid0(VALU_DEP_3) | instskip(NEXT) | instid1(VALU_DEP_3)
	v_add_co_u32 v4, vcc_lo, v4, v7
	v_add_co_ci_u32_e32 v5, vcc_lo, 0, v5, vcc_lo
	s_waitcnt lgkmcnt(12)
	v_cmp_gt_i64_e32 vcc_lo, v[0:1], v[26:27]
	v_cndmask_b32_e64 v7, 0, 1, vcc_lo
	v_add_co_u32 v4, vcc_lo, v4, v6
	v_add_co_ci_u32_e32 v5, vcc_lo, 0, v5, vcc_lo
	v_cmp_gt_i64_e32 vcc_lo, v[0:1], v[28:29]
	s_delay_alu instid0(VALU_DEP_4)
	v_lshlrev_b32_e32 v6, 2, v7
	v_cndmask_b32_e64 v7, 0, 1, vcc_lo
	s_waitcnt lgkmcnt(11)
	v_cmp_gt_i64_e32 vcc_lo, v[0:1], v[30:31]
	v_cndmask_b32_e64 v8, 0, 1, vcc_lo
	v_add_co_u32 v4, vcc_lo, v4, v6
	v_add_co_ci_u32_e32 v5, vcc_lo, 0, v5, vcc_lo
	v_cmp_gt_i64_e32 vcc_lo, v[0:1], v[32:33]
	v_lshlrev_b32_e32 v6, 2, v7
	v_lshlrev_b32_e32 v7, 2, v8
	v_cndmask_b32_e64 v8, 0, 1, vcc_lo
	s_delay_alu instid0(VALU_DEP_3) | instskip(SKIP_1) | instid1(VALU_DEP_3)
	v_add_co_u32 v4, vcc_lo, v4, v6
	v_add_co_ci_u32_e32 v5, vcc_lo, 0, v5, vcc_lo
	v_lshlrev_b32_e32 v6, 2, v8
	s_delay_alu instid0(VALU_DEP_3) | instskip(NEXT) | instid1(VALU_DEP_3)
	;; [unrolled: 25-line block ×7, first 2 shown]
	v_add_co_u32 v1, vcc_lo, v1, v7
	v_add_co_ci_u32_e32 v4, vcc_lo, 0, v4, vcc_lo
	s_delay_alu instid0(VALU_DEP_2) | instskip(NEXT) | instid1(VALU_DEP_2)
	v_add_co_u32 v0, vcc_lo, v1, v0
	v_add_co_ci_u32_e32 v1, vcc_lo, 0, v4, vcc_lo
	s_waitcnt lgkmcnt(0)
	global_store_b32 v[0:1], v12, off
	s_branch .LBB81_49
.LBB81_52:
	s_nop 0
	s_sendmsg sendmsg(MSG_DEALLOC_VGPRS)
	s_endpgm
	.section	.rodata,"a",@progbits
	.p2align	6, 0x0
	.amdhsa_kernel _ZN9rocsparseL38csrgemm_numeric_fill_wf_per_row_kernelILj256ELj16ELj32ELj137EllfEEvT4_S1_PKS1_S3_NS_24const_host_device_scalarIT5_EEPKT3_S3_PKS5_S9_S3_SB_S6_S9_S3_SB_S9_S3_PS5_21rocsparse_index_base_SD_SD_SD_bbb
		.amdhsa_group_segment_fixed_size 6144
		.amdhsa_private_segment_fixed_size 0
		.amdhsa_kernarg_size 164
		.amdhsa_user_sgpr_count 15
		.amdhsa_user_sgpr_dispatch_ptr 0
		.amdhsa_user_sgpr_queue_ptr 0
		.amdhsa_user_sgpr_kernarg_segment_ptr 1
		.amdhsa_user_sgpr_dispatch_id 0
		.amdhsa_user_sgpr_private_segment_size 0
		.amdhsa_wavefront_size32 1
		.amdhsa_uses_dynamic_stack 0
		.amdhsa_enable_private_segment 0
		.amdhsa_system_sgpr_workgroup_id_x 1
		.amdhsa_system_sgpr_workgroup_id_y 0
		.amdhsa_system_sgpr_workgroup_id_z 0
		.amdhsa_system_sgpr_workgroup_info 0
		.amdhsa_system_vgpr_workitem_id 0
		.amdhsa_next_free_vgpr 74
		.amdhsa_next_free_sgpr 40
		.amdhsa_reserve_vcc 1
		.amdhsa_float_round_mode_32 0
		.amdhsa_float_round_mode_16_64 0
		.amdhsa_float_denorm_mode_32 3
		.amdhsa_float_denorm_mode_16_64 3
		.amdhsa_dx10_clamp 1
		.amdhsa_ieee_mode 1
		.amdhsa_fp16_overflow 0
		.amdhsa_workgroup_processor_mode 1
		.amdhsa_memory_ordered 1
		.amdhsa_forward_progress 0
		.amdhsa_shared_vgpr_count 0
		.amdhsa_exception_fp_ieee_invalid_op 0
		.amdhsa_exception_fp_denorm_src 0
		.amdhsa_exception_fp_ieee_div_zero 0
		.amdhsa_exception_fp_ieee_overflow 0
		.amdhsa_exception_fp_ieee_underflow 0
		.amdhsa_exception_fp_ieee_inexact 0
		.amdhsa_exception_int_div_zero 0
	.end_amdhsa_kernel
	.section	.text._ZN9rocsparseL38csrgemm_numeric_fill_wf_per_row_kernelILj256ELj16ELj32ELj137EllfEEvT4_S1_PKS1_S3_NS_24const_host_device_scalarIT5_EEPKT3_S3_PKS5_S9_S3_SB_S6_S9_S3_SB_S9_S3_PS5_21rocsparse_index_base_SD_SD_SD_bbb,"axG",@progbits,_ZN9rocsparseL38csrgemm_numeric_fill_wf_per_row_kernelILj256ELj16ELj32ELj137EllfEEvT4_S1_PKS1_S3_NS_24const_host_device_scalarIT5_EEPKT3_S3_PKS5_S9_S3_SB_S6_S9_S3_SB_S9_S3_PS5_21rocsparse_index_base_SD_SD_SD_bbb,comdat
.Lfunc_end81:
	.size	_ZN9rocsparseL38csrgemm_numeric_fill_wf_per_row_kernelILj256ELj16ELj32ELj137EllfEEvT4_S1_PKS1_S3_NS_24const_host_device_scalarIT5_EEPKT3_S3_PKS5_S9_S3_SB_S6_S9_S3_SB_S9_S3_PS5_21rocsparse_index_base_SD_SD_SD_bbb, .Lfunc_end81-_ZN9rocsparseL38csrgemm_numeric_fill_wf_per_row_kernelILj256ELj16ELj32ELj137EllfEEvT4_S1_PKS1_S3_NS_24const_host_device_scalarIT5_EEPKT3_S3_PKS5_S9_S3_SB_S6_S9_S3_SB_S9_S3_PS5_21rocsparse_index_base_SD_SD_SD_bbb
                                        ; -- End function
	.section	.AMDGPU.csdata,"",@progbits
; Kernel info:
; codeLenInByte = 3108
; NumSgprs: 42
; NumVgprs: 74
; ScratchSize: 0
; MemoryBound: 0
; FloatMode: 240
; IeeeMode: 1
; LDSByteSize: 6144 bytes/workgroup (compile time only)
; SGPRBlocks: 5
; VGPRBlocks: 9
; NumSGPRsForWavesPerEU: 42
; NumVGPRsForWavesPerEU: 74
; Occupancy: 16
; WaveLimiterHint : 1
; COMPUTE_PGM_RSRC2:SCRATCH_EN: 0
; COMPUTE_PGM_RSRC2:USER_SGPR: 15
; COMPUTE_PGM_RSRC2:TRAP_HANDLER: 0
; COMPUTE_PGM_RSRC2:TGID_X_EN: 1
; COMPUTE_PGM_RSRC2:TGID_Y_EN: 0
; COMPUTE_PGM_RSRC2:TGID_Z_EN: 0
; COMPUTE_PGM_RSRC2:TIDIG_COMP_CNT: 0
	.section	.text._ZN9rocsparseL41csrgemm_numeric_fill_block_per_row_kernelILj128ELj16ELj256ELj137ELj32EllfEEvT5_PKS1_S3_NS_24const_host_device_scalarIT6_EEPKT4_S3_PKS5_S9_S3_SB_S6_S9_S3_SB_S9_S3_PS5_21rocsparse_index_base_SD_SD_SD_bbb,"axG",@progbits,_ZN9rocsparseL41csrgemm_numeric_fill_block_per_row_kernelILj128ELj16ELj256ELj137ELj32EllfEEvT5_PKS1_S3_NS_24const_host_device_scalarIT6_EEPKT4_S3_PKS5_S9_S3_SB_S6_S9_S3_SB_S9_S3_PS5_21rocsparse_index_base_SD_SD_SD_bbb,comdat
	.globl	_ZN9rocsparseL41csrgemm_numeric_fill_block_per_row_kernelILj128ELj16ELj256ELj137ELj32EllfEEvT5_PKS1_S3_NS_24const_host_device_scalarIT6_EEPKT4_S3_PKS5_S9_S3_SB_S6_S9_S3_SB_S9_S3_PS5_21rocsparse_index_base_SD_SD_SD_bbb ; -- Begin function _ZN9rocsparseL41csrgemm_numeric_fill_block_per_row_kernelILj128ELj16ELj256ELj137ELj32EllfEEvT5_PKS1_S3_NS_24const_host_device_scalarIT6_EEPKT4_S3_PKS5_S9_S3_SB_S6_S9_S3_SB_S9_S3_PS5_21rocsparse_index_base_SD_SD_SD_bbb
	.p2align	8
	.type	_ZN9rocsparseL41csrgemm_numeric_fill_block_per_row_kernelILj128ELj16ELj256ELj137ELj32EllfEEvT5_PKS1_S3_NS_24const_host_device_scalarIT6_EEPKT4_S3_PKS5_S9_S3_SB_S6_S9_S3_SB_S9_S3_PS5_21rocsparse_index_base_SD_SD_SD_bbb,@function
_ZN9rocsparseL41csrgemm_numeric_fill_block_per_row_kernelILj128ELj16ELj256ELj137ELj32EllfEEvT5_PKS1_S3_NS_24const_host_device_scalarIT6_EEPKT4_S3_PKS5_S9_S3_SB_S6_S9_S3_SB_S9_S3_PS5_21rocsparse_index_base_SD_SD_SD_bbb: ; @_ZN9rocsparseL41csrgemm_numeric_fill_block_per_row_kernelILj128ELj16ELj256ELj137ELj32EllfEEvT5_PKS1_S3_NS_24const_host_device_scalarIT6_EEPKT4_S3_PKS5_S9_S3_SB_S6_S9_S3_SB_S9_S3_PS5_21rocsparse_index_base_SD_SD_SD_bbb
; %bb.0:
	s_clause 0x2
	s_load_b32 s3, s[0:1], 0x98
	s_load_b64 s[6:7], s[0:1], 0x18
	s_load_b64 s[4:5], s[0:1], 0x50
	s_mov_b32 s2, s15
	s_waitcnt lgkmcnt(0)
	s_bitcmp1_b32 s3, 0
	s_cselect_b32 s38, -1, 0
	s_bitcmp1_b32 s3, 16
	s_cselect_b32 s8, -1, 0
	s_xor_b32 s9, s38, -1
	s_delay_alu instid0(SALU_CYCLE_1) | instskip(NEXT) | instid1(SALU_CYCLE_1)
	s_or_b32 s9, s9, s8
	s_and_b32 vcc_lo, exec_lo, s9
	s_cbranch_vccnz .LBB82_2
; %bb.1:
	s_load_b32 s6, s[6:7], 0x0
	s_waitcnt lgkmcnt(0)
	v_mov_b32_e32 v15, s6
	s_branch .LBB82_3
.LBB82_2:
	v_cndmask_b32_e64 v15, 0, s6, s38
.LBB82_3:
	s_load_b128 s[20:23], s[0:1], 0x88
	s_bitcmp1_b32 s3, 8
	s_cselect_b32 s33, -1, 0
	s_delay_alu instid0(SALU_CYCLE_1) | instskip(NEXT) | instid1(SALU_CYCLE_1)
	s_xor_b32 s3, s33, -1
	s_or_b32 s3, s3, s8
	s_delay_alu instid0(SALU_CYCLE_1)
	s_and_b32 vcc_lo, exec_lo, s3
	s_cbranch_vccnz .LBB82_5
; %bb.4:
	s_load_b32 s3, s[4:5], 0x0
	s_waitcnt lgkmcnt(0)
	v_mov_b32_e32 v13, s3
	s_branch .LBB82_6
.LBB82_5:
	v_cndmask_b32_e64 v13, 0, s4, s33
.LBB82_6:
	s_clause 0x5
	s_load_b64 s[34:35], s[0:1], 0x80
	s_load_b256 s[4:11], s[0:1], 0x58
	s_load_b128 s[28:31], s[0:1], 0x40
	s_load_b128 s[24:27], s[0:1], 0x0
	s_load_b64 s[36:37], s[0:1], 0x10
	s_load_b256 s[12:19], s[0:1], 0x20
	v_cmp_gt_u32_e64 s0, 0x100, v0
	v_lshlrev_b32_e32 v14, 2, v0
	v_or_b32_e32 v11, 0xffffff80, v0
	v_lshl_add_u32 v12, v0, 3, 0
	s_delay_alu instid0(VALU_DEP_4)
	s_and_saveexec_b32 s1, s0
	s_cbranch_execz .LBB82_9
; %bb.7:
	v_add3_u32 v3, v14, 0, 0x800
	v_or_b32_e32 v4, 0xffffff80, v0
	v_lshl_add_u32 v5, v0, 3, 0
	s_waitcnt lgkmcnt(0)
	v_dual_mov_b32 v1, s24 :: v_dual_mov_b32 v2, s25
	v_mov_b32_e32 v6, 0
	s_mov_b32 s3, 0
.LBB82_8:                               ; =>This Inner Loop Header: Depth=1
	v_add_co_u32 v4, s39, 0x80, v4
	s_delay_alu instid0(VALU_DEP_1)
	s_xor_b32 s39, s39, -1
	ds_store_b64 v5, v[1:2]
	ds_store_b32 v3, v6
	v_add_nc_u32_e32 v3, 0x200, v3
	v_add_nc_u32_e32 v5, 0x400, v5
	s_and_b32 s39, exec_lo, s39
	s_delay_alu instid0(SALU_CYCLE_1) | instskip(NEXT) | instid1(SALU_CYCLE_1)
	s_or_b32 s3, s39, s3
	s_and_not1_b32 exec_lo, exec_lo, s3
	s_cbranch_execnz .LBB82_8
.LBB82_9:
	s_or_b32 exec_lo, exec_lo, s1
	s_waitcnt lgkmcnt(0)
	s_barrier
	buffer_gl0_inv
	s_load_b64 s[26:27], s[26:27], 0x0
	s_mov_b32 s3, 0
	s_waitcnt lgkmcnt(0)
	s_lshl_b64 s[26:27], s[26:27], 3
	s_delay_alu instid0(SALU_CYCLE_1) | instskip(SKIP_2) | instid1(SALU_CYCLE_1)
	s_add_u32 s1, s36, s26
	s_addc_u32 s26, s37, s27
	s_lshl_b64 s[2:3], s[2:3], 3
	s_add_u32 s2, s1, s2
	s_addc_u32 s3, s26, s3
	s_and_b32 vcc_lo, exec_lo, s38
	s_load_b64 s[26:27], s[2:3], 0x0
	s_cbranch_vccz .LBB82_29
; %bb.10:
	s_waitcnt lgkmcnt(0)
	s_lshl_b64 s[2:3], s[26:27], 3
	v_lshrrev_b32_e32 v1, 4, v0
	s_add_u32 s2, s12, s2
	s_addc_u32 s3, s13, s3
	s_load_b128 s[36:39], s[2:3], 0x0
	s_delay_alu instid0(VALU_DEP_1) | instskip(NEXT) | instid1(VALU_DEP_1)
	v_sub_co_u32 v1, s1, v1, s20
	v_sub_co_ci_u32_e64 v2, null, 0, 0, s1
	s_mov_b32 s1, exec_lo
	s_waitcnt lgkmcnt(0)
	s_delay_alu instid0(VALU_DEP_2) | instskip(NEXT) | instid1(VALU_DEP_2)
	v_add_co_u32 v1, vcc_lo, s36, v1
	v_add_co_ci_u32_e32 v2, vcc_lo, s37, v2, vcc_lo
	s_sub_u32 s2, s38, s20
	s_subb_u32 s3, s39, 0
	s_delay_alu instid0(VALU_DEP_1) | instid1(SALU_CYCLE_1)
	v_cmpx_gt_i64_e64 s[2:3], v[1:2]
	s_cbranch_execz .LBB82_28
; %bb.11:
	v_and_b32_e32 v3, 15, v0
	s_mov_b32 s13, s21
	s_delay_alu instid0(VALU_DEP_1) | instskip(NEXT) | instid1(VALU_DEP_1)
	v_sub_co_u32 v16, s12, v3, s21
	v_sub_co_ci_u32_e64 v17, null, 0, 0, s12
	s_mov_b32 s12, 0
	s_branch .LBB82_13
.LBB82_12:                              ;   in Loop: Header=BB82_13 Depth=1
	s_or_b32 exec_lo, exec_lo, s21
	v_add_co_u32 v1, vcc_lo, v1, 8
	v_add_co_ci_u32_e32 v2, vcc_lo, 0, v2, vcc_lo
	s_delay_alu instid0(VALU_DEP_1) | instskip(SKIP_1) | instid1(SALU_CYCLE_1)
	v_cmp_le_i64_e32 vcc_lo, s[2:3], v[1:2]
	s_or_b32 s12, vcc_lo, s12
	s_and_not1_b32 exec_lo, exec_lo, s12
	s_cbranch_execz .LBB82_28
.LBB82_13:                              ; =>This Loop Header: Depth=1
                                        ;     Child Loop BB82_16 Depth 2
                                        ;       Child Loop BB82_18 Depth 3
	v_lshlrev_b64 v[3:4], 3, v[1:2]
	s_mov_b32 s21, exec_lo
	s_delay_alu instid0(VALU_DEP_1) | instskip(NEXT) | instid1(VALU_DEP_2)
	v_add_co_u32 v3, vcc_lo, s14, v3
	v_add_co_ci_u32_e32 v4, vcc_lo, s15, v4, vcc_lo
	global_load_b64 v[3:4], v[3:4], off
	s_waitcnt vmcnt(0)
	v_sub_co_u32 v3, vcc_lo, v3, s20
	v_subrev_co_ci_u32_e32 v4, vcc_lo, 0, v4, vcc_lo
	s_delay_alu instid0(VALU_DEP_1) | instskip(NEXT) | instid1(VALU_DEP_1)
	v_lshlrev_b64 v[3:4], 3, v[3:4]
	v_add_co_u32 v3, vcc_lo, s18, v3
	s_delay_alu instid0(VALU_DEP_2)
	v_add_co_ci_u32_e32 v4, vcc_lo, s19, v4, vcc_lo
	global_load_b128 v[5:8], v[3:4], off
	s_waitcnt vmcnt(0)
	v_sub_co_u32 v3, vcc_lo, v7, s13
	v_subrev_co_ci_u32_e32 v4, vcc_lo, 0, v8, vcc_lo
	v_add_co_u32 v5, vcc_lo, v5, v16
	v_add_co_ci_u32_e32 v6, vcc_lo, v6, v17, vcc_lo
	s_delay_alu instid0(VALU_DEP_1)
	v_cmpx_lt_i64_e64 v[5:6], v[3:4]
	s_cbranch_execz .LBB82_12
; %bb.14:                               ;   in Loop: Header=BB82_13 Depth=1
	v_lshlrev_b64 v[7:8], 2, v[1:2]
	s_mov_b32 s36, 0
	s_delay_alu instid0(VALU_DEP_1) | instskip(NEXT) | instid1(VALU_DEP_2)
	v_add_co_u32 v7, vcc_lo, s16, v7
	v_add_co_ci_u32_e32 v8, vcc_lo, s17, v8, vcc_lo
	global_load_b32 v7, v[7:8], off
	s_waitcnt vmcnt(0)
	v_mul_f32_e32 v18, v15, v7
	s_branch .LBB82_16
.LBB82_15:                              ;   in Loop: Header=BB82_16 Depth=2
	s_or_b32 exec_lo, exec_lo, s37
	v_add_co_u32 v5, vcc_lo, v5, 16
	v_add_co_ci_u32_e32 v6, vcc_lo, 0, v6, vcc_lo
	s_delay_alu instid0(VALU_DEP_1) | instskip(SKIP_1) | instid1(SALU_CYCLE_1)
	v_cmp_ge_i64_e32 vcc_lo, v[5:6], v[3:4]
	s_or_b32 s36, vcc_lo, s36
	s_and_not1_b32 exec_lo, exec_lo, s36
	s_cbranch_execz .LBB82_12
.LBB82_16:                              ;   Parent Loop BB82_13 Depth=1
                                        ; =>  This Loop Header: Depth=2
                                        ;       Child Loop BB82_18 Depth 3
	v_lshlrev_b64 v[7:8], 3, v[5:6]
	v_lshlrev_b64 v[9:10], 2, v[5:6]
	s_mov_b32 s37, 0
	s_delay_alu instid0(VALU_DEP_2) | instskip(NEXT) | instid1(VALU_DEP_3)
	v_add_co_u32 v7, vcc_lo, s28, v7
	v_add_co_ci_u32_e32 v8, vcc_lo, s29, v8, vcc_lo
	s_delay_alu instid0(VALU_DEP_3) | instskip(NEXT) | instid1(VALU_DEP_4)
	v_add_co_u32 v9, vcc_lo, s30, v9
	v_add_co_ci_u32_e32 v10, vcc_lo, s31, v10, vcc_lo
	global_load_b64 v[7:8], v[7:8], off
	global_load_b32 v9, v[9:10], off
	s_waitcnt vmcnt(1)
	v_sub_co_u32 v7, vcc_lo, v7, s13
	v_subrev_co_ci_u32_e32 v8, vcc_lo, 0, v8, vcc_lo
	s_delay_alu instid0(VALU_DEP_2) | instskip(SKIP_1) | instid1(VALU_DEP_1)
	v_mul_lo_u32 v10, 0x89, v7
	s_waitcnt vmcnt(0)
	v_dual_mul_f32 v19, v18, v9 :: v_dual_and_b32 v20, 0xff, v10
	s_branch .LBB82_18
.LBB82_17:                              ;   in Loop: Header=BB82_18 Depth=3
	s_or_b32 exec_lo, exec_lo, s38
	s_xor_b32 s38, s39, -1
	s_delay_alu instid0(SALU_CYCLE_1) | instskip(NEXT) | instid1(SALU_CYCLE_1)
	s_and_b32 s38, exec_lo, s38
	s_or_b32 s37, s38, s37
	s_delay_alu instid0(SALU_CYCLE_1)
	s_and_not1_b32 exec_lo, exec_lo, s37
	s_cbranch_execz .LBB82_15
.LBB82_18:                              ;   Parent Loop BB82_13 Depth=1
                                        ;     Parent Loop BB82_16 Depth=2
                                        ; =>    This Inner Loop Header: Depth=3
	s_delay_alu instid0(VALU_DEP_1)
	v_lshl_add_u32 v21, v20, 3, 0
	s_mov_b32 s38, exec_lo
                                        ; implicit-def: $sgpr39
	ds_load_b64 v[9:10], v21
	s_waitcnt lgkmcnt(0)
	v_cmpx_ne_u64_e64 v[9:10], v[7:8]
	s_xor_b32 s38, exec_lo, s38
	s_cbranch_execz .LBB82_26
; %bb.19:                               ;   in Loop: Header=BB82_18 Depth=3
	s_mov_b32 s40, exec_lo
                                        ; implicit-def: $sgpr39
	v_cmpx_ne_u64_e64 s[24:25], v[9:10]
	s_xor_b32 s40, exec_lo, s40
; %bb.20:                               ;   in Loop: Header=BB82_18 Depth=3
	v_add_nc_u32_e32 v9, 1, v20
	s_mov_b32 s39, -1
                                        ; implicit-def: $vgpr21
	s_delay_alu instid0(VALU_DEP_1)
	v_and_b32_e32 v20, 0xff, v9
; %bb.21:                               ;   in Loop: Header=BB82_18 Depth=3
	s_and_not1_saveexec_b32 s40, s40
	s_cbranch_execz .LBB82_25
; %bb.22:                               ;   in Loop: Header=BB82_18 Depth=3
	v_dual_mov_b32 v9, s24 :: v_dual_mov_b32 v10, s25
	s_mov_b32 s41, -1
	s_mov_b32 s42, exec_lo
	ds_cmpstore_rtn_b64 v[9:10], v21, v[7:8], v[9:10]
	s_waitcnt lgkmcnt(0)
	v_cmpx_eq_u64_e64 s[24:25], v[9:10]
	s_cbranch_execz .LBB82_24
; %bb.23:                               ;   in Loop: Header=BB82_18 Depth=3
	v_lshlrev_b32_e32 v9, 2, v20
	s_xor_b32 s41, exec_lo, -1
	s_delay_alu instid0(VALU_DEP_1)
	v_sub_nc_u32_e32 v9, v21, v9
	ds_add_f32 v9, v19 offset:2048
.LBB82_24:                              ;   in Loop: Header=BB82_18 Depth=3
	s_or_b32 exec_lo, exec_lo, s42
	s_delay_alu instid0(SALU_CYCLE_1) | instskip(SKIP_1) | instid1(SALU_CYCLE_1)
	s_and_not1_b32 s39, s39, exec_lo
	s_and_b32 s41, s41, exec_lo
	s_or_b32 s39, s39, s41
.LBB82_25:                              ;   in Loop: Header=BB82_18 Depth=3
	s_or_b32 exec_lo, exec_lo, s40
	s_delay_alu instid0(SALU_CYCLE_1)
	s_and_b32 s39, s39, exec_lo
                                        ; implicit-def: $vgpr21
.LBB82_26:                              ;   in Loop: Header=BB82_18 Depth=3
	s_and_not1_saveexec_b32 s38, s38
	s_cbranch_execz .LBB82_17
; %bb.27:                               ;   in Loop: Header=BB82_18 Depth=3
	v_lshlrev_b32_e32 v9, 2, v20
	s_and_not1_b32 s39, s39, exec_lo
	s_delay_alu instid0(VALU_DEP_1)
	v_sub_nc_u32_e32 v9, v21, v9
	ds_add_f32 v9, v19 offset:2048
	s_branch .LBB82_17
.LBB82_28:
	s_or_b32 exec_lo, exec_lo, s1
.LBB82_29:
	s_delay_alu instid0(SALU_CYCLE_1)
	s_and_not1_b32 vcc_lo, exec_lo, s33
	s_cbranch_vccnz .LBB82_46
; %bb.30:
	s_waitcnt lgkmcnt(0)
	s_lshl_b64 s[2:3], s[26:27], 3
	v_sub_co_u32 v1, s1, v0, s23
	s_add_u32 s2, s4, s2
	s_addc_u32 s3, s5, s3
	v_sub_co_ci_u32_e64 v2, null, 0, 0, s1
	s_load_b128 s[12:15], s[2:3], 0x0
	s_mov_b32 s1, 0
	s_mov_b32 s4, exec_lo
	s_waitcnt lgkmcnt(0)
	v_add_co_u32 v1, vcc_lo, s12, v1
	v_add_co_ci_u32_e32 v2, vcc_lo, s13, v2, vcc_lo
	s_sub_u32 s2, s14, s23
	s_subb_u32 s3, s15, 0
	s_delay_alu instid0(VALU_DEP_1) | instid1(SALU_CYCLE_1)
	v_cmpx_gt_i64_e64 s[2:3], v[1:2]
	s_cbranch_execz .LBB82_45
; %bb.31:
	s_mov_b32 s5, s23
	s_branch .LBB82_33
.LBB82_32:                              ;   in Loop: Header=BB82_33 Depth=1
	s_or_b32 exec_lo, exec_lo, s12
	v_add_co_u32 v1, vcc_lo, 0x80, v1
	v_add_co_ci_u32_e32 v2, vcc_lo, 0, v2, vcc_lo
	s_delay_alu instid0(VALU_DEP_1) | instskip(SKIP_1) | instid1(SALU_CYCLE_1)
	v_cmp_le_i64_e32 vcc_lo, s[2:3], v[1:2]
	s_or_b32 s1, vcc_lo, s1
	s_and_not1_b32 exec_lo, exec_lo, s1
	s_cbranch_execz .LBB82_45
.LBB82_33:                              ; =>This Loop Header: Depth=1
                                        ;     Child Loop BB82_35 Depth 2
	v_lshlrev_b64 v[3:4], 3, v[1:2]
	v_lshlrev_b64 v[5:6], 2, v[1:2]
	s_mov_b32 s12, 0
	s_delay_alu instid0(VALU_DEP_2) | instskip(NEXT) | instid1(VALU_DEP_3)
	v_add_co_u32 v3, vcc_lo, s6, v3
	v_add_co_ci_u32_e32 v4, vcc_lo, s7, v4, vcc_lo
	s_delay_alu instid0(VALU_DEP_3) | instskip(NEXT) | instid1(VALU_DEP_4)
	v_add_co_u32 v5, vcc_lo, s8, v5
	v_add_co_ci_u32_e32 v6, vcc_lo, s9, v6, vcc_lo
	global_load_b64 v[3:4], v[3:4], off
	global_load_b32 v5, v[5:6], off
	s_waitcnt vmcnt(1)
	v_sub_co_u32 v3, vcc_lo, v3, s5
	v_subrev_co_ci_u32_e32 v4, vcc_lo, 0, v4, vcc_lo
	s_delay_alu instid0(VALU_DEP_2) | instskip(SKIP_1) | instid1(VALU_DEP_1)
	v_mul_lo_u32 v6, 0x89, v3
	s_waitcnt vmcnt(0)
	v_dual_mul_f32 v7, v13, v5 :: v_dual_and_b32 v8, 0xff, v6
	s_branch .LBB82_35
.LBB82_34:                              ;   in Loop: Header=BB82_35 Depth=2
	s_or_b32 exec_lo, exec_lo, s13
	s_xor_b32 s13, s14, -1
	s_delay_alu instid0(SALU_CYCLE_1) | instskip(NEXT) | instid1(SALU_CYCLE_1)
	s_and_b32 s13, exec_lo, s13
	s_or_b32 s12, s13, s12
	s_delay_alu instid0(SALU_CYCLE_1)
	s_and_not1_b32 exec_lo, exec_lo, s12
	s_cbranch_execz .LBB82_32
.LBB82_35:                              ;   Parent Loop BB82_33 Depth=1
                                        ; =>  This Inner Loop Header: Depth=2
	s_delay_alu instid0(VALU_DEP_1)
	v_lshl_add_u32 v9, v8, 3, 0
	s_mov_b32 s13, exec_lo
                                        ; implicit-def: $sgpr14
	ds_load_b64 v[5:6], v9
	s_waitcnt lgkmcnt(0)
	v_cmpx_ne_u64_e64 v[5:6], v[3:4]
	s_xor_b32 s13, exec_lo, s13
	s_cbranch_execz .LBB82_43
; %bb.36:                               ;   in Loop: Header=BB82_35 Depth=2
	s_mov_b32 s15, exec_lo
                                        ; implicit-def: $sgpr14
	v_cmpx_ne_u64_e64 s[24:25], v[5:6]
	s_xor_b32 s15, exec_lo, s15
; %bb.37:                               ;   in Loop: Header=BB82_35 Depth=2
	v_add_nc_u32_e32 v5, 1, v8
	s_mov_b32 s14, -1
                                        ; implicit-def: $vgpr9
	s_delay_alu instid0(VALU_DEP_1)
	v_and_b32_e32 v8, 0xff, v5
; %bb.38:                               ;   in Loop: Header=BB82_35 Depth=2
	s_and_not1_saveexec_b32 s15, s15
	s_cbranch_execz .LBB82_42
; %bb.39:                               ;   in Loop: Header=BB82_35 Depth=2
	v_dual_mov_b32 v5, s24 :: v_dual_mov_b32 v6, s25
	s_mov_b32 s16, -1
	s_mov_b32 s17, exec_lo
	ds_cmpstore_rtn_b64 v[5:6], v9, v[3:4], v[5:6]
	s_waitcnt lgkmcnt(0)
	v_cmpx_eq_u64_e64 s[24:25], v[5:6]
	s_cbranch_execz .LBB82_41
; %bb.40:                               ;   in Loop: Header=BB82_35 Depth=2
	v_lshlrev_b32_e32 v5, 2, v8
	s_xor_b32 s16, exec_lo, -1
	s_delay_alu instid0(VALU_DEP_1)
	v_sub_nc_u32_e32 v5, v9, v5
	ds_add_f32 v5, v7 offset:2048
.LBB82_41:                              ;   in Loop: Header=BB82_35 Depth=2
	s_or_b32 exec_lo, exec_lo, s17
	s_delay_alu instid0(SALU_CYCLE_1) | instskip(SKIP_1) | instid1(SALU_CYCLE_1)
	s_and_not1_b32 s14, s14, exec_lo
	s_and_b32 s16, s16, exec_lo
	s_or_b32 s14, s14, s16
.LBB82_42:                              ;   in Loop: Header=BB82_35 Depth=2
	s_or_b32 exec_lo, exec_lo, s15
	s_delay_alu instid0(SALU_CYCLE_1)
	s_and_b32 s14, s14, exec_lo
                                        ; implicit-def: $vgpr9
.LBB82_43:                              ;   in Loop: Header=BB82_35 Depth=2
	s_and_not1_saveexec_b32 s13, s13
	s_cbranch_execz .LBB82_34
; %bb.44:                               ;   in Loop: Header=BB82_35 Depth=2
	v_lshlrev_b32_e32 v5, 2, v8
	s_and_not1_b32 s14, s14, exec_lo
	s_delay_alu instid0(VALU_DEP_1)
	v_sub_nc_u32_e32 v5, v9, v5
	ds_add_f32 v5, v7 offset:2048
	s_branch .LBB82_34
.LBB82_45:
	s_or_b32 exec_lo, exec_lo, s4
.LBB82_46:
	s_waitcnt lgkmcnt(0)
	s_barrier
	buffer_gl0_inv
	s_and_saveexec_b32 s4, s0
	s_cbranch_execz .LBB82_59
; %bb.47:
	v_mbcnt_lo_u32_b32 v1, -1, 0
	v_lshrrev_b32_e32 v2, 2, v0
	v_cmp_eq_u32_e32 vcc_lo, 0x7f, v0
	v_cmp_lt_u32_e64 s0, 31, v0
	v_cmp_lt_u32_e64 s1, 63, v0
	v_xor_b32_e32 v1, 63, v1
	v_and_b32_e32 v3, 24, v2
	v_cmp_lt_u32_e64 s2, 0x5f, v0
	v_add3_u32 v10, v14, 0, 0x800
	v_mov_b32_e32 v5, 0
	v_lshrrev_b64 v[1:2], v1, -1
	v_dual_mov_b32 v2, 0 :: v_dual_add_nc_u32 v13, 0, v3
	v_mov_b32_e32 v3, 0
	s_mov_b32 s5, 0
	s_branch .LBB82_49
.LBB82_48:                              ;   in Loop: Header=BB82_49 Depth=1
	s_or_b32 exec_lo, exec_lo, s3
	s_waitcnt lgkmcnt(0)
	s_barrier
	buffer_gl0_inv
	ds_load_b64 v[6:7], v5 offset:3096
	v_add_co_u32 v11, s3, 0x80, v11
	s_delay_alu instid0(VALU_DEP_1) | instskip(SKIP_4) | instid1(VALU_DEP_1)
	s_xor_b32 s6, s3, -1
	v_add_nc_u32_e32 v10, 0x200, v10
	v_add_nc_u32_e32 v12, 0x400, v12
	s_waitcnt lgkmcnt(0)
	v_add_co_u32 v2, s3, v6, v2
	v_add_co_ci_u32_e64 v3, s3, v7, v3, s3
	s_and_b32 s3, exec_lo, s6
	s_delay_alu instid0(SALU_CYCLE_1) | instskip(NEXT) | instid1(SALU_CYCLE_1)
	s_or_b32 s5, s3, s5
	s_and_not1_b32 exec_lo, exec_lo, s5
	s_cbranch_execz .LBB82_59
.LBB82_49:                              ; =>This Inner Loop Header: Depth=1
	ds_load_b64 v[6:7], v12
	ds_load_b32 v14, v10
	s_waitcnt lgkmcnt(0)
	s_barrier
	buffer_gl0_inv
	v_cmp_gt_i64_e64 s3, s[24:25], v[6:7]
	s_delay_alu instid0(VALU_DEP_1) | instskip(SKIP_1) | instid1(SALU_CYCLE_1)
	v_and_b32_e32 v8, s3, v1
	s_bcnt1_i32_b32 s6, s3
	v_mov_b32_e32 v4, s6
	s_delay_alu instid0(VALU_DEP_2)
	v_bcnt_u32_b32 v8, v8, 0
	ds_store_b64 v13, v[4:5] offset:3072
	s_waitcnt lgkmcnt(0)
	s_barrier
	buffer_gl0_inv
	s_and_saveexec_b32 s6, s0
	s_cbranch_execnz .LBB82_54
; %bb.50:                               ;   in Loop: Header=BB82_49 Depth=1
	s_or_b32 exec_lo, exec_lo, s6
	s_and_saveexec_b32 s6, s1
	s_cbranch_execnz .LBB82_55
.LBB82_51:                              ;   in Loop: Header=BB82_49 Depth=1
	s_or_b32 exec_lo, exec_lo, s6
	s_and_saveexec_b32 s6, s2
	s_cbranch_execnz .LBB82_56
.LBB82_52:                              ;   in Loop: Header=BB82_49 Depth=1
	s_or_b32 exec_lo, exec_lo, s6
	v_ashrrev_i32_e32 v9, 31, v8
	s_and_saveexec_b32 s6, s3
	s_cbranch_execnz .LBB82_57
.LBB82_53:                              ;   in Loop: Header=BB82_49 Depth=1
	s_or_b32 exec_lo, exec_lo, s6
	s_and_saveexec_b32 s3, vcc_lo
	s_cbranch_execz .LBB82_48
	s_branch .LBB82_58
.LBB82_54:                              ;   in Loop: Header=BB82_49 Depth=1
	ds_load_b32 v4, v5 offset:3072
	s_waitcnt lgkmcnt(0)
	v_add_nc_u32_e32 v8, v4, v8
	s_or_b32 exec_lo, exec_lo, s6
	s_and_saveexec_b32 s6, s1
	s_cbranch_execz .LBB82_51
.LBB82_55:                              ;   in Loop: Header=BB82_49 Depth=1
	ds_load_b32 v4, v5 offset:3080
	s_waitcnt lgkmcnt(0)
	v_add_nc_u32_e32 v8, v8, v4
	s_or_b32 exec_lo, exec_lo, s6
	s_and_saveexec_b32 s6, s2
	s_cbranch_execz .LBB82_52
.LBB82_56:                              ;   in Loop: Header=BB82_49 Depth=1
	ds_load_b32 v4, v5 offset:3088
	s_waitcnt lgkmcnt(0)
	v_add_nc_u32_e32 v8, v8, v4
	s_or_b32 exec_lo, exec_lo, s6
	s_delay_alu instid0(VALU_DEP_1)
	v_ashrrev_i32_e32 v9, 31, v8
	s_and_saveexec_b32 s6, s3
	s_cbranch_execz .LBB82_53
.LBB82_57:                              ;   in Loop: Header=BB82_49 Depth=1
	v_add3_u32 v4, v2, -1, v8
	s_delay_alu instid0(VALU_DEP_1)
	v_lshl_add_u32 v15, v4, 3, 0
	v_lshl_add_u32 v4, v4, 2, 0
	ds_store_b64 v15, v[6:7]
	ds_store_b32 v4, v14 offset:2048
	s_or_b32 exec_lo, exec_lo, s6
	s_and_saveexec_b32 s3, vcc_lo
	s_cbranch_execz .LBB82_48
.LBB82_58:                              ;   in Loop: Header=BB82_49 Depth=1
	ds_store_b64 v5, v[8:9] offset:3096
	s_branch .LBB82_48
.LBB82_59:
	s_or_b32 exec_lo, exec_lo, s4
	s_lshl_b64 s[0:1], s[26:27], 3
	v_mov_b32_e32 v1, 0
	s_add_u32 s0, s10, s0
	s_addc_u32 s1, s11, s1
	s_mov_b32 s6, exec_lo
	s_load_b128 s[0:3], s[0:1], 0x0
	s_waitcnt lgkmcnt(0)
	s_sub_u32 s4, s2, s0
	s_subb_u32 s5, s3, s1
	s_delay_alu instid0(SALU_CYCLE_1)
	v_cmpx_gt_i64_e64 s[4:5], v[0:1]
	s_cbranch_execz .LBB82_69
; %bb.60:
	s_sub_u32 s8, s0, s22
	s_subb_u32 s9, s1, 0
	s_and_b32 s6, s4, 7
	s_sub_u32 s0, s0, s2
	s_subb_u32 s1, s1, s3
	s_mov_b32 s7, 0
	v_cmp_lt_u64_e64 s12, s[0:1], -7
	s_and_b32 s2, s4, -8
	s_cmp_lg_u64 s[6:7], 0
	s_mov_b32 s3, s5
	s_cselect_b32 s13, -1, 0
	s_mov_b32 s14, s7
	s_branch .LBB82_62
.LBB82_61:                              ;   in Loop: Header=BB82_62 Depth=1
	v_add_co_u32 v0, vcc_lo, 0x80, v0
	v_add_co_ci_u32_e32 v1, vcc_lo, 0, v1, vcc_lo
	s_waitcnt lgkmcnt(1)
	v_lshlrev_b64 v[2:3], 2, v[4:5]
	s_delay_alu instid0(VALU_DEP_2) | instskip(NEXT) | instid1(VALU_DEP_2)
	v_cmp_le_i64_e32 vcc_lo, s[4:5], v[0:1]
	v_add_co_u32 v2, s0, s34, v2
	s_delay_alu instid0(VALU_DEP_1)
	v_add_co_ci_u32_e64 v3, s0, s35, v3, s0
	s_or_b32 s14, vcc_lo, s14
	s_waitcnt lgkmcnt(0)
	global_store_b32 v[2:3], v6, off
	s_and_not1_b32 exec_lo, exec_lo, s14
	s_cbranch_execz .LBB82_69
.LBB82_62:                              ; =>This Loop Header: Depth=1
                                        ;     Child Loop BB82_64 Depth 2
                                        ;     Child Loop BB82_68 Depth 2
	v_lshl_add_u32 v2, v0, 3, 0
	v_lshlrev_b32_e32 v3, 2, v0
	s_and_not1_b32 vcc_lo, exec_lo, s12
	s_mov_b64 s[0:1], 0
	s_delay_alu instid0(VALU_DEP_1)
	v_sub_nc_u32_e32 v4, v2, v3
	ds_load_b64 v[2:3], v2
	ds_load_b32 v6, v4 offset:2048
	v_dual_mov_b32 v4, s8 :: v_dual_mov_b32 v5, s9
	s_cbranch_vccnz .LBB82_66
; %bb.63:                               ;   in Loop: Header=BB82_62 Depth=1
	v_dual_mov_b32 v4, s8 :: v_dual_mov_b32 v5, s9
	s_mov_b64 s[10:11], 0
	s_mov_b32 s1, 0
.LBB82_64:                              ;   Parent Loop BB82_62 Depth=1
                                        ; =>  This Inner Loop Header: Depth=2
	s_delay_alu instid0(SALU_CYCLE_1)
	v_mov_b32_e32 v19, s1
	s_add_u32 s10, s10, 8
	s_addc_u32 s11, s11, 0
	s_add_i32 s1, s1, 64
	s_cmp_eq_u64 s[2:3], s[10:11]
	ds_load_2addr_b64 v[7:10], v19 offset1:1
	ds_load_2addr_b64 v[11:14], v19 offset0:2 offset1:3
	ds_load_2addr_b64 v[15:18], v19 offset0:4 offset1:5
	ds_load_2addr_b64 v[19:22], v19 offset0:6 offset1:7
	s_waitcnt lgkmcnt(3)
	v_cmp_gt_i64_e32 vcc_lo, v[2:3], v[7:8]
	v_cndmask_b32_e64 v7, 0, 1, vcc_lo
	v_cmp_gt_i64_e32 vcc_lo, v[2:3], v[9:10]
	v_cndmask_b32_e64 v8, 0, 1, vcc_lo
	s_waitcnt lgkmcnt(2)
	v_cmp_gt_i64_e32 vcc_lo, v[2:3], v[11:12]
	v_cndmask_b32_e64 v9, 0, 1, vcc_lo
	v_cmp_gt_i64_e32 vcc_lo, v[2:3], v[13:14]
	v_cndmask_b32_e64 v10, 0, 1, vcc_lo
	s_waitcnt lgkmcnt(1)
	v_cmp_gt_i64_e32 vcc_lo, v[2:3], v[15:16]
	v_cndmask_b32_e64 v11, 0, 1, vcc_lo
	v_add_co_u32 v4, vcc_lo, v4, v7
	v_add_co_ci_u32_e32 v5, vcc_lo, 0, v5, vcc_lo
	v_cmp_gt_i64_e32 vcc_lo, v[2:3], v[17:18]
	s_delay_alu instid0(VALU_DEP_3) | instskip(NEXT) | instid1(VALU_DEP_1)
	v_add_co_u32 v4, s0, v4, v8
	v_add_co_ci_u32_e64 v5, s0, 0, v5, s0
	v_cndmask_b32_e64 v7, 0, 1, vcc_lo
	s_delay_alu instid0(VALU_DEP_3) | instskip(NEXT) | instid1(VALU_DEP_3)
	v_add_co_u32 v4, vcc_lo, v4, v9
	v_add_co_ci_u32_e32 v5, vcc_lo, 0, v5, vcc_lo
	s_waitcnt lgkmcnt(0)
	v_cmp_gt_i64_e32 vcc_lo, v[2:3], v[19:20]
	s_delay_alu instid0(VALU_DEP_3) | instskip(NEXT) | instid1(VALU_DEP_1)
	v_add_co_u32 v4, s0, v4, v10
	v_add_co_ci_u32_e64 v5, s0, 0, v5, s0
	v_cndmask_b32_e64 v8, 0, 1, vcc_lo
	s_delay_alu instid0(VALU_DEP_3) | instskip(NEXT) | instid1(VALU_DEP_3)
	v_add_co_u32 v4, vcc_lo, v4, v11
	v_add_co_ci_u32_e32 v5, vcc_lo, 0, v5, vcc_lo
	v_cmp_gt_i64_e32 vcc_lo, v[2:3], v[21:22]
	s_delay_alu instid0(VALU_DEP_3) | instskip(NEXT) | instid1(VALU_DEP_1)
	v_add_co_u32 v4, s0, v4, v7
	v_add_co_ci_u32_e64 v5, s0, 0, v5, s0
	v_cndmask_b32_e64 v7, 0, 1, vcc_lo
	s_delay_alu instid0(VALU_DEP_3) | instskip(NEXT) | instid1(VALU_DEP_3)
	v_add_co_u32 v4, vcc_lo, v4, v8
	v_add_co_ci_u32_e32 v5, vcc_lo, 0, v5, vcc_lo
	s_delay_alu instid0(VALU_DEP_2) | instskip(NEXT) | instid1(VALU_DEP_2)
	v_add_co_u32 v4, vcc_lo, v4, v7
	v_add_co_ci_u32_e32 v5, vcc_lo, 0, v5, vcc_lo
	s_cbranch_scc0 .LBB82_64
; %bb.65:                               ;   in Loop: Header=BB82_62 Depth=1
	s_mov_b64 s[0:1], s[2:3]
.LBB82_66:                              ;   in Loop: Header=BB82_62 Depth=1
	s_and_not1_b32 vcc_lo, exec_lo, s13
	s_cbranch_vccnz .LBB82_61
; %bb.67:                               ;   in Loop: Header=BB82_62 Depth=1
	s_lshl_b32 s0, s0, 3
	s_delay_alu instid0(SALU_CYCLE_1)
	s_add_i32 s10, s0, 0
	s_mov_b64 s[0:1], s[6:7]
.LBB82_68:                              ;   Parent Loop BB82_62 Depth=1
                                        ; =>  This Inner Loop Header: Depth=2
	v_mov_b32_e32 v7, s10
	s_add_i32 s10, s10, 8
	s_add_u32 s0, s0, -1
	s_addc_u32 s1, s1, -1
	s_delay_alu instid0(SALU_CYCLE_1) | instskip(SKIP_4) | instid1(VALU_DEP_1)
	s_cmp_lg_u64 s[0:1], 0
	ds_load_b64 v[7:8], v7
	s_waitcnt lgkmcnt(0)
	v_cmp_gt_i64_e32 vcc_lo, v[2:3], v[7:8]
	v_cndmask_b32_e64 v7, 0, 1, vcc_lo
	v_add_co_u32 v4, vcc_lo, v4, v7
	v_add_co_ci_u32_e32 v5, vcc_lo, 0, v5, vcc_lo
	s_cbranch_scc1 .LBB82_68
	s_branch .LBB82_61
.LBB82_69:
	s_nop 0
	s_sendmsg sendmsg(MSG_DEALLOC_VGPRS)
	s_endpgm
	.section	.rodata,"a",@progbits
	.p2align	6, 0x0
	.amdhsa_kernel _ZN9rocsparseL41csrgemm_numeric_fill_block_per_row_kernelILj128ELj16ELj256ELj137ELj32EllfEEvT5_PKS1_S3_NS_24const_host_device_scalarIT6_EEPKT4_S3_PKS5_S9_S3_SB_S6_S9_S3_SB_S9_S3_PS5_21rocsparse_index_base_SD_SD_SD_bbb
		.amdhsa_group_segment_fixed_size 0
		.amdhsa_private_segment_fixed_size 0
		.amdhsa_kernarg_size 156
		.amdhsa_user_sgpr_count 15
		.amdhsa_user_sgpr_dispatch_ptr 0
		.amdhsa_user_sgpr_queue_ptr 0
		.amdhsa_user_sgpr_kernarg_segment_ptr 1
		.amdhsa_user_sgpr_dispatch_id 0
		.amdhsa_user_sgpr_private_segment_size 0
		.amdhsa_wavefront_size32 1
		.amdhsa_uses_dynamic_stack 0
		.amdhsa_enable_private_segment 0
		.amdhsa_system_sgpr_workgroup_id_x 1
		.amdhsa_system_sgpr_workgroup_id_y 0
		.amdhsa_system_sgpr_workgroup_id_z 0
		.amdhsa_system_sgpr_workgroup_info 0
		.amdhsa_system_vgpr_workitem_id 0
		.amdhsa_next_free_vgpr 23
		.amdhsa_next_free_sgpr 43
		.amdhsa_reserve_vcc 1
		.amdhsa_float_round_mode_32 0
		.amdhsa_float_round_mode_16_64 0
		.amdhsa_float_denorm_mode_32 3
		.amdhsa_float_denorm_mode_16_64 3
		.amdhsa_dx10_clamp 1
		.amdhsa_ieee_mode 1
		.amdhsa_fp16_overflow 0
		.amdhsa_workgroup_processor_mode 1
		.amdhsa_memory_ordered 1
		.amdhsa_forward_progress 0
		.amdhsa_shared_vgpr_count 0
		.amdhsa_exception_fp_ieee_invalid_op 0
		.amdhsa_exception_fp_denorm_src 0
		.amdhsa_exception_fp_ieee_div_zero 0
		.amdhsa_exception_fp_ieee_overflow 0
		.amdhsa_exception_fp_ieee_underflow 0
		.amdhsa_exception_fp_ieee_inexact 0
		.amdhsa_exception_int_div_zero 0
	.end_amdhsa_kernel
	.section	.text._ZN9rocsparseL41csrgemm_numeric_fill_block_per_row_kernelILj128ELj16ELj256ELj137ELj32EllfEEvT5_PKS1_S3_NS_24const_host_device_scalarIT6_EEPKT4_S3_PKS5_S9_S3_SB_S6_S9_S3_SB_S9_S3_PS5_21rocsparse_index_base_SD_SD_SD_bbb,"axG",@progbits,_ZN9rocsparseL41csrgemm_numeric_fill_block_per_row_kernelILj128ELj16ELj256ELj137ELj32EllfEEvT5_PKS1_S3_NS_24const_host_device_scalarIT6_EEPKT4_S3_PKS5_S9_S3_SB_S6_S9_S3_SB_S9_S3_PS5_21rocsparse_index_base_SD_SD_SD_bbb,comdat
.Lfunc_end82:
	.size	_ZN9rocsparseL41csrgemm_numeric_fill_block_per_row_kernelILj128ELj16ELj256ELj137ELj32EllfEEvT5_PKS1_S3_NS_24const_host_device_scalarIT6_EEPKT4_S3_PKS5_S9_S3_SB_S6_S9_S3_SB_S9_S3_PS5_21rocsparse_index_base_SD_SD_SD_bbb, .Lfunc_end82-_ZN9rocsparseL41csrgemm_numeric_fill_block_per_row_kernelILj128ELj16ELj256ELj137ELj32EllfEEvT5_PKS1_S3_NS_24const_host_device_scalarIT6_EEPKT4_S3_PKS5_S9_S3_SB_S6_S9_S3_SB_S9_S3_PS5_21rocsparse_index_base_SD_SD_SD_bbb
                                        ; -- End function
	.section	.AMDGPU.csdata,"",@progbits
; Kernel info:
; codeLenInByte = 2976
; NumSgprs: 45
; NumVgprs: 23
; ScratchSize: 0
; MemoryBound: 0
; FloatMode: 240
; IeeeMode: 1
; LDSByteSize: 0 bytes/workgroup (compile time only)
; SGPRBlocks: 5
; VGPRBlocks: 2
; NumSGPRsForWavesPerEU: 45
; NumVGPRsForWavesPerEU: 23
; Occupancy: 16
; WaveLimiterHint : 1
; COMPUTE_PGM_RSRC2:SCRATCH_EN: 0
; COMPUTE_PGM_RSRC2:USER_SGPR: 15
; COMPUTE_PGM_RSRC2:TRAP_HANDLER: 0
; COMPUTE_PGM_RSRC2:TGID_X_EN: 1
; COMPUTE_PGM_RSRC2:TGID_Y_EN: 0
; COMPUTE_PGM_RSRC2:TGID_Z_EN: 0
; COMPUTE_PGM_RSRC2:TIDIG_COMP_CNT: 0
	.section	.text._ZN9rocsparseL41csrgemm_numeric_fill_block_per_row_kernelILj128ELj16ELj256ELj137ELj64EllfEEvT5_PKS1_S3_NS_24const_host_device_scalarIT6_EEPKT4_S3_PKS5_S9_S3_SB_S6_S9_S3_SB_S9_S3_PS5_21rocsparse_index_base_SD_SD_SD_bbb,"axG",@progbits,_ZN9rocsparseL41csrgemm_numeric_fill_block_per_row_kernelILj128ELj16ELj256ELj137ELj64EllfEEvT5_PKS1_S3_NS_24const_host_device_scalarIT6_EEPKT4_S3_PKS5_S9_S3_SB_S6_S9_S3_SB_S9_S3_PS5_21rocsparse_index_base_SD_SD_SD_bbb,comdat
	.globl	_ZN9rocsparseL41csrgemm_numeric_fill_block_per_row_kernelILj128ELj16ELj256ELj137ELj64EllfEEvT5_PKS1_S3_NS_24const_host_device_scalarIT6_EEPKT4_S3_PKS5_S9_S3_SB_S6_S9_S3_SB_S9_S3_PS5_21rocsparse_index_base_SD_SD_SD_bbb ; -- Begin function _ZN9rocsparseL41csrgemm_numeric_fill_block_per_row_kernelILj128ELj16ELj256ELj137ELj64EllfEEvT5_PKS1_S3_NS_24const_host_device_scalarIT6_EEPKT4_S3_PKS5_S9_S3_SB_S6_S9_S3_SB_S9_S3_PS5_21rocsparse_index_base_SD_SD_SD_bbb
	.p2align	8
	.type	_ZN9rocsparseL41csrgemm_numeric_fill_block_per_row_kernelILj128ELj16ELj256ELj137ELj64EllfEEvT5_PKS1_S3_NS_24const_host_device_scalarIT6_EEPKT4_S3_PKS5_S9_S3_SB_S6_S9_S3_SB_S9_S3_PS5_21rocsparse_index_base_SD_SD_SD_bbb,@function
_ZN9rocsparseL41csrgemm_numeric_fill_block_per_row_kernelILj128ELj16ELj256ELj137ELj64EllfEEvT5_PKS1_S3_NS_24const_host_device_scalarIT6_EEPKT4_S3_PKS5_S9_S3_SB_S6_S9_S3_SB_S9_S3_PS5_21rocsparse_index_base_SD_SD_SD_bbb: ; @_ZN9rocsparseL41csrgemm_numeric_fill_block_per_row_kernelILj128ELj16ELj256ELj137ELj64EllfEEvT5_PKS1_S3_NS_24const_host_device_scalarIT6_EEPKT4_S3_PKS5_S9_S3_SB_S6_S9_S3_SB_S9_S3_PS5_21rocsparse_index_base_SD_SD_SD_bbb
; %bb.0:
	s_clause 0x2
	s_load_b32 s3, s[0:1], 0x98
	s_load_b64 s[6:7], s[0:1], 0x18
	s_load_b64 s[4:5], s[0:1], 0x50
	s_mov_b32 s2, s15
	s_waitcnt lgkmcnt(0)
	s_bitcmp1_b32 s3, 0
	s_cselect_b32 s38, -1, 0
	s_bitcmp1_b32 s3, 16
	s_cselect_b32 s8, -1, 0
	s_xor_b32 s9, s38, -1
	s_delay_alu instid0(SALU_CYCLE_1) | instskip(NEXT) | instid1(SALU_CYCLE_1)
	s_or_b32 s9, s9, s8
	s_and_b32 vcc_lo, exec_lo, s9
	s_cbranch_vccnz .LBB83_2
; %bb.1:
	s_load_b32 s6, s[6:7], 0x0
	s_waitcnt lgkmcnt(0)
	v_mov_b32_e32 v15, s6
	s_branch .LBB83_3
.LBB83_2:
	v_cndmask_b32_e64 v15, 0, s6, s38
.LBB83_3:
	s_load_b128 s[20:23], s[0:1], 0x88
	s_bitcmp1_b32 s3, 8
	s_cselect_b32 s33, -1, 0
	s_delay_alu instid0(SALU_CYCLE_1) | instskip(NEXT) | instid1(SALU_CYCLE_1)
	s_xor_b32 s3, s33, -1
	s_or_b32 s3, s3, s8
	s_delay_alu instid0(SALU_CYCLE_1)
	s_and_b32 vcc_lo, exec_lo, s3
	s_cbranch_vccnz .LBB83_5
; %bb.4:
	s_load_b32 s3, s[4:5], 0x0
	s_waitcnt lgkmcnt(0)
	v_mov_b32_e32 v13, s3
	s_branch .LBB83_6
.LBB83_5:
	v_cndmask_b32_e64 v13, 0, s4, s33
.LBB83_6:
	s_clause 0x5
	s_load_b64 s[34:35], s[0:1], 0x80
	s_load_b256 s[4:11], s[0:1], 0x58
	s_load_b128 s[28:31], s[0:1], 0x40
	s_load_b128 s[24:27], s[0:1], 0x0
	s_load_b64 s[36:37], s[0:1], 0x10
	s_load_b256 s[12:19], s[0:1], 0x20
	v_cmp_gt_u32_e64 s0, 0x100, v0
	v_lshlrev_b32_e32 v14, 2, v0
	v_or_b32_e32 v11, 0xffffff80, v0
	v_lshl_add_u32 v12, v0, 3, 0
	s_delay_alu instid0(VALU_DEP_4)
	s_and_saveexec_b32 s1, s0
	s_cbranch_execz .LBB83_9
; %bb.7:
	v_add3_u32 v3, v14, 0, 0x800
	v_or_b32_e32 v4, 0xffffff80, v0
	v_lshl_add_u32 v5, v0, 3, 0
	s_waitcnt lgkmcnt(0)
	v_dual_mov_b32 v1, s24 :: v_dual_mov_b32 v2, s25
	v_mov_b32_e32 v6, 0
	s_mov_b32 s3, 0
.LBB83_8:                               ; =>This Inner Loop Header: Depth=1
	v_add_co_u32 v4, s39, 0x80, v4
	s_delay_alu instid0(VALU_DEP_1)
	s_xor_b32 s39, s39, -1
	ds_store_b64 v5, v[1:2]
	ds_store_b32 v3, v6
	v_add_nc_u32_e32 v3, 0x200, v3
	v_add_nc_u32_e32 v5, 0x400, v5
	s_and_b32 s39, exec_lo, s39
	s_delay_alu instid0(SALU_CYCLE_1) | instskip(NEXT) | instid1(SALU_CYCLE_1)
	s_or_b32 s3, s39, s3
	s_and_not1_b32 exec_lo, exec_lo, s3
	s_cbranch_execnz .LBB83_8
.LBB83_9:
	s_or_b32 exec_lo, exec_lo, s1
	s_waitcnt lgkmcnt(0)
	s_barrier
	buffer_gl0_inv
	s_load_b64 s[26:27], s[26:27], 0x0
	s_mov_b32 s3, 0
	s_waitcnt lgkmcnt(0)
	s_lshl_b64 s[26:27], s[26:27], 3
	s_delay_alu instid0(SALU_CYCLE_1) | instskip(SKIP_2) | instid1(SALU_CYCLE_1)
	s_add_u32 s1, s36, s26
	s_addc_u32 s26, s37, s27
	s_lshl_b64 s[2:3], s[2:3], 3
	s_add_u32 s2, s1, s2
	s_addc_u32 s3, s26, s3
	s_and_b32 vcc_lo, exec_lo, s38
	s_load_b64 s[26:27], s[2:3], 0x0
	s_cbranch_vccz .LBB83_29
; %bb.10:
	s_waitcnt lgkmcnt(0)
	s_lshl_b64 s[2:3], s[26:27], 3
	v_lshrrev_b32_e32 v1, 4, v0
	s_add_u32 s2, s12, s2
	s_addc_u32 s3, s13, s3
	s_load_b128 s[36:39], s[2:3], 0x0
	s_delay_alu instid0(VALU_DEP_1) | instskip(NEXT) | instid1(VALU_DEP_1)
	v_sub_co_u32 v1, s1, v1, s20
	v_sub_co_ci_u32_e64 v2, null, 0, 0, s1
	s_mov_b32 s1, exec_lo
	s_waitcnt lgkmcnt(0)
	s_delay_alu instid0(VALU_DEP_2) | instskip(NEXT) | instid1(VALU_DEP_2)
	v_add_co_u32 v1, vcc_lo, s36, v1
	v_add_co_ci_u32_e32 v2, vcc_lo, s37, v2, vcc_lo
	s_sub_u32 s2, s38, s20
	s_subb_u32 s3, s39, 0
	s_delay_alu instid0(VALU_DEP_1) | instid1(SALU_CYCLE_1)
	v_cmpx_gt_i64_e64 s[2:3], v[1:2]
	s_cbranch_execz .LBB83_28
; %bb.11:
	v_and_b32_e32 v3, 15, v0
	s_mov_b32 s13, s21
	s_delay_alu instid0(VALU_DEP_1) | instskip(NEXT) | instid1(VALU_DEP_1)
	v_sub_co_u32 v16, s12, v3, s21
	v_sub_co_ci_u32_e64 v17, null, 0, 0, s12
	s_mov_b32 s12, 0
	s_branch .LBB83_13
.LBB83_12:                              ;   in Loop: Header=BB83_13 Depth=1
	s_or_b32 exec_lo, exec_lo, s21
	v_add_co_u32 v1, vcc_lo, v1, 8
	v_add_co_ci_u32_e32 v2, vcc_lo, 0, v2, vcc_lo
	s_delay_alu instid0(VALU_DEP_1) | instskip(SKIP_1) | instid1(SALU_CYCLE_1)
	v_cmp_le_i64_e32 vcc_lo, s[2:3], v[1:2]
	s_or_b32 s12, vcc_lo, s12
	s_and_not1_b32 exec_lo, exec_lo, s12
	s_cbranch_execz .LBB83_28
.LBB83_13:                              ; =>This Loop Header: Depth=1
                                        ;     Child Loop BB83_16 Depth 2
                                        ;       Child Loop BB83_18 Depth 3
	v_lshlrev_b64 v[3:4], 3, v[1:2]
	s_mov_b32 s21, exec_lo
	s_delay_alu instid0(VALU_DEP_1) | instskip(NEXT) | instid1(VALU_DEP_2)
	v_add_co_u32 v3, vcc_lo, s14, v3
	v_add_co_ci_u32_e32 v4, vcc_lo, s15, v4, vcc_lo
	global_load_b64 v[3:4], v[3:4], off
	s_waitcnt vmcnt(0)
	v_sub_co_u32 v3, vcc_lo, v3, s20
	v_subrev_co_ci_u32_e32 v4, vcc_lo, 0, v4, vcc_lo
	s_delay_alu instid0(VALU_DEP_1) | instskip(NEXT) | instid1(VALU_DEP_1)
	v_lshlrev_b64 v[3:4], 3, v[3:4]
	v_add_co_u32 v3, vcc_lo, s18, v3
	s_delay_alu instid0(VALU_DEP_2)
	v_add_co_ci_u32_e32 v4, vcc_lo, s19, v4, vcc_lo
	global_load_b128 v[5:8], v[3:4], off
	s_waitcnt vmcnt(0)
	v_sub_co_u32 v3, vcc_lo, v7, s13
	v_subrev_co_ci_u32_e32 v4, vcc_lo, 0, v8, vcc_lo
	v_add_co_u32 v5, vcc_lo, v5, v16
	v_add_co_ci_u32_e32 v6, vcc_lo, v6, v17, vcc_lo
	s_delay_alu instid0(VALU_DEP_1)
	v_cmpx_lt_i64_e64 v[5:6], v[3:4]
	s_cbranch_execz .LBB83_12
; %bb.14:                               ;   in Loop: Header=BB83_13 Depth=1
	v_lshlrev_b64 v[7:8], 2, v[1:2]
	s_mov_b32 s36, 0
	s_delay_alu instid0(VALU_DEP_1) | instskip(NEXT) | instid1(VALU_DEP_2)
	v_add_co_u32 v7, vcc_lo, s16, v7
	v_add_co_ci_u32_e32 v8, vcc_lo, s17, v8, vcc_lo
	global_load_b32 v7, v[7:8], off
	s_waitcnt vmcnt(0)
	v_mul_f32_e32 v18, v15, v7
	s_branch .LBB83_16
.LBB83_15:                              ;   in Loop: Header=BB83_16 Depth=2
	s_or_b32 exec_lo, exec_lo, s37
	v_add_co_u32 v5, vcc_lo, v5, 16
	v_add_co_ci_u32_e32 v6, vcc_lo, 0, v6, vcc_lo
	s_delay_alu instid0(VALU_DEP_1) | instskip(SKIP_1) | instid1(SALU_CYCLE_1)
	v_cmp_ge_i64_e32 vcc_lo, v[5:6], v[3:4]
	s_or_b32 s36, vcc_lo, s36
	s_and_not1_b32 exec_lo, exec_lo, s36
	s_cbranch_execz .LBB83_12
.LBB83_16:                              ;   Parent Loop BB83_13 Depth=1
                                        ; =>  This Loop Header: Depth=2
                                        ;       Child Loop BB83_18 Depth 3
	v_lshlrev_b64 v[7:8], 3, v[5:6]
	v_lshlrev_b64 v[9:10], 2, v[5:6]
	s_mov_b32 s37, 0
	s_delay_alu instid0(VALU_DEP_2) | instskip(NEXT) | instid1(VALU_DEP_3)
	v_add_co_u32 v7, vcc_lo, s28, v7
	v_add_co_ci_u32_e32 v8, vcc_lo, s29, v8, vcc_lo
	s_delay_alu instid0(VALU_DEP_3) | instskip(NEXT) | instid1(VALU_DEP_4)
	v_add_co_u32 v9, vcc_lo, s30, v9
	v_add_co_ci_u32_e32 v10, vcc_lo, s31, v10, vcc_lo
	global_load_b64 v[7:8], v[7:8], off
	global_load_b32 v9, v[9:10], off
	s_waitcnt vmcnt(1)
	v_sub_co_u32 v7, vcc_lo, v7, s13
	v_subrev_co_ci_u32_e32 v8, vcc_lo, 0, v8, vcc_lo
	s_delay_alu instid0(VALU_DEP_2) | instskip(SKIP_1) | instid1(VALU_DEP_1)
	v_mul_lo_u32 v10, 0x89, v7
	s_waitcnt vmcnt(0)
	v_dual_mul_f32 v19, v18, v9 :: v_dual_and_b32 v20, 0xff, v10
	s_branch .LBB83_18
.LBB83_17:                              ;   in Loop: Header=BB83_18 Depth=3
	s_or_b32 exec_lo, exec_lo, s38
	s_xor_b32 s38, s39, -1
	s_delay_alu instid0(SALU_CYCLE_1) | instskip(NEXT) | instid1(SALU_CYCLE_1)
	s_and_b32 s38, exec_lo, s38
	s_or_b32 s37, s38, s37
	s_delay_alu instid0(SALU_CYCLE_1)
	s_and_not1_b32 exec_lo, exec_lo, s37
	s_cbranch_execz .LBB83_15
.LBB83_18:                              ;   Parent Loop BB83_13 Depth=1
                                        ;     Parent Loop BB83_16 Depth=2
                                        ; =>    This Inner Loop Header: Depth=3
	s_delay_alu instid0(VALU_DEP_1)
	v_lshl_add_u32 v21, v20, 3, 0
	s_mov_b32 s38, exec_lo
                                        ; implicit-def: $sgpr39
	ds_load_b64 v[9:10], v21
	s_waitcnt lgkmcnt(0)
	v_cmpx_ne_u64_e64 v[9:10], v[7:8]
	s_xor_b32 s38, exec_lo, s38
	s_cbranch_execz .LBB83_26
; %bb.19:                               ;   in Loop: Header=BB83_18 Depth=3
	s_mov_b32 s40, exec_lo
                                        ; implicit-def: $sgpr39
	v_cmpx_ne_u64_e64 s[24:25], v[9:10]
	s_xor_b32 s40, exec_lo, s40
; %bb.20:                               ;   in Loop: Header=BB83_18 Depth=3
	v_add_nc_u32_e32 v9, 1, v20
	s_mov_b32 s39, -1
                                        ; implicit-def: $vgpr21
	s_delay_alu instid0(VALU_DEP_1)
	v_and_b32_e32 v20, 0xff, v9
; %bb.21:                               ;   in Loop: Header=BB83_18 Depth=3
	s_and_not1_saveexec_b32 s40, s40
	s_cbranch_execz .LBB83_25
; %bb.22:                               ;   in Loop: Header=BB83_18 Depth=3
	v_dual_mov_b32 v9, s24 :: v_dual_mov_b32 v10, s25
	s_mov_b32 s41, -1
	s_mov_b32 s42, exec_lo
	ds_cmpstore_rtn_b64 v[9:10], v21, v[7:8], v[9:10]
	s_waitcnt lgkmcnt(0)
	v_cmpx_eq_u64_e64 s[24:25], v[9:10]
	s_cbranch_execz .LBB83_24
; %bb.23:                               ;   in Loop: Header=BB83_18 Depth=3
	v_lshlrev_b32_e32 v9, 2, v20
	s_xor_b32 s41, exec_lo, -1
	s_delay_alu instid0(VALU_DEP_1)
	v_sub_nc_u32_e32 v9, v21, v9
	ds_add_f32 v9, v19 offset:2048
.LBB83_24:                              ;   in Loop: Header=BB83_18 Depth=3
	s_or_b32 exec_lo, exec_lo, s42
	s_delay_alu instid0(SALU_CYCLE_1) | instskip(SKIP_1) | instid1(SALU_CYCLE_1)
	s_and_not1_b32 s39, s39, exec_lo
	s_and_b32 s41, s41, exec_lo
	s_or_b32 s39, s39, s41
.LBB83_25:                              ;   in Loop: Header=BB83_18 Depth=3
	s_or_b32 exec_lo, exec_lo, s40
	s_delay_alu instid0(SALU_CYCLE_1)
	s_and_b32 s39, s39, exec_lo
                                        ; implicit-def: $vgpr21
.LBB83_26:                              ;   in Loop: Header=BB83_18 Depth=3
	s_and_not1_saveexec_b32 s38, s38
	s_cbranch_execz .LBB83_17
; %bb.27:                               ;   in Loop: Header=BB83_18 Depth=3
	v_lshlrev_b32_e32 v9, 2, v20
	s_and_not1_b32 s39, s39, exec_lo
	s_delay_alu instid0(VALU_DEP_1)
	v_sub_nc_u32_e32 v9, v21, v9
	ds_add_f32 v9, v19 offset:2048
	s_branch .LBB83_17
.LBB83_28:
	s_or_b32 exec_lo, exec_lo, s1
.LBB83_29:
	s_delay_alu instid0(SALU_CYCLE_1)
	s_and_not1_b32 vcc_lo, exec_lo, s33
	s_cbranch_vccnz .LBB83_46
; %bb.30:
	s_waitcnt lgkmcnt(0)
	s_lshl_b64 s[2:3], s[26:27], 3
	v_sub_co_u32 v1, s1, v0, s23
	s_add_u32 s2, s4, s2
	s_addc_u32 s3, s5, s3
	v_sub_co_ci_u32_e64 v2, null, 0, 0, s1
	s_load_b128 s[12:15], s[2:3], 0x0
	s_mov_b32 s1, 0
	s_mov_b32 s4, exec_lo
	s_waitcnt lgkmcnt(0)
	v_add_co_u32 v1, vcc_lo, s12, v1
	v_add_co_ci_u32_e32 v2, vcc_lo, s13, v2, vcc_lo
	s_sub_u32 s2, s14, s23
	s_subb_u32 s3, s15, 0
	s_delay_alu instid0(VALU_DEP_1) | instid1(SALU_CYCLE_1)
	v_cmpx_gt_i64_e64 s[2:3], v[1:2]
	s_cbranch_execz .LBB83_45
; %bb.31:
	s_mov_b32 s5, s23
	s_branch .LBB83_33
.LBB83_32:                              ;   in Loop: Header=BB83_33 Depth=1
	s_or_b32 exec_lo, exec_lo, s12
	v_add_co_u32 v1, vcc_lo, 0x80, v1
	v_add_co_ci_u32_e32 v2, vcc_lo, 0, v2, vcc_lo
	s_delay_alu instid0(VALU_DEP_1) | instskip(SKIP_1) | instid1(SALU_CYCLE_1)
	v_cmp_le_i64_e32 vcc_lo, s[2:3], v[1:2]
	s_or_b32 s1, vcc_lo, s1
	s_and_not1_b32 exec_lo, exec_lo, s1
	s_cbranch_execz .LBB83_45
.LBB83_33:                              ; =>This Loop Header: Depth=1
                                        ;     Child Loop BB83_35 Depth 2
	v_lshlrev_b64 v[3:4], 3, v[1:2]
	v_lshlrev_b64 v[5:6], 2, v[1:2]
	s_mov_b32 s12, 0
	s_delay_alu instid0(VALU_DEP_2) | instskip(NEXT) | instid1(VALU_DEP_3)
	v_add_co_u32 v3, vcc_lo, s6, v3
	v_add_co_ci_u32_e32 v4, vcc_lo, s7, v4, vcc_lo
	s_delay_alu instid0(VALU_DEP_3) | instskip(NEXT) | instid1(VALU_DEP_4)
	v_add_co_u32 v5, vcc_lo, s8, v5
	v_add_co_ci_u32_e32 v6, vcc_lo, s9, v6, vcc_lo
	global_load_b64 v[3:4], v[3:4], off
	global_load_b32 v5, v[5:6], off
	s_waitcnt vmcnt(1)
	v_sub_co_u32 v3, vcc_lo, v3, s5
	v_subrev_co_ci_u32_e32 v4, vcc_lo, 0, v4, vcc_lo
	s_delay_alu instid0(VALU_DEP_2) | instskip(SKIP_1) | instid1(VALU_DEP_1)
	v_mul_lo_u32 v6, 0x89, v3
	s_waitcnt vmcnt(0)
	v_dual_mul_f32 v7, v13, v5 :: v_dual_and_b32 v8, 0xff, v6
	s_branch .LBB83_35
.LBB83_34:                              ;   in Loop: Header=BB83_35 Depth=2
	s_or_b32 exec_lo, exec_lo, s13
	s_xor_b32 s13, s14, -1
	s_delay_alu instid0(SALU_CYCLE_1) | instskip(NEXT) | instid1(SALU_CYCLE_1)
	s_and_b32 s13, exec_lo, s13
	s_or_b32 s12, s13, s12
	s_delay_alu instid0(SALU_CYCLE_1)
	s_and_not1_b32 exec_lo, exec_lo, s12
	s_cbranch_execz .LBB83_32
.LBB83_35:                              ;   Parent Loop BB83_33 Depth=1
                                        ; =>  This Inner Loop Header: Depth=2
	s_delay_alu instid0(VALU_DEP_1)
	v_lshl_add_u32 v9, v8, 3, 0
	s_mov_b32 s13, exec_lo
                                        ; implicit-def: $sgpr14
	ds_load_b64 v[5:6], v9
	s_waitcnt lgkmcnt(0)
	v_cmpx_ne_u64_e64 v[5:6], v[3:4]
	s_xor_b32 s13, exec_lo, s13
	s_cbranch_execz .LBB83_43
; %bb.36:                               ;   in Loop: Header=BB83_35 Depth=2
	s_mov_b32 s15, exec_lo
                                        ; implicit-def: $sgpr14
	v_cmpx_ne_u64_e64 s[24:25], v[5:6]
	s_xor_b32 s15, exec_lo, s15
; %bb.37:                               ;   in Loop: Header=BB83_35 Depth=2
	v_add_nc_u32_e32 v5, 1, v8
	s_mov_b32 s14, -1
                                        ; implicit-def: $vgpr9
	s_delay_alu instid0(VALU_DEP_1)
	v_and_b32_e32 v8, 0xff, v5
; %bb.38:                               ;   in Loop: Header=BB83_35 Depth=2
	s_and_not1_saveexec_b32 s15, s15
	s_cbranch_execz .LBB83_42
; %bb.39:                               ;   in Loop: Header=BB83_35 Depth=2
	v_dual_mov_b32 v5, s24 :: v_dual_mov_b32 v6, s25
	s_mov_b32 s16, -1
	s_mov_b32 s17, exec_lo
	ds_cmpstore_rtn_b64 v[5:6], v9, v[3:4], v[5:6]
	s_waitcnt lgkmcnt(0)
	v_cmpx_eq_u64_e64 s[24:25], v[5:6]
	s_cbranch_execz .LBB83_41
; %bb.40:                               ;   in Loop: Header=BB83_35 Depth=2
	v_lshlrev_b32_e32 v5, 2, v8
	s_xor_b32 s16, exec_lo, -1
	s_delay_alu instid0(VALU_DEP_1)
	v_sub_nc_u32_e32 v5, v9, v5
	ds_add_f32 v5, v7 offset:2048
.LBB83_41:                              ;   in Loop: Header=BB83_35 Depth=2
	s_or_b32 exec_lo, exec_lo, s17
	s_delay_alu instid0(SALU_CYCLE_1) | instskip(SKIP_1) | instid1(SALU_CYCLE_1)
	s_and_not1_b32 s14, s14, exec_lo
	s_and_b32 s16, s16, exec_lo
	s_or_b32 s14, s14, s16
.LBB83_42:                              ;   in Loop: Header=BB83_35 Depth=2
	s_or_b32 exec_lo, exec_lo, s15
	s_delay_alu instid0(SALU_CYCLE_1)
	s_and_b32 s14, s14, exec_lo
                                        ; implicit-def: $vgpr9
.LBB83_43:                              ;   in Loop: Header=BB83_35 Depth=2
	s_and_not1_saveexec_b32 s13, s13
	s_cbranch_execz .LBB83_34
; %bb.44:                               ;   in Loop: Header=BB83_35 Depth=2
	v_lshlrev_b32_e32 v5, 2, v8
	s_and_not1_b32 s14, s14, exec_lo
	s_delay_alu instid0(VALU_DEP_1)
	v_sub_nc_u32_e32 v5, v9, v5
	ds_add_f32 v5, v7 offset:2048
	s_branch .LBB83_34
.LBB83_45:
	s_or_b32 exec_lo, exec_lo, s4
.LBB83_46:
	s_waitcnt lgkmcnt(0)
	s_barrier
	buffer_gl0_inv
	s_and_saveexec_b32 s3, s0
	s_cbranch_execz .LBB83_55
; %bb.47:
	v_mbcnt_lo_u32_b32 v1, -1, 0
	v_lshrrev_b32_e32 v2, 3, v0
	v_cmp_lt_u32_e32 vcc_lo, 63, v0
	v_cmp_eq_u32_e64 s0, 0x7f, v0
	v_add3_u32 v10, v14, 0, 0x800
	v_xor_b32_e32 v1, 63, v1
	v_and_b32_e32 v3, 8, v2
	v_mov_b32_e32 v5, 0
	s_mov_b32 s4, 0
	s_delay_alu instid0(VALU_DEP_3) | instskip(NEXT) | instid1(VALU_DEP_3)
	v_lshrrev_b64 v[1:2], v1, -1
	v_dual_mov_b32 v2, 0 :: v_dual_add_nc_u32 v13, 0, v3
	v_mov_b32_e32 v3, 0
	s_branch .LBB83_49
.LBB83_48:                              ;   in Loop: Header=BB83_49 Depth=1
	s_or_b32 exec_lo, exec_lo, s1
	s_waitcnt lgkmcnt(0)
	s_barrier
	buffer_gl0_inv
	ds_load_b64 v[6:7], v5 offset:3080
	v_add_co_u32 v11, s1, 0x80, v11
	s_delay_alu instid0(VALU_DEP_1) | instskip(SKIP_4) | instid1(VALU_DEP_1)
	s_xor_b32 s2, s1, -1
	v_add_nc_u32_e32 v10, 0x200, v10
	v_add_nc_u32_e32 v12, 0x400, v12
	s_waitcnt lgkmcnt(0)
	v_add_co_u32 v2, s1, v6, v2
	v_add_co_ci_u32_e64 v3, s1, v7, v3, s1
	s_and_b32 s1, exec_lo, s2
	s_delay_alu instid0(SALU_CYCLE_1) | instskip(NEXT) | instid1(SALU_CYCLE_1)
	s_or_b32 s4, s1, s4
	s_and_not1_b32 exec_lo, exec_lo, s4
	s_cbranch_execz .LBB83_55
.LBB83_49:                              ; =>This Inner Loop Header: Depth=1
	ds_load_b64 v[6:7], v12
	ds_load_b32 v9, v10
	s_waitcnt lgkmcnt(0)
	s_barrier
	buffer_gl0_inv
	v_cmp_gt_i64_e64 s1, s[24:25], v[6:7]
	s_delay_alu instid0(VALU_DEP_1) | instskip(SKIP_1) | instid1(SALU_CYCLE_1)
	v_and_b32_e32 v8, s1, v1
	s_bcnt1_i32_b32 s2, s1
	v_mov_b32_e32 v4, s2
	s_delay_alu instid0(VALU_DEP_2)
	v_bcnt_u32_b32 v8, v8, 0
	ds_store_b64 v13, v[4:5] offset:3072
	s_waitcnt lgkmcnt(0)
	s_barrier
	buffer_gl0_inv
	s_and_saveexec_b32 s5, vcc_lo
	s_cbranch_execnz .LBB83_52
; %bb.50:                               ;   in Loop: Header=BB83_49 Depth=1
	s_or_b32 exec_lo, exec_lo, s5
	s_and_saveexec_b32 s2, s1
	s_cbranch_execnz .LBB83_53
.LBB83_51:                              ;   in Loop: Header=BB83_49 Depth=1
	s_or_b32 exec_lo, exec_lo, s2
	s_and_saveexec_b32 s1, s0
	s_cbranch_execz .LBB83_48
	s_branch .LBB83_54
.LBB83_52:                              ;   in Loop: Header=BB83_49 Depth=1
	ds_load_b64 v[14:15], v5 offset:3072
	s_waitcnt lgkmcnt(0)
	v_add_co_u32 v8, s2, v14, v8
	s_or_b32 exec_lo, exec_lo, s5
	s_and_saveexec_b32 s2, s1
	s_cbranch_execz .LBB83_51
.LBB83_53:                              ;   in Loop: Header=BB83_49 Depth=1
	s_delay_alu instid0(VALU_DEP_1) | instskip(NEXT) | instid1(VALU_DEP_1)
	v_add3_u32 v4, v2, -1, v8
	v_lshl_add_u32 v14, v4, 3, 0
	v_lshl_add_u32 v4, v4, 2, 0
	ds_store_b64 v14, v[6:7]
	ds_store_b32 v4, v9 offset:2048
	s_or_b32 exec_lo, exec_lo, s2
	s_and_saveexec_b32 s1, s0
	s_cbranch_execz .LBB83_48
.LBB83_54:                              ;   in Loop: Header=BB83_49 Depth=1
	v_ashrrev_i32_e32 v9, 31, v8
	ds_store_b64 v5, v[8:9] offset:3080
	s_branch .LBB83_48
.LBB83_55:
	s_or_b32 exec_lo, exec_lo, s3
	s_lshl_b64 s[0:1], s[26:27], 3
	v_mov_b32_e32 v1, 0
	s_add_u32 s0, s10, s0
	s_addc_u32 s1, s11, s1
	s_mov_b32 s6, exec_lo
	s_load_b128 s[0:3], s[0:1], 0x0
	s_waitcnt lgkmcnt(0)
	s_sub_u32 s4, s2, s0
	s_subb_u32 s5, s3, s1
	s_delay_alu instid0(SALU_CYCLE_1)
	v_cmpx_gt_i64_e64 s[4:5], v[0:1]
	s_cbranch_execz .LBB83_65
; %bb.56:
	s_sub_u32 s8, s0, s22
	s_subb_u32 s9, s1, 0
	s_and_b32 s6, s4, 7
	s_sub_u32 s0, s0, s2
	s_subb_u32 s1, s1, s3
	s_mov_b32 s7, 0
	v_cmp_lt_u64_e64 s12, s[0:1], -7
	s_and_b32 s2, s4, -8
	s_cmp_lg_u64 s[6:7], 0
	s_mov_b32 s3, s5
	s_cselect_b32 s13, -1, 0
	s_mov_b32 s14, s7
	s_branch .LBB83_58
.LBB83_57:                              ;   in Loop: Header=BB83_58 Depth=1
	v_add_co_u32 v0, vcc_lo, 0x80, v0
	v_add_co_ci_u32_e32 v1, vcc_lo, 0, v1, vcc_lo
	s_waitcnt lgkmcnt(1)
	v_lshlrev_b64 v[2:3], 2, v[4:5]
	s_delay_alu instid0(VALU_DEP_2) | instskip(NEXT) | instid1(VALU_DEP_2)
	v_cmp_le_i64_e32 vcc_lo, s[4:5], v[0:1]
	v_add_co_u32 v2, s0, s34, v2
	s_delay_alu instid0(VALU_DEP_1)
	v_add_co_ci_u32_e64 v3, s0, s35, v3, s0
	s_or_b32 s14, vcc_lo, s14
	s_waitcnt lgkmcnt(0)
	global_store_b32 v[2:3], v6, off
	s_and_not1_b32 exec_lo, exec_lo, s14
	s_cbranch_execz .LBB83_65
.LBB83_58:                              ; =>This Loop Header: Depth=1
                                        ;     Child Loop BB83_60 Depth 2
                                        ;     Child Loop BB83_64 Depth 2
	v_lshl_add_u32 v2, v0, 3, 0
	v_lshlrev_b32_e32 v3, 2, v0
	s_and_not1_b32 vcc_lo, exec_lo, s12
	s_mov_b64 s[0:1], 0
	s_delay_alu instid0(VALU_DEP_1)
	v_sub_nc_u32_e32 v4, v2, v3
	ds_load_b64 v[2:3], v2
	ds_load_b32 v6, v4 offset:2048
	v_dual_mov_b32 v4, s8 :: v_dual_mov_b32 v5, s9
	s_cbranch_vccnz .LBB83_62
; %bb.59:                               ;   in Loop: Header=BB83_58 Depth=1
	v_dual_mov_b32 v4, s8 :: v_dual_mov_b32 v5, s9
	s_mov_b64 s[10:11], 0
	s_mov_b32 s1, 0
.LBB83_60:                              ;   Parent Loop BB83_58 Depth=1
                                        ; =>  This Inner Loop Header: Depth=2
	s_delay_alu instid0(SALU_CYCLE_1)
	v_mov_b32_e32 v19, s1
	s_add_u32 s10, s10, 8
	s_addc_u32 s11, s11, 0
	s_add_i32 s1, s1, 64
	s_cmp_eq_u64 s[2:3], s[10:11]
	ds_load_2addr_b64 v[7:10], v19 offset1:1
	ds_load_2addr_b64 v[11:14], v19 offset0:2 offset1:3
	ds_load_2addr_b64 v[15:18], v19 offset0:4 offset1:5
	;; [unrolled: 1-line block ×3, first 2 shown]
	s_waitcnt lgkmcnt(3)
	v_cmp_gt_i64_e32 vcc_lo, v[2:3], v[7:8]
	v_cndmask_b32_e64 v7, 0, 1, vcc_lo
	v_cmp_gt_i64_e32 vcc_lo, v[2:3], v[9:10]
	v_cndmask_b32_e64 v8, 0, 1, vcc_lo
	s_waitcnt lgkmcnt(2)
	v_cmp_gt_i64_e32 vcc_lo, v[2:3], v[11:12]
	v_cndmask_b32_e64 v9, 0, 1, vcc_lo
	v_cmp_gt_i64_e32 vcc_lo, v[2:3], v[13:14]
	v_cndmask_b32_e64 v10, 0, 1, vcc_lo
	s_waitcnt lgkmcnt(1)
	v_cmp_gt_i64_e32 vcc_lo, v[2:3], v[15:16]
	v_cndmask_b32_e64 v11, 0, 1, vcc_lo
	v_add_co_u32 v4, vcc_lo, v4, v7
	v_add_co_ci_u32_e32 v5, vcc_lo, 0, v5, vcc_lo
	v_cmp_gt_i64_e32 vcc_lo, v[2:3], v[17:18]
	s_delay_alu instid0(VALU_DEP_3) | instskip(NEXT) | instid1(VALU_DEP_1)
	v_add_co_u32 v4, s0, v4, v8
	v_add_co_ci_u32_e64 v5, s0, 0, v5, s0
	v_cndmask_b32_e64 v7, 0, 1, vcc_lo
	s_delay_alu instid0(VALU_DEP_3) | instskip(NEXT) | instid1(VALU_DEP_3)
	v_add_co_u32 v4, vcc_lo, v4, v9
	v_add_co_ci_u32_e32 v5, vcc_lo, 0, v5, vcc_lo
	s_waitcnt lgkmcnt(0)
	v_cmp_gt_i64_e32 vcc_lo, v[2:3], v[19:20]
	s_delay_alu instid0(VALU_DEP_3) | instskip(NEXT) | instid1(VALU_DEP_1)
	v_add_co_u32 v4, s0, v4, v10
	v_add_co_ci_u32_e64 v5, s0, 0, v5, s0
	v_cndmask_b32_e64 v8, 0, 1, vcc_lo
	s_delay_alu instid0(VALU_DEP_3) | instskip(NEXT) | instid1(VALU_DEP_3)
	v_add_co_u32 v4, vcc_lo, v4, v11
	v_add_co_ci_u32_e32 v5, vcc_lo, 0, v5, vcc_lo
	v_cmp_gt_i64_e32 vcc_lo, v[2:3], v[21:22]
	s_delay_alu instid0(VALU_DEP_3) | instskip(NEXT) | instid1(VALU_DEP_1)
	v_add_co_u32 v4, s0, v4, v7
	v_add_co_ci_u32_e64 v5, s0, 0, v5, s0
	v_cndmask_b32_e64 v7, 0, 1, vcc_lo
	s_delay_alu instid0(VALU_DEP_3) | instskip(NEXT) | instid1(VALU_DEP_3)
	v_add_co_u32 v4, vcc_lo, v4, v8
	v_add_co_ci_u32_e32 v5, vcc_lo, 0, v5, vcc_lo
	s_delay_alu instid0(VALU_DEP_2) | instskip(NEXT) | instid1(VALU_DEP_2)
	v_add_co_u32 v4, vcc_lo, v4, v7
	v_add_co_ci_u32_e32 v5, vcc_lo, 0, v5, vcc_lo
	s_cbranch_scc0 .LBB83_60
; %bb.61:                               ;   in Loop: Header=BB83_58 Depth=1
	s_mov_b64 s[0:1], s[2:3]
.LBB83_62:                              ;   in Loop: Header=BB83_58 Depth=1
	s_and_not1_b32 vcc_lo, exec_lo, s13
	s_cbranch_vccnz .LBB83_57
; %bb.63:                               ;   in Loop: Header=BB83_58 Depth=1
	s_lshl_b32 s0, s0, 3
	s_delay_alu instid0(SALU_CYCLE_1)
	s_add_i32 s10, s0, 0
	s_mov_b64 s[0:1], s[6:7]
.LBB83_64:                              ;   Parent Loop BB83_58 Depth=1
                                        ; =>  This Inner Loop Header: Depth=2
	v_mov_b32_e32 v7, s10
	s_add_i32 s10, s10, 8
	s_add_u32 s0, s0, -1
	s_addc_u32 s1, s1, -1
	s_delay_alu instid0(SALU_CYCLE_1) | instskip(SKIP_4) | instid1(VALU_DEP_1)
	s_cmp_lg_u64 s[0:1], 0
	ds_load_b64 v[7:8], v7
	s_waitcnt lgkmcnt(0)
	v_cmp_gt_i64_e32 vcc_lo, v[2:3], v[7:8]
	v_cndmask_b32_e64 v7, 0, 1, vcc_lo
	v_add_co_u32 v4, vcc_lo, v4, v7
	v_add_co_ci_u32_e32 v5, vcc_lo, 0, v5, vcc_lo
	s_cbranch_scc1 .LBB83_64
	s_branch .LBB83_57
.LBB83_65:
	s_nop 0
	s_sendmsg sendmsg(MSG_DEALLOC_VGPRS)
	s_endpgm
	.section	.rodata,"a",@progbits
	.p2align	6, 0x0
	.amdhsa_kernel _ZN9rocsparseL41csrgemm_numeric_fill_block_per_row_kernelILj128ELj16ELj256ELj137ELj64EllfEEvT5_PKS1_S3_NS_24const_host_device_scalarIT6_EEPKT4_S3_PKS5_S9_S3_SB_S6_S9_S3_SB_S9_S3_PS5_21rocsparse_index_base_SD_SD_SD_bbb
		.amdhsa_group_segment_fixed_size 0
		.amdhsa_private_segment_fixed_size 0
		.amdhsa_kernarg_size 156
		.amdhsa_user_sgpr_count 15
		.amdhsa_user_sgpr_dispatch_ptr 0
		.amdhsa_user_sgpr_queue_ptr 0
		.amdhsa_user_sgpr_kernarg_segment_ptr 1
		.amdhsa_user_sgpr_dispatch_id 0
		.amdhsa_user_sgpr_private_segment_size 0
		.amdhsa_wavefront_size32 1
		.amdhsa_uses_dynamic_stack 0
		.amdhsa_enable_private_segment 0
		.amdhsa_system_sgpr_workgroup_id_x 1
		.amdhsa_system_sgpr_workgroup_id_y 0
		.amdhsa_system_sgpr_workgroup_id_z 0
		.amdhsa_system_sgpr_workgroup_info 0
		.amdhsa_system_vgpr_workitem_id 0
		.amdhsa_next_free_vgpr 23
		.amdhsa_next_free_sgpr 43
		.amdhsa_reserve_vcc 1
		.amdhsa_float_round_mode_32 0
		.amdhsa_float_round_mode_16_64 0
		.amdhsa_float_denorm_mode_32 3
		.amdhsa_float_denorm_mode_16_64 3
		.amdhsa_dx10_clamp 1
		.amdhsa_ieee_mode 1
		.amdhsa_fp16_overflow 0
		.amdhsa_workgroup_processor_mode 1
		.amdhsa_memory_ordered 1
		.amdhsa_forward_progress 0
		.amdhsa_shared_vgpr_count 0
		.amdhsa_exception_fp_ieee_invalid_op 0
		.amdhsa_exception_fp_denorm_src 0
		.amdhsa_exception_fp_ieee_div_zero 0
		.amdhsa_exception_fp_ieee_overflow 0
		.amdhsa_exception_fp_ieee_underflow 0
		.amdhsa_exception_fp_ieee_inexact 0
		.amdhsa_exception_int_div_zero 0
	.end_amdhsa_kernel
	.section	.text._ZN9rocsparseL41csrgemm_numeric_fill_block_per_row_kernelILj128ELj16ELj256ELj137ELj64EllfEEvT5_PKS1_S3_NS_24const_host_device_scalarIT6_EEPKT4_S3_PKS5_S9_S3_SB_S6_S9_S3_SB_S9_S3_PS5_21rocsparse_index_base_SD_SD_SD_bbb,"axG",@progbits,_ZN9rocsparseL41csrgemm_numeric_fill_block_per_row_kernelILj128ELj16ELj256ELj137ELj64EllfEEvT5_PKS1_S3_NS_24const_host_device_scalarIT6_EEPKT4_S3_PKS5_S9_S3_SB_S6_S9_S3_SB_S9_S3_PS5_21rocsparse_index_base_SD_SD_SD_bbb,comdat
.Lfunc_end83:
	.size	_ZN9rocsparseL41csrgemm_numeric_fill_block_per_row_kernelILj128ELj16ELj256ELj137ELj64EllfEEvT5_PKS1_S3_NS_24const_host_device_scalarIT6_EEPKT4_S3_PKS5_S9_S3_SB_S6_S9_S3_SB_S9_S3_PS5_21rocsparse_index_base_SD_SD_SD_bbb, .Lfunc_end83-_ZN9rocsparseL41csrgemm_numeric_fill_block_per_row_kernelILj128ELj16ELj256ELj137ELj64EllfEEvT5_PKS1_S3_NS_24const_host_device_scalarIT6_EEPKT4_S3_PKS5_S9_S3_SB_S6_S9_S3_SB_S9_S3_PS5_21rocsparse_index_base_SD_SD_SD_bbb
                                        ; -- End function
	.section	.AMDGPU.csdata,"",@progbits
; Kernel info:
; codeLenInByte = 2876
; NumSgprs: 45
; NumVgprs: 23
; ScratchSize: 0
; MemoryBound: 0
; FloatMode: 240
; IeeeMode: 1
; LDSByteSize: 0 bytes/workgroup (compile time only)
; SGPRBlocks: 5
; VGPRBlocks: 2
; NumSGPRsForWavesPerEU: 45
; NumVGPRsForWavesPerEU: 23
; Occupancy: 16
; WaveLimiterHint : 1
; COMPUTE_PGM_RSRC2:SCRATCH_EN: 0
; COMPUTE_PGM_RSRC2:USER_SGPR: 15
; COMPUTE_PGM_RSRC2:TRAP_HANDLER: 0
; COMPUTE_PGM_RSRC2:TGID_X_EN: 1
; COMPUTE_PGM_RSRC2:TGID_Y_EN: 0
; COMPUTE_PGM_RSRC2:TGID_Z_EN: 0
; COMPUTE_PGM_RSRC2:TIDIG_COMP_CNT: 0
	.section	.text._ZN9rocsparseL41csrgemm_numeric_fill_block_per_row_kernelILj256ELj32ELj512ELj137ELj32EllfEEvT5_PKS1_S3_NS_24const_host_device_scalarIT6_EEPKT4_S3_PKS5_S9_S3_SB_S6_S9_S3_SB_S9_S3_PS5_21rocsparse_index_base_SD_SD_SD_bbb,"axG",@progbits,_ZN9rocsparseL41csrgemm_numeric_fill_block_per_row_kernelILj256ELj32ELj512ELj137ELj32EllfEEvT5_PKS1_S3_NS_24const_host_device_scalarIT6_EEPKT4_S3_PKS5_S9_S3_SB_S6_S9_S3_SB_S9_S3_PS5_21rocsparse_index_base_SD_SD_SD_bbb,comdat
	.globl	_ZN9rocsparseL41csrgemm_numeric_fill_block_per_row_kernelILj256ELj32ELj512ELj137ELj32EllfEEvT5_PKS1_S3_NS_24const_host_device_scalarIT6_EEPKT4_S3_PKS5_S9_S3_SB_S6_S9_S3_SB_S9_S3_PS5_21rocsparse_index_base_SD_SD_SD_bbb ; -- Begin function _ZN9rocsparseL41csrgemm_numeric_fill_block_per_row_kernelILj256ELj32ELj512ELj137ELj32EllfEEvT5_PKS1_S3_NS_24const_host_device_scalarIT6_EEPKT4_S3_PKS5_S9_S3_SB_S6_S9_S3_SB_S9_S3_PS5_21rocsparse_index_base_SD_SD_SD_bbb
	.p2align	8
	.type	_ZN9rocsparseL41csrgemm_numeric_fill_block_per_row_kernelILj256ELj32ELj512ELj137ELj32EllfEEvT5_PKS1_S3_NS_24const_host_device_scalarIT6_EEPKT4_S3_PKS5_S9_S3_SB_S6_S9_S3_SB_S9_S3_PS5_21rocsparse_index_base_SD_SD_SD_bbb,@function
_ZN9rocsparseL41csrgemm_numeric_fill_block_per_row_kernelILj256ELj32ELj512ELj137ELj32EllfEEvT5_PKS1_S3_NS_24const_host_device_scalarIT6_EEPKT4_S3_PKS5_S9_S3_SB_S6_S9_S3_SB_S9_S3_PS5_21rocsparse_index_base_SD_SD_SD_bbb: ; @_ZN9rocsparseL41csrgemm_numeric_fill_block_per_row_kernelILj256ELj32ELj512ELj137ELj32EllfEEvT5_PKS1_S3_NS_24const_host_device_scalarIT6_EEPKT4_S3_PKS5_S9_S3_SB_S6_S9_S3_SB_S9_S3_PS5_21rocsparse_index_base_SD_SD_SD_bbb
; %bb.0:
	s_clause 0x2
	s_load_b32 s3, s[0:1], 0x98
	s_load_b64 s[6:7], s[0:1], 0x18
	s_load_b64 s[4:5], s[0:1], 0x50
	s_mov_b32 s2, s15
	s_waitcnt lgkmcnt(0)
	s_bitcmp1_b32 s3, 0
	s_cselect_b32 s38, -1, 0
	s_bitcmp1_b32 s3, 16
	s_cselect_b32 s8, -1, 0
	s_xor_b32 s9, s38, -1
	s_delay_alu instid0(SALU_CYCLE_1) | instskip(NEXT) | instid1(SALU_CYCLE_1)
	s_or_b32 s9, s9, s8
	s_and_b32 vcc_lo, exec_lo, s9
	s_cbranch_vccnz .LBB84_2
; %bb.1:
	s_load_b32 s6, s[6:7], 0x0
	s_waitcnt lgkmcnt(0)
	v_mov_b32_e32 v16, s6
	s_branch .LBB84_3
.LBB84_2:
	v_cndmask_b32_e64 v16, 0, s6, s38
.LBB84_3:
	s_load_b128 s[20:23], s[0:1], 0x88
	s_bitcmp1_b32 s3, 8
	s_cselect_b32 s33, -1, 0
	s_delay_alu instid0(SALU_CYCLE_1) | instskip(NEXT) | instid1(SALU_CYCLE_1)
	s_xor_b32 s3, s33, -1
	s_or_b32 s3, s3, s8
	s_delay_alu instid0(SALU_CYCLE_1)
	s_and_b32 vcc_lo, exec_lo, s3
	s_cbranch_vccnz .LBB84_5
; %bb.4:
	s_load_b32 s3, s[4:5], 0x0
	s_waitcnt lgkmcnt(0)
	v_mov_b32_e32 v14, s3
	s_branch .LBB84_6
.LBB84_5:
	v_cndmask_b32_e64 v14, 0, s4, s33
.LBB84_6:
	s_clause 0x5
	s_load_b64 s[34:35], s[0:1], 0x80
	s_load_b256 s[4:11], s[0:1], 0x58
	s_load_b128 s[28:31], s[0:1], 0x40
	s_load_b128 s[24:27], s[0:1], 0x0
	s_load_b64 s[36:37], s[0:1], 0x10
	s_load_b256 s[12:19], s[0:1], 0x20
	v_cmp_gt_u32_e64 s0, 0x200, v0
	v_lshlrev_b32_e32 v13, 2, v0
	v_or_b32_e32 v11, 0xffffff00, v0
	v_lshl_add_u32 v12, v0, 3, 0
	s_delay_alu instid0(VALU_DEP_4)
	s_and_saveexec_b32 s1, s0
	s_cbranch_execz .LBB84_9
; %bb.7:
	v_add3_u32 v3, v13, 0, 0x1000
	v_or_b32_e32 v4, 0xffffff00, v0
	v_lshl_add_u32 v5, v0, 3, 0
	s_waitcnt lgkmcnt(0)
	v_dual_mov_b32 v1, s24 :: v_dual_mov_b32 v2, s25
	v_mov_b32_e32 v6, 0
	s_mov_b32 s3, 0
.LBB84_8:                               ; =>This Inner Loop Header: Depth=1
	v_add_co_u32 v4, s39, 0x100, v4
	s_delay_alu instid0(VALU_DEP_1)
	s_xor_b32 s39, s39, -1
	ds_store_b64 v5, v[1:2]
	ds_store_b32 v3, v6
	v_add_nc_u32_e32 v3, 0x400, v3
	v_add_nc_u32_e32 v5, 0x800, v5
	s_and_b32 s39, exec_lo, s39
	s_delay_alu instid0(SALU_CYCLE_1) | instskip(NEXT) | instid1(SALU_CYCLE_1)
	s_or_b32 s3, s39, s3
	s_and_not1_b32 exec_lo, exec_lo, s3
	s_cbranch_execnz .LBB84_8
.LBB84_9:
	s_or_b32 exec_lo, exec_lo, s1
	s_waitcnt lgkmcnt(0)
	s_barrier
	buffer_gl0_inv
	s_load_b64 s[26:27], s[26:27], 0x0
	s_mov_b32 s3, 0
	v_lshrrev_b32_e32 v15, 5, v0
	s_waitcnt lgkmcnt(0)
	s_lshl_b64 s[26:27], s[26:27], 3
	s_delay_alu instid0(SALU_CYCLE_1) | instskip(SKIP_2) | instid1(SALU_CYCLE_1)
	s_add_u32 s1, s36, s26
	s_addc_u32 s26, s37, s27
	s_lshl_b64 s[2:3], s[2:3], 3
	s_add_u32 s2, s1, s2
	s_addc_u32 s3, s26, s3
	s_and_b32 vcc_lo, exec_lo, s38
	s_load_b64 s[26:27], s[2:3], 0x0
	s_cbranch_vccz .LBB84_29
; %bb.10:
	s_waitcnt lgkmcnt(0)
	s_lshl_b64 s[2:3], s[26:27], 3
	v_sub_co_u32 v1, s1, v15, s20
	s_add_u32 s2, s12, s2
	s_addc_u32 s3, s13, s3
	v_sub_co_ci_u32_e64 v2, null, 0, 0, s1
	s_load_b128 s[36:39], s[2:3], 0x0
	s_mov_b32 s1, exec_lo
	s_waitcnt lgkmcnt(0)
	v_add_co_u32 v1, vcc_lo, s36, v1
	v_add_co_ci_u32_e32 v2, vcc_lo, s37, v2, vcc_lo
	s_sub_u32 s2, s38, s20
	s_subb_u32 s3, s39, 0
	s_delay_alu instid0(VALU_DEP_1) | instid1(SALU_CYCLE_1)
	v_cmpx_gt_i64_e64 s[2:3], v[1:2]
	s_cbranch_execz .LBB84_28
; %bb.11:
	v_and_b32_e32 v3, 31, v0
	s_mov_b32 s13, s21
	s_delay_alu instid0(VALU_DEP_1) | instskip(NEXT) | instid1(VALU_DEP_1)
	v_sub_co_u32 v17, s12, v3, s21
	v_sub_co_ci_u32_e64 v18, null, 0, 0, s12
	s_mov_b32 s12, 0
	s_branch .LBB84_13
.LBB84_12:                              ;   in Loop: Header=BB84_13 Depth=1
	s_or_b32 exec_lo, exec_lo, s21
	v_add_co_u32 v1, vcc_lo, v1, 8
	v_add_co_ci_u32_e32 v2, vcc_lo, 0, v2, vcc_lo
	s_delay_alu instid0(VALU_DEP_1) | instskip(SKIP_1) | instid1(SALU_CYCLE_1)
	v_cmp_le_i64_e32 vcc_lo, s[2:3], v[1:2]
	s_or_b32 s12, vcc_lo, s12
	s_and_not1_b32 exec_lo, exec_lo, s12
	s_cbranch_execz .LBB84_28
.LBB84_13:                              ; =>This Loop Header: Depth=1
                                        ;     Child Loop BB84_16 Depth 2
                                        ;       Child Loop BB84_18 Depth 3
	v_lshlrev_b64 v[3:4], 3, v[1:2]
	s_mov_b32 s21, exec_lo
	s_delay_alu instid0(VALU_DEP_1) | instskip(NEXT) | instid1(VALU_DEP_2)
	v_add_co_u32 v3, vcc_lo, s14, v3
	v_add_co_ci_u32_e32 v4, vcc_lo, s15, v4, vcc_lo
	global_load_b64 v[3:4], v[3:4], off
	s_waitcnt vmcnt(0)
	v_sub_co_u32 v3, vcc_lo, v3, s20
	v_subrev_co_ci_u32_e32 v4, vcc_lo, 0, v4, vcc_lo
	s_delay_alu instid0(VALU_DEP_1) | instskip(NEXT) | instid1(VALU_DEP_1)
	v_lshlrev_b64 v[3:4], 3, v[3:4]
	v_add_co_u32 v3, vcc_lo, s18, v3
	s_delay_alu instid0(VALU_DEP_2)
	v_add_co_ci_u32_e32 v4, vcc_lo, s19, v4, vcc_lo
	global_load_b128 v[5:8], v[3:4], off
	s_waitcnt vmcnt(0)
	v_sub_co_u32 v3, vcc_lo, v7, s13
	v_subrev_co_ci_u32_e32 v4, vcc_lo, 0, v8, vcc_lo
	v_add_co_u32 v5, vcc_lo, v5, v17
	v_add_co_ci_u32_e32 v6, vcc_lo, v6, v18, vcc_lo
	s_delay_alu instid0(VALU_DEP_1)
	v_cmpx_lt_i64_e64 v[5:6], v[3:4]
	s_cbranch_execz .LBB84_12
; %bb.14:                               ;   in Loop: Header=BB84_13 Depth=1
	v_lshlrev_b64 v[7:8], 2, v[1:2]
	s_mov_b32 s36, 0
	s_delay_alu instid0(VALU_DEP_1) | instskip(NEXT) | instid1(VALU_DEP_2)
	v_add_co_u32 v7, vcc_lo, s16, v7
	v_add_co_ci_u32_e32 v8, vcc_lo, s17, v8, vcc_lo
	global_load_b32 v7, v[7:8], off
	s_waitcnt vmcnt(0)
	v_mul_f32_e32 v19, v16, v7
	s_branch .LBB84_16
.LBB84_15:                              ;   in Loop: Header=BB84_16 Depth=2
	s_or_b32 exec_lo, exec_lo, s37
	v_add_co_u32 v5, vcc_lo, v5, 32
	v_add_co_ci_u32_e32 v6, vcc_lo, 0, v6, vcc_lo
	s_delay_alu instid0(VALU_DEP_1) | instskip(SKIP_1) | instid1(SALU_CYCLE_1)
	v_cmp_ge_i64_e32 vcc_lo, v[5:6], v[3:4]
	s_or_b32 s36, vcc_lo, s36
	s_and_not1_b32 exec_lo, exec_lo, s36
	s_cbranch_execz .LBB84_12
.LBB84_16:                              ;   Parent Loop BB84_13 Depth=1
                                        ; =>  This Loop Header: Depth=2
                                        ;       Child Loop BB84_18 Depth 3
	v_lshlrev_b64 v[7:8], 3, v[5:6]
	v_lshlrev_b64 v[9:10], 2, v[5:6]
	s_mov_b32 s37, 0
	s_delay_alu instid0(VALU_DEP_2) | instskip(NEXT) | instid1(VALU_DEP_3)
	v_add_co_u32 v7, vcc_lo, s28, v7
	v_add_co_ci_u32_e32 v8, vcc_lo, s29, v8, vcc_lo
	s_delay_alu instid0(VALU_DEP_3) | instskip(NEXT) | instid1(VALU_DEP_4)
	v_add_co_u32 v9, vcc_lo, s30, v9
	v_add_co_ci_u32_e32 v10, vcc_lo, s31, v10, vcc_lo
	global_load_b64 v[7:8], v[7:8], off
	global_load_b32 v9, v[9:10], off
	s_waitcnt vmcnt(1)
	v_sub_co_u32 v7, vcc_lo, v7, s13
	v_subrev_co_ci_u32_e32 v8, vcc_lo, 0, v8, vcc_lo
	s_delay_alu instid0(VALU_DEP_2) | instskip(SKIP_1) | instid1(VALU_DEP_1)
	v_mul_lo_u32 v10, 0x89, v7
	s_waitcnt vmcnt(0)
	v_dual_mul_f32 v20, v19, v9 :: v_dual_and_b32 v21, 0x1ff, v10
	s_branch .LBB84_18
.LBB84_17:                              ;   in Loop: Header=BB84_18 Depth=3
	s_or_b32 exec_lo, exec_lo, s38
	s_xor_b32 s38, s39, -1
	s_delay_alu instid0(SALU_CYCLE_1) | instskip(NEXT) | instid1(SALU_CYCLE_1)
	s_and_b32 s38, exec_lo, s38
	s_or_b32 s37, s38, s37
	s_delay_alu instid0(SALU_CYCLE_1)
	s_and_not1_b32 exec_lo, exec_lo, s37
	s_cbranch_execz .LBB84_15
.LBB84_18:                              ;   Parent Loop BB84_13 Depth=1
                                        ;     Parent Loop BB84_16 Depth=2
                                        ; =>    This Inner Loop Header: Depth=3
	s_delay_alu instid0(VALU_DEP_1)
	v_lshl_add_u32 v22, v21, 3, 0
	s_mov_b32 s38, exec_lo
                                        ; implicit-def: $sgpr39
	ds_load_b64 v[9:10], v22
	s_waitcnt lgkmcnt(0)
	v_cmpx_ne_u64_e64 v[9:10], v[7:8]
	s_xor_b32 s38, exec_lo, s38
	s_cbranch_execz .LBB84_26
; %bb.19:                               ;   in Loop: Header=BB84_18 Depth=3
	s_mov_b32 s40, exec_lo
                                        ; implicit-def: $sgpr39
	v_cmpx_ne_u64_e64 s[24:25], v[9:10]
	s_xor_b32 s40, exec_lo, s40
; %bb.20:                               ;   in Loop: Header=BB84_18 Depth=3
	v_add_nc_u32_e32 v9, 1, v21
	s_mov_b32 s39, -1
                                        ; implicit-def: $vgpr22
	s_delay_alu instid0(VALU_DEP_1)
	v_and_b32_e32 v21, 0x1ff, v9
; %bb.21:                               ;   in Loop: Header=BB84_18 Depth=3
	s_and_not1_saveexec_b32 s40, s40
	s_cbranch_execz .LBB84_25
; %bb.22:                               ;   in Loop: Header=BB84_18 Depth=3
	v_dual_mov_b32 v9, s24 :: v_dual_mov_b32 v10, s25
	s_mov_b32 s41, -1
	s_mov_b32 s42, exec_lo
	ds_cmpstore_rtn_b64 v[9:10], v22, v[7:8], v[9:10]
	s_waitcnt lgkmcnt(0)
	v_cmpx_eq_u64_e64 s[24:25], v[9:10]
	s_cbranch_execz .LBB84_24
; %bb.23:                               ;   in Loop: Header=BB84_18 Depth=3
	v_lshlrev_b32_e32 v9, 2, v21
	s_xor_b32 s41, exec_lo, -1
	s_delay_alu instid0(VALU_DEP_1)
	v_sub_nc_u32_e32 v9, v22, v9
	ds_add_f32 v9, v20 offset:4096
.LBB84_24:                              ;   in Loop: Header=BB84_18 Depth=3
	s_or_b32 exec_lo, exec_lo, s42
	s_delay_alu instid0(SALU_CYCLE_1) | instskip(SKIP_1) | instid1(SALU_CYCLE_1)
	s_and_not1_b32 s39, s39, exec_lo
	s_and_b32 s41, s41, exec_lo
	s_or_b32 s39, s39, s41
.LBB84_25:                              ;   in Loop: Header=BB84_18 Depth=3
	s_or_b32 exec_lo, exec_lo, s40
	s_delay_alu instid0(SALU_CYCLE_1)
	s_and_b32 s39, s39, exec_lo
                                        ; implicit-def: $vgpr22
.LBB84_26:                              ;   in Loop: Header=BB84_18 Depth=3
	s_and_not1_saveexec_b32 s38, s38
	s_cbranch_execz .LBB84_17
; %bb.27:                               ;   in Loop: Header=BB84_18 Depth=3
	v_lshlrev_b32_e32 v9, 2, v21
	s_and_not1_b32 s39, s39, exec_lo
	s_delay_alu instid0(VALU_DEP_1)
	v_sub_nc_u32_e32 v9, v22, v9
	ds_add_f32 v9, v20 offset:4096
	s_branch .LBB84_17
.LBB84_28:
	s_or_b32 exec_lo, exec_lo, s1
.LBB84_29:
	s_delay_alu instid0(SALU_CYCLE_1)
	s_and_not1_b32 vcc_lo, exec_lo, s33
	s_cbranch_vccnz .LBB84_46
; %bb.30:
	s_waitcnt lgkmcnt(0)
	s_lshl_b64 s[2:3], s[26:27], 3
	v_sub_co_u32 v1, s1, v0, s23
	s_add_u32 s2, s4, s2
	s_addc_u32 s3, s5, s3
	v_sub_co_ci_u32_e64 v2, null, 0, 0, s1
	s_load_b128 s[12:15], s[2:3], 0x0
	s_mov_b32 s1, 0
	s_mov_b32 s4, exec_lo
	s_waitcnt lgkmcnt(0)
	v_add_co_u32 v1, vcc_lo, s12, v1
	v_add_co_ci_u32_e32 v2, vcc_lo, s13, v2, vcc_lo
	s_sub_u32 s2, s14, s23
	s_subb_u32 s3, s15, 0
	s_delay_alu instid0(VALU_DEP_1) | instid1(SALU_CYCLE_1)
	v_cmpx_gt_i64_e64 s[2:3], v[1:2]
	s_cbranch_execz .LBB84_45
; %bb.31:
	s_mov_b32 s5, s23
	s_branch .LBB84_33
.LBB84_32:                              ;   in Loop: Header=BB84_33 Depth=1
	s_or_b32 exec_lo, exec_lo, s12
	v_add_co_u32 v1, vcc_lo, 0x100, v1
	v_add_co_ci_u32_e32 v2, vcc_lo, 0, v2, vcc_lo
	s_delay_alu instid0(VALU_DEP_1) | instskip(SKIP_1) | instid1(SALU_CYCLE_1)
	v_cmp_le_i64_e32 vcc_lo, s[2:3], v[1:2]
	s_or_b32 s1, vcc_lo, s1
	s_and_not1_b32 exec_lo, exec_lo, s1
	s_cbranch_execz .LBB84_45
.LBB84_33:                              ; =>This Loop Header: Depth=1
                                        ;     Child Loop BB84_35 Depth 2
	v_lshlrev_b64 v[3:4], 3, v[1:2]
	v_lshlrev_b64 v[5:6], 2, v[1:2]
	s_mov_b32 s12, 0
	s_delay_alu instid0(VALU_DEP_2) | instskip(NEXT) | instid1(VALU_DEP_3)
	v_add_co_u32 v3, vcc_lo, s6, v3
	v_add_co_ci_u32_e32 v4, vcc_lo, s7, v4, vcc_lo
	s_delay_alu instid0(VALU_DEP_3) | instskip(NEXT) | instid1(VALU_DEP_4)
	v_add_co_u32 v5, vcc_lo, s8, v5
	v_add_co_ci_u32_e32 v6, vcc_lo, s9, v6, vcc_lo
	global_load_b64 v[3:4], v[3:4], off
	global_load_b32 v5, v[5:6], off
	s_waitcnt vmcnt(1)
	v_sub_co_u32 v3, vcc_lo, v3, s5
	v_subrev_co_ci_u32_e32 v4, vcc_lo, 0, v4, vcc_lo
	s_delay_alu instid0(VALU_DEP_2) | instskip(SKIP_1) | instid1(VALU_DEP_1)
	v_mul_lo_u32 v6, 0x89, v3
	s_waitcnt vmcnt(0)
	v_dual_mul_f32 v7, v14, v5 :: v_dual_and_b32 v8, 0x1ff, v6
	s_branch .LBB84_35
.LBB84_34:                              ;   in Loop: Header=BB84_35 Depth=2
	s_or_b32 exec_lo, exec_lo, s13
	s_xor_b32 s13, s14, -1
	s_delay_alu instid0(SALU_CYCLE_1) | instskip(NEXT) | instid1(SALU_CYCLE_1)
	s_and_b32 s13, exec_lo, s13
	s_or_b32 s12, s13, s12
	s_delay_alu instid0(SALU_CYCLE_1)
	s_and_not1_b32 exec_lo, exec_lo, s12
	s_cbranch_execz .LBB84_32
.LBB84_35:                              ;   Parent Loop BB84_33 Depth=1
                                        ; =>  This Inner Loop Header: Depth=2
	s_delay_alu instid0(VALU_DEP_1)
	v_lshl_add_u32 v9, v8, 3, 0
	s_mov_b32 s13, exec_lo
                                        ; implicit-def: $sgpr14
	ds_load_b64 v[5:6], v9
	s_waitcnt lgkmcnt(0)
	v_cmpx_ne_u64_e64 v[5:6], v[3:4]
	s_xor_b32 s13, exec_lo, s13
	s_cbranch_execz .LBB84_43
; %bb.36:                               ;   in Loop: Header=BB84_35 Depth=2
	s_mov_b32 s15, exec_lo
                                        ; implicit-def: $sgpr14
	v_cmpx_ne_u64_e64 s[24:25], v[5:6]
	s_xor_b32 s15, exec_lo, s15
; %bb.37:                               ;   in Loop: Header=BB84_35 Depth=2
	v_add_nc_u32_e32 v5, 1, v8
	s_mov_b32 s14, -1
                                        ; implicit-def: $vgpr9
	s_delay_alu instid0(VALU_DEP_1)
	v_and_b32_e32 v8, 0x1ff, v5
; %bb.38:                               ;   in Loop: Header=BB84_35 Depth=2
	s_and_not1_saveexec_b32 s15, s15
	s_cbranch_execz .LBB84_42
; %bb.39:                               ;   in Loop: Header=BB84_35 Depth=2
	v_dual_mov_b32 v5, s24 :: v_dual_mov_b32 v6, s25
	s_mov_b32 s16, -1
	s_mov_b32 s17, exec_lo
	ds_cmpstore_rtn_b64 v[5:6], v9, v[3:4], v[5:6]
	s_waitcnt lgkmcnt(0)
	v_cmpx_eq_u64_e64 s[24:25], v[5:6]
	s_cbranch_execz .LBB84_41
; %bb.40:                               ;   in Loop: Header=BB84_35 Depth=2
	v_lshlrev_b32_e32 v5, 2, v8
	s_xor_b32 s16, exec_lo, -1
	s_delay_alu instid0(VALU_DEP_1)
	v_sub_nc_u32_e32 v5, v9, v5
	ds_add_f32 v5, v7 offset:4096
.LBB84_41:                              ;   in Loop: Header=BB84_35 Depth=2
	s_or_b32 exec_lo, exec_lo, s17
	s_delay_alu instid0(SALU_CYCLE_1) | instskip(SKIP_1) | instid1(SALU_CYCLE_1)
	s_and_not1_b32 s14, s14, exec_lo
	s_and_b32 s16, s16, exec_lo
	s_or_b32 s14, s14, s16
.LBB84_42:                              ;   in Loop: Header=BB84_35 Depth=2
	s_or_b32 exec_lo, exec_lo, s15
	s_delay_alu instid0(SALU_CYCLE_1)
	s_and_b32 s14, s14, exec_lo
                                        ; implicit-def: $vgpr9
.LBB84_43:                              ;   in Loop: Header=BB84_35 Depth=2
	s_and_not1_saveexec_b32 s13, s13
	s_cbranch_execz .LBB84_34
; %bb.44:                               ;   in Loop: Header=BB84_35 Depth=2
	v_lshlrev_b32_e32 v5, 2, v8
	s_and_not1_b32 s14, s14, exec_lo
	s_delay_alu instid0(VALU_DEP_1)
	v_sub_nc_u32_e32 v5, v9, v5
	ds_add_f32 v5, v7 offset:4096
	s_branch .LBB84_34
.LBB84_45:
	s_or_b32 exec_lo, exec_lo, s4
.LBB84_46:
	s_waitcnt lgkmcnt(0)
	s_barrier
	buffer_gl0_inv
	s_and_saveexec_b32 s8, s0
	s_cbranch_execz .LBB84_67
; %bb.47:
	v_mbcnt_lo_u32_b32 v1, -1, 0
	v_lshl_add_u32 v10, v15, 3, 0
	v_cmp_eq_u32_e32 vcc_lo, 0xff, v0
	v_cmp_lt_u32_e64 s0, 31, v0
	v_cmp_lt_u32_e64 s1, 63, v0
	v_xor_b32_e32 v1, 63, v1
	v_cmp_lt_u32_e64 s2, 0x5f, v0
	v_cmp_lt_u32_e64 s3, 0x7f, v0
	v_cmp_lt_u32_e64 s4, 0x9f, v0
	v_cmp_lt_u32_e64 s5, 0xbf, v0
	v_lshrrev_b64 v[1:2], v1, -1
	v_dual_mov_b32 v2, 0 :: v_dual_mov_b32 v5, 0
	v_cmp_lt_u32_e64 s6, 0xdf, v0
	v_add3_u32 v13, v13, 0, 0x1000
	v_mov_b32_e32 v3, 0
	s_mov_b32 s9, 0
	s_branch .LBB84_49
.LBB84_48:                              ;   in Loop: Header=BB84_49 Depth=1
	s_or_b32 exec_lo, exec_lo, s7
	s_waitcnt lgkmcnt(0)
	s_barrier
	buffer_gl0_inv
	ds_load_b64 v[6:7], v5 offset:6200
	v_add_co_u32 v11, s7, 0x100, v11
	s_delay_alu instid0(VALU_DEP_1) | instskip(SKIP_4) | instid1(VALU_DEP_1)
	s_xor_b32 s12, s7, -1
	v_add_nc_u32_e32 v13, 0x400, v13
	v_add_nc_u32_e32 v12, 0x800, v12
	s_waitcnt lgkmcnt(0)
	v_add_co_u32 v2, s7, v6, v2
	v_add_co_ci_u32_e64 v3, s7, v7, v3, s7
	s_and_b32 s7, exec_lo, s12
	s_delay_alu instid0(SALU_CYCLE_1) | instskip(NEXT) | instid1(SALU_CYCLE_1)
	s_or_b32 s9, s7, s9
	s_and_not1_b32 exec_lo, exec_lo, s9
	s_cbranch_execz .LBB84_67
.LBB84_49:                              ; =>This Inner Loop Header: Depth=1
	ds_load_b64 v[6:7], v12
	ds_load_b32 v14, v13
	s_waitcnt lgkmcnt(0)
	s_barrier
	buffer_gl0_inv
	v_cmp_gt_i64_e64 s7, s[24:25], v[6:7]
	s_delay_alu instid0(VALU_DEP_1) | instskip(SKIP_1) | instid1(SALU_CYCLE_1)
	v_and_b32_e32 v8, s7, v1
	s_bcnt1_i32_b32 s12, s7
	v_mov_b32_e32 v4, s12
	s_delay_alu instid0(VALU_DEP_2)
	v_bcnt_u32_b32 v8, v8, 0
	ds_store_b64 v10, v[4:5] offset:6144
	s_waitcnt lgkmcnt(0)
	s_barrier
	buffer_gl0_inv
	s_and_saveexec_b32 s12, s0
	s_cbranch_execnz .LBB84_58
; %bb.50:                               ;   in Loop: Header=BB84_49 Depth=1
	s_or_b32 exec_lo, exec_lo, s12
	s_and_saveexec_b32 s12, s1
	s_cbranch_execnz .LBB84_59
.LBB84_51:                              ;   in Loop: Header=BB84_49 Depth=1
	s_or_b32 exec_lo, exec_lo, s12
	s_and_saveexec_b32 s12, s2
	s_cbranch_execnz .LBB84_60
.LBB84_52:                              ;   in Loop: Header=BB84_49 Depth=1
	s_or_b32 exec_lo, exec_lo, s12
	s_and_saveexec_b32 s12, s3
	s_cbranch_execnz .LBB84_61
.LBB84_53:                              ;   in Loop: Header=BB84_49 Depth=1
	s_or_b32 exec_lo, exec_lo, s12
	s_and_saveexec_b32 s12, s4
	s_cbranch_execnz .LBB84_62
.LBB84_54:                              ;   in Loop: Header=BB84_49 Depth=1
	s_or_b32 exec_lo, exec_lo, s12
	s_and_saveexec_b32 s12, s5
	s_cbranch_execnz .LBB84_63
.LBB84_55:                              ;   in Loop: Header=BB84_49 Depth=1
	s_or_b32 exec_lo, exec_lo, s12
	s_and_saveexec_b32 s12, s6
	s_cbranch_execnz .LBB84_64
.LBB84_56:                              ;   in Loop: Header=BB84_49 Depth=1
	s_or_b32 exec_lo, exec_lo, s12
	v_ashrrev_i32_e32 v9, 31, v8
	s_and_saveexec_b32 s12, s7
	s_cbranch_execnz .LBB84_65
.LBB84_57:                              ;   in Loop: Header=BB84_49 Depth=1
	s_or_b32 exec_lo, exec_lo, s12
	s_and_saveexec_b32 s7, vcc_lo
	s_cbranch_execz .LBB84_48
	s_branch .LBB84_66
.LBB84_58:                              ;   in Loop: Header=BB84_49 Depth=1
	ds_load_b32 v4, v5 offset:6144
	s_waitcnt lgkmcnt(0)
	v_add_nc_u32_e32 v8, v4, v8
	s_or_b32 exec_lo, exec_lo, s12
	s_and_saveexec_b32 s12, s1
	s_cbranch_execz .LBB84_51
.LBB84_59:                              ;   in Loop: Header=BB84_49 Depth=1
	ds_load_b32 v4, v5 offset:6152
	s_waitcnt lgkmcnt(0)
	v_add_nc_u32_e32 v8, v8, v4
	s_or_b32 exec_lo, exec_lo, s12
	s_and_saveexec_b32 s12, s2
	s_cbranch_execz .LBB84_52
.LBB84_60:                              ;   in Loop: Header=BB84_49 Depth=1
	ds_load_b32 v4, v5 offset:6160
	s_waitcnt lgkmcnt(0)
	v_add_nc_u32_e32 v8, v8, v4
	s_or_b32 exec_lo, exec_lo, s12
	s_and_saveexec_b32 s12, s3
	s_cbranch_execz .LBB84_53
.LBB84_61:                              ;   in Loop: Header=BB84_49 Depth=1
	ds_load_b32 v4, v5 offset:6168
	s_waitcnt lgkmcnt(0)
	v_add_nc_u32_e32 v8, v8, v4
	s_or_b32 exec_lo, exec_lo, s12
	s_and_saveexec_b32 s12, s4
	s_cbranch_execz .LBB84_54
.LBB84_62:                              ;   in Loop: Header=BB84_49 Depth=1
	ds_load_b32 v4, v5 offset:6176
	s_waitcnt lgkmcnt(0)
	v_add_nc_u32_e32 v8, v8, v4
	s_or_b32 exec_lo, exec_lo, s12
	s_and_saveexec_b32 s12, s5
	s_cbranch_execz .LBB84_55
.LBB84_63:                              ;   in Loop: Header=BB84_49 Depth=1
	ds_load_b32 v4, v5 offset:6184
	s_waitcnt lgkmcnt(0)
	v_add_nc_u32_e32 v8, v8, v4
	s_or_b32 exec_lo, exec_lo, s12
	s_and_saveexec_b32 s12, s6
	s_cbranch_execz .LBB84_56
.LBB84_64:                              ;   in Loop: Header=BB84_49 Depth=1
	ds_load_b32 v4, v5 offset:6192
	s_waitcnt lgkmcnt(0)
	v_add_nc_u32_e32 v8, v8, v4
	s_or_b32 exec_lo, exec_lo, s12
	s_delay_alu instid0(VALU_DEP_1)
	v_ashrrev_i32_e32 v9, 31, v8
	s_and_saveexec_b32 s12, s7
	s_cbranch_execz .LBB84_57
.LBB84_65:                              ;   in Loop: Header=BB84_49 Depth=1
	v_add3_u32 v4, v2, -1, v8
	s_delay_alu instid0(VALU_DEP_1)
	v_lshl_add_u32 v15, v4, 3, 0
	v_lshl_add_u32 v4, v4, 2, 0
	ds_store_b64 v15, v[6:7]
	ds_store_b32 v4, v14 offset:4096
	s_or_b32 exec_lo, exec_lo, s12
	s_and_saveexec_b32 s7, vcc_lo
	s_cbranch_execz .LBB84_48
.LBB84_66:                              ;   in Loop: Header=BB84_49 Depth=1
	ds_store_b64 v5, v[8:9] offset:6200
	s_branch .LBB84_48
.LBB84_67:
	s_or_b32 exec_lo, exec_lo, s8
	s_lshl_b64 s[0:1], s[26:27], 3
	v_mov_b32_e32 v1, 0
	s_add_u32 s0, s10, s0
	s_addc_u32 s1, s11, s1
	s_mov_b32 s6, exec_lo
	s_load_b128 s[0:3], s[0:1], 0x0
	s_waitcnt lgkmcnt(0)
	s_sub_u32 s4, s2, s0
	s_subb_u32 s5, s3, s1
	s_delay_alu instid0(SALU_CYCLE_1)
	v_cmpx_gt_i64_e64 s[4:5], v[0:1]
	s_cbranch_execz .LBB84_77
; %bb.68:
	s_sub_u32 s8, s0, s22
	s_subb_u32 s9, s1, 0
	s_and_b32 s6, s4, 7
	s_sub_u32 s0, s0, s2
	s_subb_u32 s1, s1, s3
	s_mov_b32 s7, 0
	v_cmp_lt_u64_e64 s12, s[0:1], -7
	s_and_b32 s2, s4, -8
	s_cmp_lg_u64 s[6:7], 0
	s_mov_b32 s3, s5
	s_cselect_b32 s13, -1, 0
	s_mov_b32 s14, s7
	s_branch .LBB84_70
.LBB84_69:                              ;   in Loop: Header=BB84_70 Depth=1
	v_add_co_u32 v0, vcc_lo, 0x100, v0
	v_add_co_ci_u32_e32 v1, vcc_lo, 0, v1, vcc_lo
	s_waitcnt lgkmcnt(1)
	v_lshlrev_b64 v[2:3], 2, v[4:5]
	s_delay_alu instid0(VALU_DEP_2) | instskip(NEXT) | instid1(VALU_DEP_2)
	v_cmp_le_i64_e32 vcc_lo, s[4:5], v[0:1]
	v_add_co_u32 v2, s0, s34, v2
	s_delay_alu instid0(VALU_DEP_1)
	v_add_co_ci_u32_e64 v3, s0, s35, v3, s0
	s_or_b32 s14, vcc_lo, s14
	s_waitcnt lgkmcnt(0)
	global_store_b32 v[2:3], v6, off
	s_and_not1_b32 exec_lo, exec_lo, s14
	s_cbranch_execz .LBB84_77
.LBB84_70:                              ; =>This Loop Header: Depth=1
                                        ;     Child Loop BB84_72 Depth 2
                                        ;     Child Loop BB84_76 Depth 2
	v_lshl_add_u32 v2, v0, 3, 0
	v_lshlrev_b32_e32 v3, 2, v0
	s_and_not1_b32 vcc_lo, exec_lo, s12
	s_mov_b64 s[0:1], 0
	s_delay_alu instid0(VALU_DEP_1)
	v_sub_nc_u32_e32 v4, v2, v3
	ds_load_b64 v[2:3], v2
	ds_load_b32 v6, v4 offset:4096
	v_dual_mov_b32 v4, s8 :: v_dual_mov_b32 v5, s9
	s_cbranch_vccnz .LBB84_74
; %bb.71:                               ;   in Loop: Header=BB84_70 Depth=1
	v_dual_mov_b32 v4, s8 :: v_dual_mov_b32 v5, s9
	s_mov_b64 s[10:11], 0
	s_mov_b32 s1, 0
.LBB84_72:                              ;   Parent Loop BB84_70 Depth=1
                                        ; =>  This Inner Loop Header: Depth=2
	s_delay_alu instid0(SALU_CYCLE_1)
	v_mov_b32_e32 v19, s1
	s_add_u32 s10, s10, 8
	s_addc_u32 s11, s11, 0
	s_add_i32 s1, s1, 64
	s_cmp_eq_u64 s[2:3], s[10:11]
	ds_load_2addr_b64 v[7:10], v19 offset1:1
	ds_load_2addr_b64 v[11:14], v19 offset0:2 offset1:3
	ds_load_2addr_b64 v[15:18], v19 offset0:4 offset1:5
	ds_load_2addr_b64 v[19:22], v19 offset0:6 offset1:7
	s_waitcnt lgkmcnt(3)
	v_cmp_gt_i64_e32 vcc_lo, v[2:3], v[7:8]
	v_cndmask_b32_e64 v7, 0, 1, vcc_lo
	v_cmp_gt_i64_e32 vcc_lo, v[2:3], v[9:10]
	v_cndmask_b32_e64 v8, 0, 1, vcc_lo
	s_waitcnt lgkmcnt(2)
	v_cmp_gt_i64_e32 vcc_lo, v[2:3], v[11:12]
	v_cndmask_b32_e64 v9, 0, 1, vcc_lo
	v_cmp_gt_i64_e32 vcc_lo, v[2:3], v[13:14]
	v_cndmask_b32_e64 v10, 0, 1, vcc_lo
	s_waitcnt lgkmcnt(1)
	v_cmp_gt_i64_e32 vcc_lo, v[2:3], v[15:16]
	v_cndmask_b32_e64 v11, 0, 1, vcc_lo
	v_add_co_u32 v4, vcc_lo, v4, v7
	v_add_co_ci_u32_e32 v5, vcc_lo, 0, v5, vcc_lo
	v_cmp_gt_i64_e32 vcc_lo, v[2:3], v[17:18]
	s_delay_alu instid0(VALU_DEP_3) | instskip(NEXT) | instid1(VALU_DEP_1)
	v_add_co_u32 v4, s0, v4, v8
	v_add_co_ci_u32_e64 v5, s0, 0, v5, s0
	v_cndmask_b32_e64 v7, 0, 1, vcc_lo
	s_delay_alu instid0(VALU_DEP_3) | instskip(NEXT) | instid1(VALU_DEP_3)
	v_add_co_u32 v4, vcc_lo, v4, v9
	v_add_co_ci_u32_e32 v5, vcc_lo, 0, v5, vcc_lo
	s_waitcnt lgkmcnt(0)
	v_cmp_gt_i64_e32 vcc_lo, v[2:3], v[19:20]
	s_delay_alu instid0(VALU_DEP_3) | instskip(NEXT) | instid1(VALU_DEP_1)
	v_add_co_u32 v4, s0, v4, v10
	v_add_co_ci_u32_e64 v5, s0, 0, v5, s0
	v_cndmask_b32_e64 v8, 0, 1, vcc_lo
	s_delay_alu instid0(VALU_DEP_3) | instskip(NEXT) | instid1(VALU_DEP_3)
	v_add_co_u32 v4, vcc_lo, v4, v11
	v_add_co_ci_u32_e32 v5, vcc_lo, 0, v5, vcc_lo
	v_cmp_gt_i64_e32 vcc_lo, v[2:3], v[21:22]
	s_delay_alu instid0(VALU_DEP_3) | instskip(NEXT) | instid1(VALU_DEP_1)
	v_add_co_u32 v4, s0, v4, v7
	v_add_co_ci_u32_e64 v5, s0, 0, v5, s0
	v_cndmask_b32_e64 v7, 0, 1, vcc_lo
	s_delay_alu instid0(VALU_DEP_3) | instskip(NEXT) | instid1(VALU_DEP_3)
	v_add_co_u32 v4, vcc_lo, v4, v8
	v_add_co_ci_u32_e32 v5, vcc_lo, 0, v5, vcc_lo
	s_delay_alu instid0(VALU_DEP_2) | instskip(NEXT) | instid1(VALU_DEP_2)
	v_add_co_u32 v4, vcc_lo, v4, v7
	v_add_co_ci_u32_e32 v5, vcc_lo, 0, v5, vcc_lo
	s_cbranch_scc0 .LBB84_72
; %bb.73:                               ;   in Loop: Header=BB84_70 Depth=1
	s_mov_b64 s[0:1], s[2:3]
.LBB84_74:                              ;   in Loop: Header=BB84_70 Depth=1
	s_and_not1_b32 vcc_lo, exec_lo, s13
	s_cbranch_vccnz .LBB84_69
; %bb.75:                               ;   in Loop: Header=BB84_70 Depth=1
	s_lshl_b32 s0, s0, 3
	s_delay_alu instid0(SALU_CYCLE_1)
	s_add_i32 s10, s0, 0
	s_mov_b64 s[0:1], s[6:7]
.LBB84_76:                              ;   Parent Loop BB84_70 Depth=1
                                        ; =>  This Inner Loop Header: Depth=2
	v_mov_b32_e32 v7, s10
	s_add_i32 s10, s10, 8
	s_add_u32 s0, s0, -1
	s_addc_u32 s1, s1, -1
	s_delay_alu instid0(SALU_CYCLE_1) | instskip(SKIP_4) | instid1(VALU_DEP_1)
	s_cmp_lg_u64 s[0:1], 0
	ds_load_b64 v[7:8], v7
	s_waitcnt lgkmcnt(0)
	v_cmp_gt_i64_e32 vcc_lo, v[2:3], v[7:8]
	v_cndmask_b32_e64 v7, 0, 1, vcc_lo
	v_add_co_u32 v4, vcc_lo, v4, v7
	v_add_co_ci_u32_e32 v5, vcc_lo, 0, v5, vcc_lo
	s_cbranch_scc1 .LBB84_76
	s_branch .LBB84_69
.LBB84_77:
	s_nop 0
	s_sendmsg sendmsg(MSG_DEALLOC_VGPRS)
	s_endpgm
	.section	.rodata,"a",@progbits
	.p2align	6, 0x0
	.amdhsa_kernel _ZN9rocsparseL41csrgemm_numeric_fill_block_per_row_kernelILj256ELj32ELj512ELj137ELj32EllfEEvT5_PKS1_S3_NS_24const_host_device_scalarIT6_EEPKT4_S3_PKS5_S9_S3_SB_S6_S9_S3_SB_S9_S3_PS5_21rocsparse_index_base_SD_SD_SD_bbb
		.amdhsa_group_segment_fixed_size 0
		.amdhsa_private_segment_fixed_size 0
		.amdhsa_kernarg_size 156
		.amdhsa_user_sgpr_count 15
		.amdhsa_user_sgpr_dispatch_ptr 0
		.amdhsa_user_sgpr_queue_ptr 0
		.amdhsa_user_sgpr_kernarg_segment_ptr 1
		.amdhsa_user_sgpr_dispatch_id 0
		.amdhsa_user_sgpr_private_segment_size 0
		.amdhsa_wavefront_size32 1
		.amdhsa_uses_dynamic_stack 0
		.amdhsa_enable_private_segment 0
		.amdhsa_system_sgpr_workgroup_id_x 1
		.amdhsa_system_sgpr_workgroup_id_y 0
		.amdhsa_system_sgpr_workgroup_id_z 0
		.amdhsa_system_sgpr_workgroup_info 0
		.amdhsa_system_vgpr_workitem_id 0
		.amdhsa_next_free_vgpr 23
		.amdhsa_next_free_sgpr 43
		.amdhsa_reserve_vcc 1
		.amdhsa_float_round_mode_32 0
		.amdhsa_float_round_mode_16_64 0
		.amdhsa_float_denorm_mode_32 3
		.amdhsa_float_denorm_mode_16_64 3
		.amdhsa_dx10_clamp 1
		.amdhsa_ieee_mode 1
		.amdhsa_fp16_overflow 0
		.amdhsa_workgroup_processor_mode 1
		.amdhsa_memory_ordered 1
		.amdhsa_forward_progress 0
		.amdhsa_shared_vgpr_count 0
		.amdhsa_exception_fp_ieee_invalid_op 0
		.amdhsa_exception_fp_denorm_src 0
		.amdhsa_exception_fp_ieee_div_zero 0
		.amdhsa_exception_fp_ieee_overflow 0
		.amdhsa_exception_fp_ieee_underflow 0
		.amdhsa_exception_fp_ieee_inexact 0
		.amdhsa_exception_int_div_zero 0
	.end_amdhsa_kernel
	.section	.text._ZN9rocsparseL41csrgemm_numeric_fill_block_per_row_kernelILj256ELj32ELj512ELj137ELj32EllfEEvT5_PKS1_S3_NS_24const_host_device_scalarIT6_EEPKT4_S3_PKS5_S9_S3_SB_S6_S9_S3_SB_S9_S3_PS5_21rocsparse_index_base_SD_SD_SD_bbb,"axG",@progbits,_ZN9rocsparseL41csrgemm_numeric_fill_block_per_row_kernelILj256ELj32ELj512ELj137ELj32EllfEEvT5_PKS1_S3_NS_24const_host_device_scalarIT6_EEPKT4_S3_PKS5_S9_S3_SB_S6_S9_S3_SB_S9_S3_PS5_21rocsparse_index_base_SD_SD_SD_bbb,comdat
.Lfunc_end84:
	.size	_ZN9rocsparseL41csrgemm_numeric_fill_block_per_row_kernelILj256ELj32ELj512ELj137ELj32EllfEEvT5_PKS1_S3_NS_24const_host_device_scalarIT6_EEPKT4_S3_PKS5_S9_S3_SB_S6_S9_S3_SB_S9_S3_PS5_21rocsparse_index_base_SD_SD_SD_bbb, .Lfunc_end84-_ZN9rocsparseL41csrgemm_numeric_fill_block_per_row_kernelILj256ELj32ELj512ELj137ELj32EllfEEvT5_PKS1_S3_NS_24const_host_device_scalarIT6_EEPKT4_S3_PKS5_S9_S3_SB_S6_S9_S3_SB_S9_S3_PS5_21rocsparse_index_base_SD_SD_SD_bbb
                                        ; -- End function
	.section	.AMDGPU.csdata,"",@progbits
; Kernel info:
; codeLenInByte = 3172
; NumSgprs: 45
; NumVgprs: 23
; ScratchSize: 0
; MemoryBound: 0
; FloatMode: 240
; IeeeMode: 1
; LDSByteSize: 0 bytes/workgroup (compile time only)
; SGPRBlocks: 5
; VGPRBlocks: 2
; NumSGPRsForWavesPerEU: 45
; NumVGPRsForWavesPerEU: 23
; Occupancy: 16
; WaveLimiterHint : 1
; COMPUTE_PGM_RSRC2:SCRATCH_EN: 0
; COMPUTE_PGM_RSRC2:USER_SGPR: 15
; COMPUTE_PGM_RSRC2:TRAP_HANDLER: 0
; COMPUTE_PGM_RSRC2:TGID_X_EN: 1
; COMPUTE_PGM_RSRC2:TGID_Y_EN: 0
; COMPUTE_PGM_RSRC2:TGID_Z_EN: 0
; COMPUTE_PGM_RSRC2:TIDIG_COMP_CNT: 0
	.section	.text._ZN9rocsparseL41csrgemm_numeric_fill_block_per_row_kernelILj256ELj32ELj512ELj137ELj64EllfEEvT5_PKS1_S3_NS_24const_host_device_scalarIT6_EEPKT4_S3_PKS5_S9_S3_SB_S6_S9_S3_SB_S9_S3_PS5_21rocsparse_index_base_SD_SD_SD_bbb,"axG",@progbits,_ZN9rocsparseL41csrgemm_numeric_fill_block_per_row_kernelILj256ELj32ELj512ELj137ELj64EllfEEvT5_PKS1_S3_NS_24const_host_device_scalarIT6_EEPKT4_S3_PKS5_S9_S3_SB_S6_S9_S3_SB_S9_S3_PS5_21rocsparse_index_base_SD_SD_SD_bbb,comdat
	.globl	_ZN9rocsparseL41csrgemm_numeric_fill_block_per_row_kernelILj256ELj32ELj512ELj137ELj64EllfEEvT5_PKS1_S3_NS_24const_host_device_scalarIT6_EEPKT4_S3_PKS5_S9_S3_SB_S6_S9_S3_SB_S9_S3_PS5_21rocsparse_index_base_SD_SD_SD_bbb ; -- Begin function _ZN9rocsparseL41csrgemm_numeric_fill_block_per_row_kernelILj256ELj32ELj512ELj137ELj64EllfEEvT5_PKS1_S3_NS_24const_host_device_scalarIT6_EEPKT4_S3_PKS5_S9_S3_SB_S6_S9_S3_SB_S9_S3_PS5_21rocsparse_index_base_SD_SD_SD_bbb
	.p2align	8
	.type	_ZN9rocsparseL41csrgemm_numeric_fill_block_per_row_kernelILj256ELj32ELj512ELj137ELj64EllfEEvT5_PKS1_S3_NS_24const_host_device_scalarIT6_EEPKT4_S3_PKS5_S9_S3_SB_S6_S9_S3_SB_S9_S3_PS5_21rocsparse_index_base_SD_SD_SD_bbb,@function
_ZN9rocsparseL41csrgemm_numeric_fill_block_per_row_kernelILj256ELj32ELj512ELj137ELj64EllfEEvT5_PKS1_S3_NS_24const_host_device_scalarIT6_EEPKT4_S3_PKS5_S9_S3_SB_S6_S9_S3_SB_S9_S3_PS5_21rocsparse_index_base_SD_SD_SD_bbb: ; @_ZN9rocsparseL41csrgemm_numeric_fill_block_per_row_kernelILj256ELj32ELj512ELj137ELj64EllfEEvT5_PKS1_S3_NS_24const_host_device_scalarIT6_EEPKT4_S3_PKS5_S9_S3_SB_S6_S9_S3_SB_S9_S3_PS5_21rocsparse_index_base_SD_SD_SD_bbb
; %bb.0:
	s_clause 0x2
	s_load_b32 s3, s[0:1], 0x98
	s_load_b64 s[6:7], s[0:1], 0x18
	s_load_b64 s[4:5], s[0:1], 0x50
	s_mov_b32 s2, s15
	s_waitcnt lgkmcnt(0)
	s_bitcmp1_b32 s3, 0
	s_cselect_b32 s38, -1, 0
	s_bitcmp1_b32 s3, 16
	s_cselect_b32 s8, -1, 0
	s_xor_b32 s9, s38, -1
	s_delay_alu instid0(SALU_CYCLE_1) | instskip(NEXT) | instid1(SALU_CYCLE_1)
	s_or_b32 s9, s9, s8
	s_and_b32 vcc_lo, exec_lo, s9
	s_cbranch_vccnz .LBB85_2
; %bb.1:
	s_load_b32 s6, s[6:7], 0x0
	s_waitcnt lgkmcnt(0)
	v_mov_b32_e32 v15, s6
	s_branch .LBB85_3
.LBB85_2:
	v_cndmask_b32_e64 v15, 0, s6, s38
.LBB85_3:
	s_load_b128 s[20:23], s[0:1], 0x88
	s_bitcmp1_b32 s3, 8
	s_cselect_b32 s33, -1, 0
	s_delay_alu instid0(SALU_CYCLE_1) | instskip(NEXT) | instid1(SALU_CYCLE_1)
	s_xor_b32 s3, s33, -1
	s_or_b32 s3, s3, s8
	s_delay_alu instid0(SALU_CYCLE_1)
	s_and_b32 vcc_lo, exec_lo, s3
	s_cbranch_vccnz .LBB85_5
; %bb.4:
	s_load_b32 s3, s[4:5], 0x0
	s_waitcnt lgkmcnt(0)
	v_mov_b32_e32 v13, s3
	s_branch .LBB85_6
.LBB85_5:
	v_cndmask_b32_e64 v13, 0, s4, s33
.LBB85_6:
	s_clause 0x5
	s_load_b64 s[34:35], s[0:1], 0x80
	s_load_b256 s[4:11], s[0:1], 0x58
	s_load_b128 s[28:31], s[0:1], 0x40
	s_load_b128 s[24:27], s[0:1], 0x0
	s_load_b64 s[36:37], s[0:1], 0x10
	s_load_b256 s[12:19], s[0:1], 0x20
	v_cmp_gt_u32_e64 s0, 0x200, v0
	v_lshlrev_b32_e32 v14, 2, v0
	v_or_b32_e32 v11, 0xffffff00, v0
	v_lshl_add_u32 v12, v0, 3, 0
	s_delay_alu instid0(VALU_DEP_4)
	s_and_saveexec_b32 s1, s0
	s_cbranch_execz .LBB85_9
; %bb.7:
	v_add3_u32 v3, v14, 0, 0x1000
	v_or_b32_e32 v4, 0xffffff00, v0
	v_lshl_add_u32 v5, v0, 3, 0
	s_waitcnt lgkmcnt(0)
	v_dual_mov_b32 v1, s24 :: v_dual_mov_b32 v2, s25
	v_mov_b32_e32 v6, 0
	s_mov_b32 s3, 0
.LBB85_8:                               ; =>This Inner Loop Header: Depth=1
	v_add_co_u32 v4, s39, 0x100, v4
	s_delay_alu instid0(VALU_DEP_1)
	s_xor_b32 s39, s39, -1
	ds_store_b64 v5, v[1:2]
	ds_store_b32 v3, v6
	v_add_nc_u32_e32 v3, 0x400, v3
	v_add_nc_u32_e32 v5, 0x800, v5
	s_and_b32 s39, exec_lo, s39
	s_delay_alu instid0(SALU_CYCLE_1) | instskip(NEXT) | instid1(SALU_CYCLE_1)
	s_or_b32 s3, s39, s3
	s_and_not1_b32 exec_lo, exec_lo, s3
	s_cbranch_execnz .LBB85_8
.LBB85_9:
	s_or_b32 exec_lo, exec_lo, s1
	s_waitcnt lgkmcnt(0)
	s_barrier
	buffer_gl0_inv
	s_load_b64 s[26:27], s[26:27], 0x0
	s_mov_b32 s3, 0
	s_waitcnt lgkmcnt(0)
	s_lshl_b64 s[26:27], s[26:27], 3
	s_delay_alu instid0(SALU_CYCLE_1) | instskip(SKIP_2) | instid1(SALU_CYCLE_1)
	s_add_u32 s1, s36, s26
	s_addc_u32 s26, s37, s27
	s_lshl_b64 s[2:3], s[2:3], 3
	s_add_u32 s2, s1, s2
	s_addc_u32 s3, s26, s3
	s_and_b32 vcc_lo, exec_lo, s38
	s_load_b64 s[26:27], s[2:3], 0x0
	s_cbranch_vccz .LBB85_29
; %bb.10:
	s_waitcnt lgkmcnt(0)
	s_lshl_b64 s[2:3], s[26:27], 3
	v_lshrrev_b32_e32 v1, 5, v0
	s_add_u32 s2, s12, s2
	s_addc_u32 s3, s13, s3
	s_load_b128 s[36:39], s[2:3], 0x0
	s_delay_alu instid0(VALU_DEP_1) | instskip(NEXT) | instid1(VALU_DEP_1)
	v_sub_co_u32 v1, s1, v1, s20
	v_sub_co_ci_u32_e64 v2, null, 0, 0, s1
	s_mov_b32 s1, exec_lo
	s_waitcnt lgkmcnt(0)
	s_delay_alu instid0(VALU_DEP_2) | instskip(NEXT) | instid1(VALU_DEP_2)
	v_add_co_u32 v1, vcc_lo, s36, v1
	v_add_co_ci_u32_e32 v2, vcc_lo, s37, v2, vcc_lo
	s_sub_u32 s2, s38, s20
	s_subb_u32 s3, s39, 0
	s_delay_alu instid0(VALU_DEP_1) | instid1(SALU_CYCLE_1)
	v_cmpx_gt_i64_e64 s[2:3], v[1:2]
	s_cbranch_execz .LBB85_28
; %bb.11:
	v_and_b32_e32 v3, 31, v0
	s_mov_b32 s13, s21
	s_delay_alu instid0(VALU_DEP_1) | instskip(NEXT) | instid1(VALU_DEP_1)
	v_sub_co_u32 v16, s12, v3, s21
	v_sub_co_ci_u32_e64 v17, null, 0, 0, s12
	s_mov_b32 s12, 0
	s_branch .LBB85_13
.LBB85_12:                              ;   in Loop: Header=BB85_13 Depth=1
	s_or_b32 exec_lo, exec_lo, s21
	v_add_co_u32 v1, vcc_lo, v1, 8
	v_add_co_ci_u32_e32 v2, vcc_lo, 0, v2, vcc_lo
	s_delay_alu instid0(VALU_DEP_1) | instskip(SKIP_1) | instid1(SALU_CYCLE_1)
	v_cmp_le_i64_e32 vcc_lo, s[2:3], v[1:2]
	s_or_b32 s12, vcc_lo, s12
	s_and_not1_b32 exec_lo, exec_lo, s12
	s_cbranch_execz .LBB85_28
.LBB85_13:                              ; =>This Loop Header: Depth=1
                                        ;     Child Loop BB85_16 Depth 2
                                        ;       Child Loop BB85_18 Depth 3
	v_lshlrev_b64 v[3:4], 3, v[1:2]
	s_mov_b32 s21, exec_lo
	s_delay_alu instid0(VALU_DEP_1) | instskip(NEXT) | instid1(VALU_DEP_2)
	v_add_co_u32 v3, vcc_lo, s14, v3
	v_add_co_ci_u32_e32 v4, vcc_lo, s15, v4, vcc_lo
	global_load_b64 v[3:4], v[3:4], off
	s_waitcnt vmcnt(0)
	v_sub_co_u32 v3, vcc_lo, v3, s20
	v_subrev_co_ci_u32_e32 v4, vcc_lo, 0, v4, vcc_lo
	s_delay_alu instid0(VALU_DEP_1) | instskip(NEXT) | instid1(VALU_DEP_1)
	v_lshlrev_b64 v[3:4], 3, v[3:4]
	v_add_co_u32 v3, vcc_lo, s18, v3
	s_delay_alu instid0(VALU_DEP_2)
	v_add_co_ci_u32_e32 v4, vcc_lo, s19, v4, vcc_lo
	global_load_b128 v[5:8], v[3:4], off
	s_waitcnt vmcnt(0)
	v_sub_co_u32 v3, vcc_lo, v7, s13
	v_subrev_co_ci_u32_e32 v4, vcc_lo, 0, v8, vcc_lo
	v_add_co_u32 v5, vcc_lo, v5, v16
	v_add_co_ci_u32_e32 v6, vcc_lo, v6, v17, vcc_lo
	s_delay_alu instid0(VALU_DEP_1)
	v_cmpx_lt_i64_e64 v[5:6], v[3:4]
	s_cbranch_execz .LBB85_12
; %bb.14:                               ;   in Loop: Header=BB85_13 Depth=1
	v_lshlrev_b64 v[7:8], 2, v[1:2]
	s_mov_b32 s36, 0
	s_delay_alu instid0(VALU_DEP_1) | instskip(NEXT) | instid1(VALU_DEP_2)
	v_add_co_u32 v7, vcc_lo, s16, v7
	v_add_co_ci_u32_e32 v8, vcc_lo, s17, v8, vcc_lo
	global_load_b32 v7, v[7:8], off
	s_waitcnt vmcnt(0)
	v_mul_f32_e32 v18, v15, v7
	s_branch .LBB85_16
.LBB85_15:                              ;   in Loop: Header=BB85_16 Depth=2
	s_or_b32 exec_lo, exec_lo, s37
	v_add_co_u32 v5, vcc_lo, v5, 32
	v_add_co_ci_u32_e32 v6, vcc_lo, 0, v6, vcc_lo
	s_delay_alu instid0(VALU_DEP_1) | instskip(SKIP_1) | instid1(SALU_CYCLE_1)
	v_cmp_ge_i64_e32 vcc_lo, v[5:6], v[3:4]
	s_or_b32 s36, vcc_lo, s36
	s_and_not1_b32 exec_lo, exec_lo, s36
	s_cbranch_execz .LBB85_12
.LBB85_16:                              ;   Parent Loop BB85_13 Depth=1
                                        ; =>  This Loop Header: Depth=2
                                        ;       Child Loop BB85_18 Depth 3
	v_lshlrev_b64 v[7:8], 3, v[5:6]
	v_lshlrev_b64 v[9:10], 2, v[5:6]
	s_mov_b32 s37, 0
	s_delay_alu instid0(VALU_DEP_2) | instskip(NEXT) | instid1(VALU_DEP_3)
	v_add_co_u32 v7, vcc_lo, s28, v7
	v_add_co_ci_u32_e32 v8, vcc_lo, s29, v8, vcc_lo
	s_delay_alu instid0(VALU_DEP_3) | instskip(NEXT) | instid1(VALU_DEP_4)
	v_add_co_u32 v9, vcc_lo, s30, v9
	v_add_co_ci_u32_e32 v10, vcc_lo, s31, v10, vcc_lo
	global_load_b64 v[7:8], v[7:8], off
	global_load_b32 v9, v[9:10], off
	s_waitcnt vmcnt(1)
	v_sub_co_u32 v7, vcc_lo, v7, s13
	v_subrev_co_ci_u32_e32 v8, vcc_lo, 0, v8, vcc_lo
	s_delay_alu instid0(VALU_DEP_2) | instskip(SKIP_1) | instid1(VALU_DEP_1)
	v_mul_lo_u32 v10, 0x89, v7
	s_waitcnt vmcnt(0)
	v_dual_mul_f32 v19, v18, v9 :: v_dual_and_b32 v20, 0x1ff, v10
	s_branch .LBB85_18
.LBB85_17:                              ;   in Loop: Header=BB85_18 Depth=3
	s_or_b32 exec_lo, exec_lo, s38
	s_xor_b32 s38, s39, -1
	s_delay_alu instid0(SALU_CYCLE_1) | instskip(NEXT) | instid1(SALU_CYCLE_1)
	s_and_b32 s38, exec_lo, s38
	s_or_b32 s37, s38, s37
	s_delay_alu instid0(SALU_CYCLE_1)
	s_and_not1_b32 exec_lo, exec_lo, s37
	s_cbranch_execz .LBB85_15
.LBB85_18:                              ;   Parent Loop BB85_13 Depth=1
                                        ;     Parent Loop BB85_16 Depth=2
                                        ; =>    This Inner Loop Header: Depth=3
	s_delay_alu instid0(VALU_DEP_1)
	v_lshl_add_u32 v21, v20, 3, 0
	s_mov_b32 s38, exec_lo
                                        ; implicit-def: $sgpr39
	ds_load_b64 v[9:10], v21
	s_waitcnt lgkmcnt(0)
	v_cmpx_ne_u64_e64 v[9:10], v[7:8]
	s_xor_b32 s38, exec_lo, s38
	s_cbranch_execz .LBB85_26
; %bb.19:                               ;   in Loop: Header=BB85_18 Depth=3
	s_mov_b32 s40, exec_lo
                                        ; implicit-def: $sgpr39
	v_cmpx_ne_u64_e64 s[24:25], v[9:10]
	s_xor_b32 s40, exec_lo, s40
; %bb.20:                               ;   in Loop: Header=BB85_18 Depth=3
	v_add_nc_u32_e32 v9, 1, v20
	s_mov_b32 s39, -1
                                        ; implicit-def: $vgpr21
	s_delay_alu instid0(VALU_DEP_1)
	v_and_b32_e32 v20, 0x1ff, v9
; %bb.21:                               ;   in Loop: Header=BB85_18 Depth=3
	s_and_not1_saveexec_b32 s40, s40
	s_cbranch_execz .LBB85_25
; %bb.22:                               ;   in Loop: Header=BB85_18 Depth=3
	v_dual_mov_b32 v9, s24 :: v_dual_mov_b32 v10, s25
	s_mov_b32 s41, -1
	s_mov_b32 s42, exec_lo
	ds_cmpstore_rtn_b64 v[9:10], v21, v[7:8], v[9:10]
	s_waitcnt lgkmcnt(0)
	v_cmpx_eq_u64_e64 s[24:25], v[9:10]
	s_cbranch_execz .LBB85_24
; %bb.23:                               ;   in Loop: Header=BB85_18 Depth=3
	v_lshlrev_b32_e32 v9, 2, v20
	s_xor_b32 s41, exec_lo, -1
	s_delay_alu instid0(VALU_DEP_1)
	v_sub_nc_u32_e32 v9, v21, v9
	ds_add_f32 v9, v19 offset:4096
.LBB85_24:                              ;   in Loop: Header=BB85_18 Depth=3
	s_or_b32 exec_lo, exec_lo, s42
	s_delay_alu instid0(SALU_CYCLE_1) | instskip(SKIP_1) | instid1(SALU_CYCLE_1)
	s_and_not1_b32 s39, s39, exec_lo
	s_and_b32 s41, s41, exec_lo
	s_or_b32 s39, s39, s41
.LBB85_25:                              ;   in Loop: Header=BB85_18 Depth=3
	s_or_b32 exec_lo, exec_lo, s40
	s_delay_alu instid0(SALU_CYCLE_1)
	s_and_b32 s39, s39, exec_lo
                                        ; implicit-def: $vgpr21
.LBB85_26:                              ;   in Loop: Header=BB85_18 Depth=3
	s_and_not1_saveexec_b32 s38, s38
	s_cbranch_execz .LBB85_17
; %bb.27:                               ;   in Loop: Header=BB85_18 Depth=3
	v_lshlrev_b32_e32 v9, 2, v20
	s_and_not1_b32 s39, s39, exec_lo
	s_delay_alu instid0(VALU_DEP_1)
	v_sub_nc_u32_e32 v9, v21, v9
	ds_add_f32 v9, v19 offset:4096
	s_branch .LBB85_17
.LBB85_28:
	s_or_b32 exec_lo, exec_lo, s1
.LBB85_29:
	s_delay_alu instid0(SALU_CYCLE_1)
	s_and_not1_b32 vcc_lo, exec_lo, s33
	s_cbranch_vccnz .LBB85_46
; %bb.30:
	s_waitcnt lgkmcnt(0)
	s_lshl_b64 s[2:3], s[26:27], 3
	v_sub_co_u32 v1, s1, v0, s23
	s_add_u32 s2, s4, s2
	s_addc_u32 s3, s5, s3
	v_sub_co_ci_u32_e64 v2, null, 0, 0, s1
	s_load_b128 s[12:15], s[2:3], 0x0
	s_mov_b32 s1, 0
	s_mov_b32 s4, exec_lo
	s_waitcnt lgkmcnt(0)
	v_add_co_u32 v1, vcc_lo, s12, v1
	v_add_co_ci_u32_e32 v2, vcc_lo, s13, v2, vcc_lo
	s_sub_u32 s2, s14, s23
	s_subb_u32 s3, s15, 0
	s_delay_alu instid0(VALU_DEP_1) | instid1(SALU_CYCLE_1)
	v_cmpx_gt_i64_e64 s[2:3], v[1:2]
	s_cbranch_execz .LBB85_45
; %bb.31:
	s_mov_b32 s5, s23
	s_branch .LBB85_33
.LBB85_32:                              ;   in Loop: Header=BB85_33 Depth=1
	s_or_b32 exec_lo, exec_lo, s12
	v_add_co_u32 v1, vcc_lo, 0x100, v1
	v_add_co_ci_u32_e32 v2, vcc_lo, 0, v2, vcc_lo
	s_delay_alu instid0(VALU_DEP_1) | instskip(SKIP_1) | instid1(SALU_CYCLE_1)
	v_cmp_le_i64_e32 vcc_lo, s[2:3], v[1:2]
	s_or_b32 s1, vcc_lo, s1
	s_and_not1_b32 exec_lo, exec_lo, s1
	s_cbranch_execz .LBB85_45
.LBB85_33:                              ; =>This Loop Header: Depth=1
                                        ;     Child Loop BB85_35 Depth 2
	v_lshlrev_b64 v[3:4], 3, v[1:2]
	v_lshlrev_b64 v[5:6], 2, v[1:2]
	s_mov_b32 s12, 0
	s_delay_alu instid0(VALU_DEP_2) | instskip(NEXT) | instid1(VALU_DEP_3)
	v_add_co_u32 v3, vcc_lo, s6, v3
	v_add_co_ci_u32_e32 v4, vcc_lo, s7, v4, vcc_lo
	s_delay_alu instid0(VALU_DEP_3) | instskip(NEXT) | instid1(VALU_DEP_4)
	v_add_co_u32 v5, vcc_lo, s8, v5
	v_add_co_ci_u32_e32 v6, vcc_lo, s9, v6, vcc_lo
	global_load_b64 v[3:4], v[3:4], off
	global_load_b32 v5, v[5:6], off
	s_waitcnt vmcnt(1)
	v_sub_co_u32 v3, vcc_lo, v3, s5
	v_subrev_co_ci_u32_e32 v4, vcc_lo, 0, v4, vcc_lo
	s_delay_alu instid0(VALU_DEP_2) | instskip(SKIP_1) | instid1(VALU_DEP_1)
	v_mul_lo_u32 v6, 0x89, v3
	s_waitcnt vmcnt(0)
	v_dual_mul_f32 v7, v13, v5 :: v_dual_and_b32 v8, 0x1ff, v6
	s_branch .LBB85_35
.LBB85_34:                              ;   in Loop: Header=BB85_35 Depth=2
	s_or_b32 exec_lo, exec_lo, s13
	s_xor_b32 s13, s14, -1
	s_delay_alu instid0(SALU_CYCLE_1) | instskip(NEXT) | instid1(SALU_CYCLE_1)
	s_and_b32 s13, exec_lo, s13
	s_or_b32 s12, s13, s12
	s_delay_alu instid0(SALU_CYCLE_1)
	s_and_not1_b32 exec_lo, exec_lo, s12
	s_cbranch_execz .LBB85_32
.LBB85_35:                              ;   Parent Loop BB85_33 Depth=1
                                        ; =>  This Inner Loop Header: Depth=2
	s_delay_alu instid0(VALU_DEP_1)
	v_lshl_add_u32 v9, v8, 3, 0
	s_mov_b32 s13, exec_lo
                                        ; implicit-def: $sgpr14
	ds_load_b64 v[5:6], v9
	s_waitcnt lgkmcnt(0)
	v_cmpx_ne_u64_e64 v[5:6], v[3:4]
	s_xor_b32 s13, exec_lo, s13
	s_cbranch_execz .LBB85_43
; %bb.36:                               ;   in Loop: Header=BB85_35 Depth=2
	s_mov_b32 s15, exec_lo
                                        ; implicit-def: $sgpr14
	v_cmpx_ne_u64_e64 s[24:25], v[5:6]
	s_xor_b32 s15, exec_lo, s15
; %bb.37:                               ;   in Loop: Header=BB85_35 Depth=2
	v_add_nc_u32_e32 v5, 1, v8
	s_mov_b32 s14, -1
                                        ; implicit-def: $vgpr9
	s_delay_alu instid0(VALU_DEP_1)
	v_and_b32_e32 v8, 0x1ff, v5
; %bb.38:                               ;   in Loop: Header=BB85_35 Depth=2
	s_and_not1_saveexec_b32 s15, s15
	s_cbranch_execz .LBB85_42
; %bb.39:                               ;   in Loop: Header=BB85_35 Depth=2
	v_dual_mov_b32 v5, s24 :: v_dual_mov_b32 v6, s25
	s_mov_b32 s16, -1
	s_mov_b32 s17, exec_lo
	ds_cmpstore_rtn_b64 v[5:6], v9, v[3:4], v[5:6]
	s_waitcnt lgkmcnt(0)
	v_cmpx_eq_u64_e64 s[24:25], v[5:6]
	s_cbranch_execz .LBB85_41
; %bb.40:                               ;   in Loop: Header=BB85_35 Depth=2
	v_lshlrev_b32_e32 v5, 2, v8
	s_xor_b32 s16, exec_lo, -1
	s_delay_alu instid0(VALU_DEP_1)
	v_sub_nc_u32_e32 v5, v9, v5
	ds_add_f32 v5, v7 offset:4096
.LBB85_41:                              ;   in Loop: Header=BB85_35 Depth=2
	s_or_b32 exec_lo, exec_lo, s17
	s_delay_alu instid0(SALU_CYCLE_1) | instskip(SKIP_1) | instid1(SALU_CYCLE_1)
	s_and_not1_b32 s14, s14, exec_lo
	s_and_b32 s16, s16, exec_lo
	s_or_b32 s14, s14, s16
.LBB85_42:                              ;   in Loop: Header=BB85_35 Depth=2
	s_or_b32 exec_lo, exec_lo, s15
	s_delay_alu instid0(SALU_CYCLE_1)
	s_and_b32 s14, s14, exec_lo
                                        ; implicit-def: $vgpr9
.LBB85_43:                              ;   in Loop: Header=BB85_35 Depth=2
	s_and_not1_saveexec_b32 s13, s13
	s_cbranch_execz .LBB85_34
; %bb.44:                               ;   in Loop: Header=BB85_35 Depth=2
	v_lshlrev_b32_e32 v5, 2, v8
	s_and_not1_b32 s14, s14, exec_lo
	s_delay_alu instid0(VALU_DEP_1)
	v_sub_nc_u32_e32 v5, v9, v5
	ds_add_f32 v5, v7 offset:4096
	s_branch .LBB85_34
.LBB85_45:
	s_or_b32 exec_lo, exec_lo, s4
.LBB85_46:
	s_waitcnt lgkmcnt(0)
	s_barrier
	buffer_gl0_inv
	s_and_saveexec_b32 s4, s0
	s_cbranch_execz .LBB85_59
; %bb.47:
	v_mbcnt_lo_u32_b32 v1, -1, 0
	v_lshrrev_b32_e32 v2, 3, v0
	v_cmp_eq_u32_e32 vcc_lo, 0xff, v0
	v_cmp_lt_u32_e64 s0, 63, v0
	v_cmp_lt_u32_e64 s1, 0x7f, v0
	v_xor_b32_e32 v1, 63, v1
	v_and_b32_e32 v3, 24, v2
	v_cmp_lt_u32_e64 s2, 0xbf, v0
	v_add3_u32 v10, v14, 0, 0x1000
	v_mov_b32_e32 v5, 0
	v_lshrrev_b64 v[1:2], v1, -1
	v_dual_mov_b32 v2, 0 :: v_dual_add_nc_u32 v13, 0, v3
	v_mov_b32_e32 v3, 0
	s_mov_b32 s5, 0
	s_branch .LBB85_49
.LBB85_48:                              ;   in Loop: Header=BB85_49 Depth=1
	s_or_b32 exec_lo, exec_lo, s3
	s_waitcnt lgkmcnt(0)
	s_barrier
	buffer_gl0_inv
	ds_load_b64 v[6:7], v5 offset:6168
	v_add_co_u32 v11, s3, 0x100, v11
	s_delay_alu instid0(VALU_DEP_1) | instskip(SKIP_4) | instid1(VALU_DEP_1)
	s_xor_b32 s6, s3, -1
	v_add_nc_u32_e32 v10, 0x400, v10
	v_add_nc_u32_e32 v12, 0x800, v12
	s_waitcnt lgkmcnt(0)
	v_add_co_u32 v2, s3, v6, v2
	v_add_co_ci_u32_e64 v3, s3, v7, v3, s3
	s_and_b32 s3, exec_lo, s6
	s_delay_alu instid0(SALU_CYCLE_1) | instskip(NEXT) | instid1(SALU_CYCLE_1)
	s_or_b32 s5, s3, s5
	s_and_not1_b32 exec_lo, exec_lo, s5
	s_cbranch_execz .LBB85_59
.LBB85_49:                              ; =>This Inner Loop Header: Depth=1
	ds_load_b64 v[6:7], v12
	ds_load_b32 v14, v10
	s_waitcnt lgkmcnt(0)
	s_barrier
	buffer_gl0_inv
	v_cmp_gt_i64_e64 s3, s[24:25], v[6:7]
	s_delay_alu instid0(VALU_DEP_1) | instskip(SKIP_1) | instid1(SALU_CYCLE_1)
	v_and_b32_e32 v8, s3, v1
	s_bcnt1_i32_b32 s6, s3
	v_mov_b32_e32 v4, s6
	s_delay_alu instid0(VALU_DEP_2)
	v_bcnt_u32_b32 v8, v8, 0
	ds_store_b64 v13, v[4:5] offset:6144
	s_waitcnt lgkmcnt(0)
	s_barrier
	buffer_gl0_inv
	s_and_saveexec_b32 s6, s0
	s_cbranch_execnz .LBB85_54
; %bb.50:                               ;   in Loop: Header=BB85_49 Depth=1
	s_or_b32 exec_lo, exec_lo, s6
	s_and_saveexec_b32 s6, s1
	s_cbranch_execnz .LBB85_55
.LBB85_51:                              ;   in Loop: Header=BB85_49 Depth=1
	s_or_b32 exec_lo, exec_lo, s6
	s_and_saveexec_b32 s6, s2
	s_cbranch_execnz .LBB85_56
.LBB85_52:                              ;   in Loop: Header=BB85_49 Depth=1
	s_or_b32 exec_lo, exec_lo, s6
	v_ashrrev_i32_e32 v9, 31, v8
	s_and_saveexec_b32 s6, s3
	s_cbranch_execnz .LBB85_57
.LBB85_53:                              ;   in Loop: Header=BB85_49 Depth=1
	s_or_b32 exec_lo, exec_lo, s6
	s_and_saveexec_b32 s3, vcc_lo
	s_cbranch_execz .LBB85_48
	s_branch .LBB85_58
.LBB85_54:                              ;   in Loop: Header=BB85_49 Depth=1
	ds_load_b32 v4, v5 offset:6144
	s_waitcnt lgkmcnt(0)
	v_add_nc_u32_e32 v8, v4, v8
	s_or_b32 exec_lo, exec_lo, s6
	s_and_saveexec_b32 s6, s1
	s_cbranch_execz .LBB85_51
.LBB85_55:                              ;   in Loop: Header=BB85_49 Depth=1
	ds_load_b32 v4, v5 offset:6152
	s_waitcnt lgkmcnt(0)
	v_add_nc_u32_e32 v8, v8, v4
	s_or_b32 exec_lo, exec_lo, s6
	s_and_saveexec_b32 s6, s2
	s_cbranch_execz .LBB85_52
.LBB85_56:                              ;   in Loop: Header=BB85_49 Depth=1
	ds_load_b32 v4, v5 offset:6160
	s_waitcnt lgkmcnt(0)
	v_add_nc_u32_e32 v8, v8, v4
	s_or_b32 exec_lo, exec_lo, s6
	s_delay_alu instid0(VALU_DEP_1)
	v_ashrrev_i32_e32 v9, 31, v8
	s_and_saveexec_b32 s6, s3
	s_cbranch_execz .LBB85_53
.LBB85_57:                              ;   in Loop: Header=BB85_49 Depth=1
	v_add3_u32 v4, v2, -1, v8
	s_delay_alu instid0(VALU_DEP_1)
	v_lshl_add_u32 v15, v4, 3, 0
	v_lshl_add_u32 v4, v4, 2, 0
	ds_store_b64 v15, v[6:7]
	ds_store_b32 v4, v14 offset:4096
	s_or_b32 exec_lo, exec_lo, s6
	s_and_saveexec_b32 s3, vcc_lo
	s_cbranch_execz .LBB85_48
.LBB85_58:                              ;   in Loop: Header=BB85_49 Depth=1
	ds_store_b64 v5, v[8:9] offset:6168
	s_branch .LBB85_48
.LBB85_59:
	s_or_b32 exec_lo, exec_lo, s4
	s_lshl_b64 s[0:1], s[26:27], 3
	v_mov_b32_e32 v1, 0
	s_add_u32 s0, s10, s0
	s_addc_u32 s1, s11, s1
	s_mov_b32 s6, exec_lo
	s_load_b128 s[0:3], s[0:1], 0x0
	s_waitcnt lgkmcnt(0)
	s_sub_u32 s4, s2, s0
	s_subb_u32 s5, s3, s1
	s_delay_alu instid0(SALU_CYCLE_1)
	v_cmpx_gt_i64_e64 s[4:5], v[0:1]
	s_cbranch_execz .LBB85_69
; %bb.60:
	s_sub_u32 s8, s0, s22
	s_subb_u32 s9, s1, 0
	s_and_b32 s6, s4, 7
	s_sub_u32 s0, s0, s2
	s_subb_u32 s1, s1, s3
	s_mov_b32 s7, 0
	v_cmp_lt_u64_e64 s12, s[0:1], -7
	s_and_b32 s2, s4, -8
	s_cmp_lg_u64 s[6:7], 0
	s_mov_b32 s3, s5
	s_cselect_b32 s13, -1, 0
	s_mov_b32 s14, s7
	s_branch .LBB85_62
.LBB85_61:                              ;   in Loop: Header=BB85_62 Depth=1
	v_add_co_u32 v0, vcc_lo, 0x100, v0
	v_add_co_ci_u32_e32 v1, vcc_lo, 0, v1, vcc_lo
	s_waitcnt lgkmcnt(1)
	v_lshlrev_b64 v[2:3], 2, v[4:5]
	s_delay_alu instid0(VALU_DEP_2) | instskip(NEXT) | instid1(VALU_DEP_2)
	v_cmp_le_i64_e32 vcc_lo, s[4:5], v[0:1]
	v_add_co_u32 v2, s0, s34, v2
	s_delay_alu instid0(VALU_DEP_1)
	v_add_co_ci_u32_e64 v3, s0, s35, v3, s0
	s_or_b32 s14, vcc_lo, s14
	s_waitcnt lgkmcnt(0)
	global_store_b32 v[2:3], v6, off
	s_and_not1_b32 exec_lo, exec_lo, s14
	s_cbranch_execz .LBB85_69
.LBB85_62:                              ; =>This Loop Header: Depth=1
                                        ;     Child Loop BB85_64 Depth 2
                                        ;     Child Loop BB85_68 Depth 2
	v_lshl_add_u32 v2, v0, 3, 0
	v_lshlrev_b32_e32 v3, 2, v0
	s_and_not1_b32 vcc_lo, exec_lo, s12
	s_mov_b64 s[0:1], 0
	s_delay_alu instid0(VALU_DEP_1)
	v_sub_nc_u32_e32 v4, v2, v3
	ds_load_b64 v[2:3], v2
	ds_load_b32 v6, v4 offset:4096
	v_dual_mov_b32 v4, s8 :: v_dual_mov_b32 v5, s9
	s_cbranch_vccnz .LBB85_66
; %bb.63:                               ;   in Loop: Header=BB85_62 Depth=1
	v_dual_mov_b32 v4, s8 :: v_dual_mov_b32 v5, s9
	s_mov_b64 s[10:11], 0
	s_mov_b32 s1, 0
.LBB85_64:                              ;   Parent Loop BB85_62 Depth=1
                                        ; =>  This Inner Loop Header: Depth=2
	s_delay_alu instid0(SALU_CYCLE_1)
	v_mov_b32_e32 v19, s1
	s_add_u32 s10, s10, 8
	s_addc_u32 s11, s11, 0
	s_add_i32 s1, s1, 64
	s_cmp_eq_u64 s[2:3], s[10:11]
	ds_load_2addr_b64 v[7:10], v19 offset1:1
	ds_load_2addr_b64 v[11:14], v19 offset0:2 offset1:3
	ds_load_2addr_b64 v[15:18], v19 offset0:4 offset1:5
	;; [unrolled: 1-line block ×3, first 2 shown]
	s_waitcnt lgkmcnt(3)
	v_cmp_gt_i64_e32 vcc_lo, v[2:3], v[7:8]
	v_cndmask_b32_e64 v7, 0, 1, vcc_lo
	v_cmp_gt_i64_e32 vcc_lo, v[2:3], v[9:10]
	v_cndmask_b32_e64 v8, 0, 1, vcc_lo
	s_waitcnt lgkmcnt(2)
	v_cmp_gt_i64_e32 vcc_lo, v[2:3], v[11:12]
	v_cndmask_b32_e64 v9, 0, 1, vcc_lo
	v_cmp_gt_i64_e32 vcc_lo, v[2:3], v[13:14]
	v_cndmask_b32_e64 v10, 0, 1, vcc_lo
	s_waitcnt lgkmcnt(1)
	v_cmp_gt_i64_e32 vcc_lo, v[2:3], v[15:16]
	v_cndmask_b32_e64 v11, 0, 1, vcc_lo
	v_add_co_u32 v4, vcc_lo, v4, v7
	v_add_co_ci_u32_e32 v5, vcc_lo, 0, v5, vcc_lo
	v_cmp_gt_i64_e32 vcc_lo, v[2:3], v[17:18]
	s_delay_alu instid0(VALU_DEP_3) | instskip(NEXT) | instid1(VALU_DEP_1)
	v_add_co_u32 v4, s0, v4, v8
	v_add_co_ci_u32_e64 v5, s0, 0, v5, s0
	v_cndmask_b32_e64 v7, 0, 1, vcc_lo
	s_delay_alu instid0(VALU_DEP_3) | instskip(NEXT) | instid1(VALU_DEP_3)
	v_add_co_u32 v4, vcc_lo, v4, v9
	v_add_co_ci_u32_e32 v5, vcc_lo, 0, v5, vcc_lo
	s_waitcnt lgkmcnt(0)
	v_cmp_gt_i64_e32 vcc_lo, v[2:3], v[19:20]
	s_delay_alu instid0(VALU_DEP_3) | instskip(NEXT) | instid1(VALU_DEP_1)
	v_add_co_u32 v4, s0, v4, v10
	v_add_co_ci_u32_e64 v5, s0, 0, v5, s0
	v_cndmask_b32_e64 v8, 0, 1, vcc_lo
	s_delay_alu instid0(VALU_DEP_3) | instskip(NEXT) | instid1(VALU_DEP_3)
	v_add_co_u32 v4, vcc_lo, v4, v11
	v_add_co_ci_u32_e32 v5, vcc_lo, 0, v5, vcc_lo
	v_cmp_gt_i64_e32 vcc_lo, v[2:3], v[21:22]
	s_delay_alu instid0(VALU_DEP_3) | instskip(NEXT) | instid1(VALU_DEP_1)
	v_add_co_u32 v4, s0, v4, v7
	v_add_co_ci_u32_e64 v5, s0, 0, v5, s0
	v_cndmask_b32_e64 v7, 0, 1, vcc_lo
	s_delay_alu instid0(VALU_DEP_3) | instskip(NEXT) | instid1(VALU_DEP_3)
	v_add_co_u32 v4, vcc_lo, v4, v8
	v_add_co_ci_u32_e32 v5, vcc_lo, 0, v5, vcc_lo
	s_delay_alu instid0(VALU_DEP_2) | instskip(NEXT) | instid1(VALU_DEP_2)
	v_add_co_u32 v4, vcc_lo, v4, v7
	v_add_co_ci_u32_e32 v5, vcc_lo, 0, v5, vcc_lo
	s_cbranch_scc0 .LBB85_64
; %bb.65:                               ;   in Loop: Header=BB85_62 Depth=1
	s_mov_b64 s[0:1], s[2:3]
.LBB85_66:                              ;   in Loop: Header=BB85_62 Depth=1
	s_and_not1_b32 vcc_lo, exec_lo, s13
	s_cbranch_vccnz .LBB85_61
; %bb.67:                               ;   in Loop: Header=BB85_62 Depth=1
	s_lshl_b32 s0, s0, 3
	s_delay_alu instid0(SALU_CYCLE_1)
	s_add_i32 s10, s0, 0
	s_mov_b64 s[0:1], s[6:7]
.LBB85_68:                              ;   Parent Loop BB85_62 Depth=1
                                        ; =>  This Inner Loop Header: Depth=2
	v_mov_b32_e32 v7, s10
	s_add_i32 s10, s10, 8
	s_add_u32 s0, s0, -1
	s_addc_u32 s1, s1, -1
	s_delay_alu instid0(SALU_CYCLE_1) | instskip(SKIP_4) | instid1(VALU_DEP_1)
	s_cmp_lg_u64 s[0:1], 0
	ds_load_b64 v[7:8], v7
	s_waitcnt lgkmcnt(0)
	v_cmp_gt_i64_e32 vcc_lo, v[2:3], v[7:8]
	v_cndmask_b32_e64 v7, 0, 1, vcc_lo
	v_add_co_u32 v4, vcc_lo, v4, v7
	v_add_co_ci_u32_e32 v5, vcc_lo, 0, v5, vcc_lo
	s_cbranch_scc1 .LBB85_68
	s_branch .LBB85_61
.LBB85_69:
	s_nop 0
	s_sendmsg sendmsg(MSG_DEALLOC_VGPRS)
	s_endpgm
	.section	.rodata,"a",@progbits
	.p2align	6, 0x0
	.amdhsa_kernel _ZN9rocsparseL41csrgemm_numeric_fill_block_per_row_kernelILj256ELj32ELj512ELj137ELj64EllfEEvT5_PKS1_S3_NS_24const_host_device_scalarIT6_EEPKT4_S3_PKS5_S9_S3_SB_S6_S9_S3_SB_S9_S3_PS5_21rocsparse_index_base_SD_SD_SD_bbb
		.amdhsa_group_segment_fixed_size 0
		.amdhsa_private_segment_fixed_size 0
		.amdhsa_kernarg_size 156
		.amdhsa_user_sgpr_count 15
		.amdhsa_user_sgpr_dispatch_ptr 0
		.amdhsa_user_sgpr_queue_ptr 0
		.amdhsa_user_sgpr_kernarg_segment_ptr 1
		.amdhsa_user_sgpr_dispatch_id 0
		.amdhsa_user_sgpr_private_segment_size 0
		.amdhsa_wavefront_size32 1
		.amdhsa_uses_dynamic_stack 0
		.amdhsa_enable_private_segment 0
		.amdhsa_system_sgpr_workgroup_id_x 1
		.amdhsa_system_sgpr_workgroup_id_y 0
		.amdhsa_system_sgpr_workgroup_id_z 0
		.amdhsa_system_sgpr_workgroup_info 0
		.amdhsa_system_vgpr_workitem_id 0
		.amdhsa_next_free_vgpr 23
		.amdhsa_next_free_sgpr 43
		.amdhsa_reserve_vcc 1
		.amdhsa_float_round_mode_32 0
		.amdhsa_float_round_mode_16_64 0
		.amdhsa_float_denorm_mode_32 3
		.amdhsa_float_denorm_mode_16_64 3
		.amdhsa_dx10_clamp 1
		.amdhsa_ieee_mode 1
		.amdhsa_fp16_overflow 0
		.amdhsa_workgroup_processor_mode 1
		.amdhsa_memory_ordered 1
		.amdhsa_forward_progress 0
		.amdhsa_shared_vgpr_count 0
		.amdhsa_exception_fp_ieee_invalid_op 0
		.amdhsa_exception_fp_denorm_src 0
		.amdhsa_exception_fp_ieee_div_zero 0
		.amdhsa_exception_fp_ieee_overflow 0
		.amdhsa_exception_fp_ieee_underflow 0
		.amdhsa_exception_fp_ieee_inexact 0
		.amdhsa_exception_int_div_zero 0
	.end_amdhsa_kernel
	.section	.text._ZN9rocsparseL41csrgemm_numeric_fill_block_per_row_kernelILj256ELj32ELj512ELj137ELj64EllfEEvT5_PKS1_S3_NS_24const_host_device_scalarIT6_EEPKT4_S3_PKS5_S9_S3_SB_S6_S9_S3_SB_S9_S3_PS5_21rocsparse_index_base_SD_SD_SD_bbb,"axG",@progbits,_ZN9rocsparseL41csrgemm_numeric_fill_block_per_row_kernelILj256ELj32ELj512ELj137ELj64EllfEEvT5_PKS1_S3_NS_24const_host_device_scalarIT6_EEPKT4_S3_PKS5_S9_S3_SB_S6_S9_S3_SB_S9_S3_PS5_21rocsparse_index_base_SD_SD_SD_bbb,comdat
.Lfunc_end85:
	.size	_ZN9rocsparseL41csrgemm_numeric_fill_block_per_row_kernelILj256ELj32ELj512ELj137ELj64EllfEEvT5_PKS1_S3_NS_24const_host_device_scalarIT6_EEPKT4_S3_PKS5_S9_S3_SB_S6_S9_S3_SB_S9_S3_PS5_21rocsparse_index_base_SD_SD_SD_bbb, .Lfunc_end85-_ZN9rocsparseL41csrgemm_numeric_fill_block_per_row_kernelILj256ELj32ELj512ELj137ELj64EllfEEvT5_PKS1_S3_NS_24const_host_device_scalarIT6_EEPKT4_S3_PKS5_S9_S3_SB_S6_S9_S3_SB_S9_S3_PS5_21rocsparse_index_base_SD_SD_SD_bbb
                                        ; -- End function
	.section	.AMDGPU.csdata,"",@progbits
; Kernel info:
; codeLenInByte = 2980
; NumSgprs: 45
; NumVgprs: 23
; ScratchSize: 0
; MemoryBound: 0
; FloatMode: 240
; IeeeMode: 1
; LDSByteSize: 0 bytes/workgroup (compile time only)
; SGPRBlocks: 5
; VGPRBlocks: 2
; NumSGPRsForWavesPerEU: 45
; NumVGPRsForWavesPerEU: 23
; Occupancy: 16
; WaveLimiterHint : 1
; COMPUTE_PGM_RSRC2:SCRATCH_EN: 0
; COMPUTE_PGM_RSRC2:USER_SGPR: 15
; COMPUTE_PGM_RSRC2:TRAP_HANDLER: 0
; COMPUTE_PGM_RSRC2:TGID_X_EN: 1
; COMPUTE_PGM_RSRC2:TGID_Y_EN: 0
; COMPUTE_PGM_RSRC2:TGID_Z_EN: 0
; COMPUTE_PGM_RSRC2:TIDIG_COMP_CNT: 0
	.section	.text._ZN9rocsparseL41csrgemm_numeric_fill_block_per_row_kernelILj512ELj32ELj1024ELj137ELj32EllfEEvT5_PKS1_S3_NS_24const_host_device_scalarIT6_EEPKT4_S3_PKS5_S9_S3_SB_S6_S9_S3_SB_S9_S3_PS5_21rocsparse_index_base_SD_SD_SD_bbb,"axG",@progbits,_ZN9rocsparseL41csrgemm_numeric_fill_block_per_row_kernelILj512ELj32ELj1024ELj137ELj32EllfEEvT5_PKS1_S3_NS_24const_host_device_scalarIT6_EEPKT4_S3_PKS5_S9_S3_SB_S6_S9_S3_SB_S9_S3_PS5_21rocsparse_index_base_SD_SD_SD_bbb,comdat
	.globl	_ZN9rocsparseL41csrgemm_numeric_fill_block_per_row_kernelILj512ELj32ELj1024ELj137ELj32EllfEEvT5_PKS1_S3_NS_24const_host_device_scalarIT6_EEPKT4_S3_PKS5_S9_S3_SB_S6_S9_S3_SB_S9_S3_PS5_21rocsparse_index_base_SD_SD_SD_bbb ; -- Begin function _ZN9rocsparseL41csrgemm_numeric_fill_block_per_row_kernelILj512ELj32ELj1024ELj137ELj32EllfEEvT5_PKS1_S3_NS_24const_host_device_scalarIT6_EEPKT4_S3_PKS5_S9_S3_SB_S6_S9_S3_SB_S9_S3_PS5_21rocsparse_index_base_SD_SD_SD_bbb
	.p2align	8
	.type	_ZN9rocsparseL41csrgemm_numeric_fill_block_per_row_kernelILj512ELj32ELj1024ELj137ELj32EllfEEvT5_PKS1_S3_NS_24const_host_device_scalarIT6_EEPKT4_S3_PKS5_S9_S3_SB_S6_S9_S3_SB_S9_S3_PS5_21rocsparse_index_base_SD_SD_SD_bbb,@function
_ZN9rocsparseL41csrgemm_numeric_fill_block_per_row_kernelILj512ELj32ELj1024ELj137ELj32EllfEEvT5_PKS1_S3_NS_24const_host_device_scalarIT6_EEPKT4_S3_PKS5_S9_S3_SB_S6_S9_S3_SB_S9_S3_PS5_21rocsparse_index_base_SD_SD_SD_bbb: ; @_ZN9rocsparseL41csrgemm_numeric_fill_block_per_row_kernelILj512ELj32ELj1024ELj137ELj32EllfEEvT5_PKS1_S3_NS_24const_host_device_scalarIT6_EEPKT4_S3_PKS5_S9_S3_SB_S6_S9_S3_SB_S9_S3_PS5_21rocsparse_index_base_SD_SD_SD_bbb
; %bb.0:
	s_clause 0x3
	s_load_b32 s3, s[0:1], 0x98
	s_load_b128 s[20:23], s[0:1], 0x88
	s_load_b64 s[4:5], s[0:1], 0x18
	s_load_b64 s[36:37], s[0:1], 0x50
	s_mov_b32 s2, s15
	s_waitcnt lgkmcnt(0)
	s_bitcmp1_b32 s3, 0
	s_cselect_b32 s38, -1, 0
	s_bitcmp1_b32 s3, 16
	s_cselect_b32 s39, -1, 0
	s_xor_b32 s6, s38, -1
	s_delay_alu instid0(SALU_CYCLE_1) | instskip(NEXT) | instid1(SALU_CYCLE_1)
	s_or_b32 s6, s6, s39
	s_and_b32 vcc_lo, exec_lo, s6
	s_cbranch_vccnz .LBB86_2
; %bb.1:
	s_load_b32 s4, s[4:5], 0x0
	s_waitcnt lgkmcnt(0)
	v_mov_b32_e32 v16, s4
	s_branch .LBB86_3
.LBB86_2:
	v_cndmask_b32_e64 v16, 0, s4, s38
.LBB86_3:
	s_clause 0x4
	s_load_b64 s[34:35], s[0:1], 0x80
	s_load_b256 s[12:19], s[0:1], 0x58
	s_load_b128 s[24:27], s[0:1], 0x40
	s_load_b128 s[28:31], s[0:1], 0x8
	s_load_b256 s[4:11], s[0:1], 0x20
	s_bitcmp1_b32 s3, 8
	s_cselect_b32 s33, -1, 0
	s_delay_alu instid0(SALU_CYCLE_1) | instskip(NEXT) | instid1(SALU_CYCLE_1)
	s_xor_b32 s3, s33, -1
	s_or_b32 s3, s3, s39
	s_delay_alu instid0(SALU_CYCLE_1)
	s_and_b32 vcc_lo, exec_lo, s3
	s_cbranch_vccnz .LBB86_5
; %bb.4:
	s_load_b32 s3, s[36:37], 0x0
	s_waitcnt lgkmcnt(0)
	v_mov_b32_e32 v14, s3
	s_branch .LBB86_6
.LBB86_5:
	v_cndmask_b32_e64 v14, 0, s36, s33
.LBB86_6:
	s_load_b64 s[36:37], s[0:1], 0x0
	v_lshl_add_u32 v11, v0, 3, 0
	v_lshlrev_b32_e32 v1, 2, v0
	v_or_b32_e32 v12, 0xfffffe00, v0
	v_mov_b32_e32 v3, 0
	s_mov_b32 s0, 0
	v_mov_b32_e32 v4, v11
	v_add3_u32 v13, v1, 0, 0x2000
	s_delay_alu instid0(VALU_DEP_1)
	v_dual_mov_b32 v5, v12 :: v_dual_mov_b32 v6, v13
	s_waitcnt lgkmcnt(0)
	v_dual_mov_b32 v1, s36 :: v_dual_mov_b32 v2, s37
.LBB86_7:                               ; =>This Inner Loop Header: Depth=1
	s_delay_alu instid0(VALU_DEP_2) | instskip(NEXT) | instid1(VALU_DEP_1)
	v_add_co_u32 v5, s1, 0x200, v5
	s_xor_b32 s1, s1, -1
	ds_store_b64 v4, v[1:2]
	ds_store_b32 v6, v3
	v_add_nc_u32_e32 v6, 0x800, v6
	v_add_nc_u32_e32 v4, 0x1000, v4
	s_and_b32 s1, exec_lo, s1
	s_delay_alu instid0(SALU_CYCLE_1) | instskip(NEXT) | instid1(SALU_CYCLE_1)
	s_or_b32 s0, s1, s0
	s_and_not1_b32 exec_lo, exec_lo, s0
	s_cbranch_execnz .LBB86_7
; %bb.8:
	s_or_b32 exec_lo, exec_lo, s0
	s_waitcnt lgkmcnt(0)
	s_barrier
	buffer_gl0_inv
	s_load_b64 s[0:1], s[28:29], 0x0
	s_mov_b32 s3, 0
	v_lshrrev_b32_e32 v15, 5, v0
	s_waitcnt lgkmcnt(0)
	s_lshl_b64 s[0:1], s[0:1], 3
	s_delay_alu instid0(SALU_CYCLE_1) | instskip(SKIP_2) | instid1(SALU_CYCLE_1)
	s_add_u32 s28, s30, s0
	s_addc_u32 s29, s31, s1
	s_lshl_b64 s[0:1], s[2:3], 3
	s_add_u32 s0, s28, s0
	s_addc_u32 s1, s29, s1
	s_and_b32 vcc_lo, exec_lo, s38
	s_load_b64 s[28:29], s[0:1], 0x0
	s_cbranch_vccz .LBB86_28
; %bb.9:
	s_waitcnt lgkmcnt(0)
	s_lshl_b64 s[0:1], s[28:29], 3
	s_delay_alu instid0(SALU_CYCLE_1)
	s_add_u32 s0, s4, s0
	s_addc_u32 s1, s5, s1
	v_sub_co_u32 v1, s4, v15, s20
	s_load_b128 s[0:3], s[0:1], 0x0
	v_sub_co_ci_u32_e64 v2, null, 0, 0, s4
	s_waitcnt lgkmcnt(0)
	s_delay_alu instid0(VALU_DEP_2) | instskip(NEXT) | instid1(VALU_DEP_2)
	v_add_co_u32 v1, vcc_lo, s0, v1
	v_add_co_ci_u32_e32 v2, vcc_lo, s1, v2, vcc_lo
	s_sub_u32 s0, s2, s20
	s_subb_u32 s1, s3, 0
	s_mov_b32 s2, exec_lo
	s_delay_alu instid0(VALU_DEP_1)
	v_cmpx_gt_i64_e64 s[0:1], v[1:2]
	s_cbranch_execz .LBB86_27
; %bb.10:
	v_and_b32_e32 v3, 31, v0
	s_mov_b32 s4, s21
	s_delay_alu instid0(VALU_DEP_1) | instskip(NEXT) | instid1(VALU_DEP_1)
	v_sub_co_u32 v17, s3, v3, s21
	v_sub_co_ci_u32_e64 v18, null, 0, 0, s3
	s_mov_b32 s3, 0
	s_branch .LBB86_12
.LBB86_11:                              ;   in Loop: Header=BB86_12 Depth=1
	s_or_b32 exec_lo, exec_lo, s5
	v_add_co_u32 v1, vcc_lo, v1, 16
	v_add_co_ci_u32_e32 v2, vcc_lo, 0, v2, vcc_lo
	s_delay_alu instid0(VALU_DEP_1) | instskip(SKIP_1) | instid1(SALU_CYCLE_1)
	v_cmp_le_i64_e32 vcc_lo, s[0:1], v[1:2]
	s_or_b32 s3, vcc_lo, s3
	s_and_not1_b32 exec_lo, exec_lo, s3
	s_cbranch_execz .LBB86_27
.LBB86_12:                              ; =>This Loop Header: Depth=1
                                        ;     Child Loop BB86_15 Depth 2
                                        ;       Child Loop BB86_17 Depth 3
	v_lshlrev_b64 v[3:4], 3, v[1:2]
	s_mov_b32 s5, exec_lo
	s_delay_alu instid0(VALU_DEP_1) | instskip(NEXT) | instid1(VALU_DEP_2)
	v_add_co_u32 v3, vcc_lo, s6, v3
	v_add_co_ci_u32_e32 v4, vcc_lo, s7, v4, vcc_lo
	global_load_b64 v[3:4], v[3:4], off
	s_waitcnt vmcnt(0)
	v_sub_co_u32 v3, vcc_lo, v3, s20
	v_subrev_co_ci_u32_e32 v4, vcc_lo, 0, v4, vcc_lo
	s_delay_alu instid0(VALU_DEP_1) | instskip(NEXT) | instid1(VALU_DEP_1)
	v_lshlrev_b64 v[3:4], 3, v[3:4]
	v_add_co_u32 v3, vcc_lo, s10, v3
	s_delay_alu instid0(VALU_DEP_2)
	v_add_co_ci_u32_e32 v4, vcc_lo, s11, v4, vcc_lo
	global_load_b128 v[5:8], v[3:4], off
	s_waitcnt vmcnt(0)
	v_sub_co_u32 v3, vcc_lo, v7, s4
	v_subrev_co_ci_u32_e32 v4, vcc_lo, 0, v8, vcc_lo
	v_add_co_u32 v5, vcc_lo, v5, v17
	v_add_co_ci_u32_e32 v6, vcc_lo, v6, v18, vcc_lo
	s_delay_alu instid0(VALU_DEP_1)
	v_cmpx_lt_i64_e64 v[5:6], v[3:4]
	s_cbranch_execz .LBB86_11
; %bb.13:                               ;   in Loop: Header=BB86_12 Depth=1
	v_lshlrev_b64 v[7:8], 2, v[1:2]
	s_mov_b32 s21, 0
	s_delay_alu instid0(VALU_DEP_1) | instskip(NEXT) | instid1(VALU_DEP_2)
	v_add_co_u32 v7, vcc_lo, s8, v7
	v_add_co_ci_u32_e32 v8, vcc_lo, s9, v8, vcc_lo
	global_load_b32 v7, v[7:8], off
	s_waitcnt vmcnt(0)
	v_mul_f32_e32 v19, v16, v7
	s_branch .LBB86_15
.LBB86_14:                              ;   in Loop: Header=BB86_15 Depth=2
	s_or_b32 exec_lo, exec_lo, s30
	v_add_co_u32 v5, vcc_lo, v5, 32
	v_add_co_ci_u32_e32 v6, vcc_lo, 0, v6, vcc_lo
	s_delay_alu instid0(VALU_DEP_1) | instskip(SKIP_1) | instid1(SALU_CYCLE_1)
	v_cmp_ge_i64_e32 vcc_lo, v[5:6], v[3:4]
	s_or_b32 s21, vcc_lo, s21
	s_and_not1_b32 exec_lo, exec_lo, s21
	s_cbranch_execz .LBB86_11
.LBB86_15:                              ;   Parent Loop BB86_12 Depth=1
                                        ; =>  This Loop Header: Depth=2
                                        ;       Child Loop BB86_17 Depth 3
	v_lshlrev_b64 v[7:8], 3, v[5:6]
	v_lshlrev_b64 v[9:10], 2, v[5:6]
	s_mov_b32 s30, 0
	s_delay_alu instid0(VALU_DEP_2) | instskip(NEXT) | instid1(VALU_DEP_3)
	v_add_co_u32 v7, vcc_lo, s24, v7
	v_add_co_ci_u32_e32 v8, vcc_lo, s25, v8, vcc_lo
	s_delay_alu instid0(VALU_DEP_3) | instskip(NEXT) | instid1(VALU_DEP_4)
	v_add_co_u32 v9, vcc_lo, s26, v9
	v_add_co_ci_u32_e32 v10, vcc_lo, s27, v10, vcc_lo
	global_load_b64 v[7:8], v[7:8], off
	global_load_b32 v9, v[9:10], off
	s_waitcnt vmcnt(1)
	v_sub_co_u32 v7, vcc_lo, v7, s4
	v_subrev_co_ci_u32_e32 v8, vcc_lo, 0, v8, vcc_lo
	s_delay_alu instid0(VALU_DEP_2) | instskip(SKIP_1) | instid1(VALU_DEP_1)
	v_mul_lo_u32 v10, 0x89, v7
	s_waitcnt vmcnt(0)
	v_dual_mul_f32 v20, v19, v9 :: v_dual_and_b32 v21, 0x3ff, v10
	s_branch .LBB86_17
.LBB86_16:                              ;   in Loop: Header=BB86_17 Depth=3
	s_or_b32 exec_lo, exec_lo, s31
	s_xor_b32 s31, s38, -1
	s_delay_alu instid0(SALU_CYCLE_1) | instskip(NEXT) | instid1(SALU_CYCLE_1)
	s_and_b32 s31, exec_lo, s31
	s_or_b32 s30, s31, s30
	s_delay_alu instid0(SALU_CYCLE_1)
	s_and_not1_b32 exec_lo, exec_lo, s30
	s_cbranch_execz .LBB86_14
.LBB86_17:                              ;   Parent Loop BB86_12 Depth=1
                                        ;     Parent Loop BB86_15 Depth=2
                                        ; =>    This Inner Loop Header: Depth=3
	s_delay_alu instid0(VALU_DEP_1)
	v_lshl_add_u32 v22, v21, 3, 0
	s_mov_b32 s31, exec_lo
                                        ; implicit-def: $sgpr38
	ds_load_b64 v[9:10], v22
	s_waitcnt lgkmcnt(0)
	v_cmpx_ne_u64_e64 v[9:10], v[7:8]
	s_xor_b32 s31, exec_lo, s31
	s_cbranch_execz .LBB86_25
; %bb.18:                               ;   in Loop: Header=BB86_17 Depth=3
	s_mov_b32 s39, exec_lo
                                        ; implicit-def: $sgpr38
	v_cmpx_ne_u64_e64 s[36:37], v[9:10]
	s_xor_b32 s39, exec_lo, s39
; %bb.19:                               ;   in Loop: Header=BB86_17 Depth=3
	v_add_nc_u32_e32 v9, 1, v21
	s_mov_b32 s38, -1
                                        ; implicit-def: $vgpr22
	s_delay_alu instid0(VALU_DEP_1)
	v_and_b32_e32 v21, 0x3ff, v9
; %bb.20:                               ;   in Loop: Header=BB86_17 Depth=3
	s_and_not1_saveexec_b32 s39, s39
	s_cbranch_execz .LBB86_24
; %bb.21:                               ;   in Loop: Header=BB86_17 Depth=3
	v_dual_mov_b32 v9, s36 :: v_dual_mov_b32 v10, s37
	s_mov_b32 s40, -1
	s_mov_b32 s41, exec_lo
	ds_cmpstore_rtn_b64 v[9:10], v22, v[7:8], v[9:10]
	s_waitcnt lgkmcnt(0)
	v_cmpx_eq_u64_e64 s[36:37], v[9:10]
	s_cbranch_execz .LBB86_23
; %bb.22:                               ;   in Loop: Header=BB86_17 Depth=3
	v_lshlrev_b32_e32 v9, 2, v21
	s_xor_b32 s40, exec_lo, -1
	s_delay_alu instid0(VALU_DEP_1)
	v_sub_nc_u32_e32 v9, v22, v9
	ds_add_f32 v9, v20 offset:8192
.LBB86_23:                              ;   in Loop: Header=BB86_17 Depth=3
	s_or_b32 exec_lo, exec_lo, s41
	s_delay_alu instid0(SALU_CYCLE_1) | instskip(SKIP_1) | instid1(SALU_CYCLE_1)
	s_and_not1_b32 s38, s38, exec_lo
	s_and_b32 s40, s40, exec_lo
	s_or_b32 s38, s38, s40
.LBB86_24:                              ;   in Loop: Header=BB86_17 Depth=3
	s_or_b32 exec_lo, exec_lo, s39
	s_delay_alu instid0(SALU_CYCLE_1)
	s_and_b32 s38, s38, exec_lo
                                        ; implicit-def: $vgpr22
.LBB86_25:                              ;   in Loop: Header=BB86_17 Depth=3
	s_and_not1_saveexec_b32 s31, s31
	s_cbranch_execz .LBB86_16
; %bb.26:                               ;   in Loop: Header=BB86_17 Depth=3
	v_lshlrev_b32_e32 v9, 2, v21
	s_and_not1_b32 s38, s38, exec_lo
	s_delay_alu instid0(VALU_DEP_1)
	v_sub_nc_u32_e32 v9, v22, v9
	ds_add_f32 v9, v20 offset:8192
	s_branch .LBB86_16
.LBB86_27:
	s_or_b32 exec_lo, exec_lo, s2
.LBB86_28:
	s_delay_alu instid0(SALU_CYCLE_1)
	s_and_not1_b32 vcc_lo, exec_lo, s33
	s_cbranch_vccnz .LBB86_45
; %bb.29:
	s_waitcnt lgkmcnt(0)
	s_lshl_b64 s[0:1], s[28:29], 3
	v_sub_co_u32 v1, s4, v0, s23
	s_add_u32 s0, s12, s0
	s_addc_u32 s1, s13, s1
	v_sub_co_ci_u32_e64 v2, null, 0, 0, s4
	s_load_b128 s[0:3], s[0:1], 0x0
	s_waitcnt lgkmcnt(0)
	v_add_co_u32 v1, vcc_lo, s0, v1
	s_delay_alu instid0(VALU_DEP_2)
	v_add_co_ci_u32_e32 v2, vcc_lo, s1, v2, vcc_lo
	s_sub_u32 s0, s2, s23
	s_subb_u32 s1, s3, 0
	s_mov_b32 s2, 0
	s_mov_b32 s3, exec_lo
	v_cmpx_gt_i64_e64 s[0:1], v[1:2]
	s_cbranch_execz .LBB86_44
; %bb.30:
	s_mov_b32 s4, s23
	s_branch .LBB86_32
.LBB86_31:                              ;   in Loop: Header=BB86_32 Depth=1
	s_or_b32 exec_lo, exec_lo, s5
	v_add_co_u32 v1, vcc_lo, 0x200, v1
	v_add_co_ci_u32_e32 v2, vcc_lo, 0, v2, vcc_lo
	s_delay_alu instid0(VALU_DEP_1) | instskip(SKIP_1) | instid1(SALU_CYCLE_1)
	v_cmp_le_i64_e32 vcc_lo, s[0:1], v[1:2]
	s_or_b32 s2, vcc_lo, s2
	s_and_not1_b32 exec_lo, exec_lo, s2
	s_cbranch_execz .LBB86_44
.LBB86_32:                              ; =>This Loop Header: Depth=1
                                        ;     Child Loop BB86_34 Depth 2
	v_lshlrev_b64 v[3:4], 3, v[1:2]
	v_lshlrev_b64 v[5:6], 2, v[1:2]
	s_mov_b32 s5, 0
	s_delay_alu instid0(VALU_DEP_2) | instskip(NEXT) | instid1(VALU_DEP_3)
	v_add_co_u32 v3, vcc_lo, s14, v3
	v_add_co_ci_u32_e32 v4, vcc_lo, s15, v4, vcc_lo
	s_delay_alu instid0(VALU_DEP_3) | instskip(NEXT) | instid1(VALU_DEP_4)
	v_add_co_u32 v5, vcc_lo, s16, v5
	v_add_co_ci_u32_e32 v6, vcc_lo, s17, v6, vcc_lo
	global_load_b64 v[3:4], v[3:4], off
	global_load_b32 v5, v[5:6], off
	s_waitcnt vmcnt(1)
	v_sub_co_u32 v3, vcc_lo, v3, s4
	v_subrev_co_ci_u32_e32 v4, vcc_lo, 0, v4, vcc_lo
	s_delay_alu instid0(VALU_DEP_2) | instskip(SKIP_1) | instid1(VALU_DEP_1)
	v_mul_lo_u32 v6, 0x89, v3
	s_waitcnt vmcnt(0)
	v_dual_mul_f32 v7, v14, v5 :: v_dual_and_b32 v8, 0x3ff, v6
	s_branch .LBB86_34
.LBB86_33:                              ;   in Loop: Header=BB86_34 Depth=2
	s_or_b32 exec_lo, exec_lo, s6
	s_xor_b32 s6, s7, -1
	s_delay_alu instid0(SALU_CYCLE_1) | instskip(NEXT) | instid1(SALU_CYCLE_1)
	s_and_b32 s6, exec_lo, s6
	s_or_b32 s5, s6, s5
	s_delay_alu instid0(SALU_CYCLE_1)
	s_and_not1_b32 exec_lo, exec_lo, s5
	s_cbranch_execz .LBB86_31
.LBB86_34:                              ;   Parent Loop BB86_32 Depth=1
                                        ; =>  This Inner Loop Header: Depth=2
	s_delay_alu instid0(VALU_DEP_1)
	v_lshl_add_u32 v9, v8, 3, 0
	s_mov_b32 s6, exec_lo
                                        ; implicit-def: $sgpr7
	ds_load_b64 v[5:6], v9
	s_waitcnt lgkmcnt(0)
	v_cmpx_ne_u64_e64 v[5:6], v[3:4]
	s_xor_b32 s6, exec_lo, s6
	s_cbranch_execz .LBB86_42
; %bb.35:                               ;   in Loop: Header=BB86_34 Depth=2
	s_mov_b32 s8, exec_lo
                                        ; implicit-def: $sgpr7
	v_cmpx_ne_u64_e64 s[36:37], v[5:6]
	s_xor_b32 s8, exec_lo, s8
; %bb.36:                               ;   in Loop: Header=BB86_34 Depth=2
	v_add_nc_u32_e32 v5, 1, v8
	s_mov_b32 s7, -1
                                        ; implicit-def: $vgpr9
	s_delay_alu instid0(VALU_DEP_1)
	v_and_b32_e32 v8, 0x3ff, v5
; %bb.37:                               ;   in Loop: Header=BB86_34 Depth=2
	s_and_not1_saveexec_b32 s8, s8
	s_cbranch_execz .LBB86_41
; %bb.38:                               ;   in Loop: Header=BB86_34 Depth=2
	v_dual_mov_b32 v5, s36 :: v_dual_mov_b32 v6, s37
	s_mov_b32 s9, -1
	s_mov_b32 s10, exec_lo
	ds_cmpstore_rtn_b64 v[5:6], v9, v[3:4], v[5:6]
	s_waitcnt lgkmcnt(0)
	v_cmpx_eq_u64_e64 s[36:37], v[5:6]
	s_cbranch_execz .LBB86_40
; %bb.39:                               ;   in Loop: Header=BB86_34 Depth=2
	v_lshlrev_b32_e32 v5, 2, v8
	s_xor_b32 s9, exec_lo, -1
	s_delay_alu instid0(VALU_DEP_1)
	v_sub_nc_u32_e32 v5, v9, v5
	ds_add_f32 v5, v7 offset:8192
.LBB86_40:                              ;   in Loop: Header=BB86_34 Depth=2
	s_or_b32 exec_lo, exec_lo, s10
	s_delay_alu instid0(SALU_CYCLE_1) | instskip(SKIP_1) | instid1(SALU_CYCLE_1)
	s_and_not1_b32 s7, s7, exec_lo
	s_and_b32 s9, s9, exec_lo
	s_or_b32 s7, s7, s9
.LBB86_41:                              ;   in Loop: Header=BB86_34 Depth=2
	s_or_b32 exec_lo, exec_lo, s8
	s_delay_alu instid0(SALU_CYCLE_1)
	s_and_b32 s7, s7, exec_lo
                                        ; implicit-def: $vgpr9
.LBB86_42:                              ;   in Loop: Header=BB86_34 Depth=2
	s_and_not1_saveexec_b32 s6, s6
	s_cbranch_execz .LBB86_33
; %bb.43:                               ;   in Loop: Header=BB86_34 Depth=2
	v_lshlrev_b32_e32 v5, 2, v8
	s_and_not1_b32 s7, s7, exec_lo
	s_delay_alu instid0(VALU_DEP_1)
	v_sub_nc_u32_e32 v5, v9, v5
	ds_add_f32 v5, v7 offset:8192
	s_branch .LBB86_33
.LBB86_44:
	s_or_b32 exec_lo, exec_lo, s3
.LBB86_45:
	v_mbcnt_lo_u32_b32 v1, -1, 0
	v_lshl_add_u32 v10, v15, 3, 0
	v_cmp_eq_u32_e32 vcc_lo, 0x1ff, v0
	v_cmp_lt_u32_e64 s0, 31, v0
	v_cmp_lt_u32_e64 s1, 63, v0
	v_xor_b32_e32 v1, 63, v1
	v_cmp_lt_u32_e64 s2, 0x5f, v0
	v_cmp_lt_u32_e64 s3, 0x7f, v0
	;; [unrolled: 1-line block ×4, first 2 shown]
	v_lshrrev_b64 v[1:2], v1, -1
	v_dual_mov_b32 v2, 0 :: v_dual_mov_b32 v5, 0
	v_cmp_lt_u32_e64 s6, 0xdf, v0
	v_cmp_lt_u32_e64 s7, 0xff, v0
	;; [unrolled: 1-line block ×9, first 2 shown]
	v_mov_b32_e32 v3, 0
	s_mov_b32 s16, 0
	s_waitcnt lgkmcnt(0)
	s_barrier
	buffer_gl0_inv
	s_branch .LBB86_47
.LBB86_46:                              ;   in Loop: Header=BB86_47 Depth=1
	s_or_b32 exec_lo, exec_lo, s15
	s_waitcnt lgkmcnt(0)
	s_barrier
	buffer_gl0_inv
	ds_load_b64 v[6:7], v5 offset:12408
	v_add_co_u32 v12, s15, 0x200, v12
	s_delay_alu instid0(VALU_DEP_1) | instskip(SKIP_4) | instid1(VALU_DEP_1)
	s_xor_b32 s17, s15, -1
	v_add_nc_u32_e32 v13, 0x800, v13
	v_add_nc_u32_e32 v11, 0x1000, v11
	s_waitcnt lgkmcnt(0)
	v_add_co_u32 v2, s15, v6, v2
	v_add_co_ci_u32_e64 v3, s15, v7, v3, s15
	s_and_b32 s15, exec_lo, s17
	s_delay_alu instid0(SALU_CYCLE_1) | instskip(NEXT) | instid1(SALU_CYCLE_1)
	s_or_b32 s16, s15, s16
	s_and_not1_b32 exec_lo, exec_lo, s16
	s_cbranch_execz .LBB86_81
.LBB86_47:                              ; =>This Inner Loop Header: Depth=1
	ds_load_b64 v[6:7], v11
	ds_load_b32 v14, v13
	s_waitcnt lgkmcnt(0)
	s_barrier
	buffer_gl0_inv
	v_cmp_gt_i64_e64 s15, s[36:37], v[6:7]
	s_delay_alu instid0(VALU_DEP_1) | instskip(SKIP_1) | instid1(SALU_CYCLE_1)
	v_and_b32_e32 v8, s15, v1
	s_bcnt1_i32_b32 s17, s15
	v_mov_b32_e32 v4, s17
	s_delay_alu instid0(VALU_DEP_2)
	v_bcnt_u32_b32 v8, v8, 0
	ds_store_b64 v10, v[4:5] offset:12288
	s_waitcnt lgkmcnt(0)
	s_barrier
	buffer_gl0_inv
	s_and_saveexec_b32 s17, s0
	s_cbranch_execnz .LBB86_64
; %bb.48:                               ;   in Loop: Header=BB86_47 Depth=1
	s_or_b32 exec_lo, exec_lo, s17
	s_and_saveexec_b32 s17, s1
	s_cbranch_execnz .LBB86_65
.LBB86_49:                              ;   in Loop: Header=BB86_47 Depth=1
	s_or_b32 exec_lo, exec_lo, s17
	s_and_saveexec_b32 s17, s2
	s_cbranch_execnz .LBB86_66
.LBB86_50:                              ;   in Loop: Header=BB86_47 Depth=1
	s_or_b32 exec_lo, exec_lo, s17
	s_and_saveexec_b32 s17, s3
	s_cbranch_execnz .LBB86_67
.LBB86_51:                              ;   in Loop: Header=BB86_47 Depth=1
	s_or_b32 exec_lo, exec_lo, s17
	s_and_saveexec_b32 s17, s4
	s_cbranch_execnz .LBB86_68
.LBB86_52:                              ;   in Loop: Header=BB86_47 Depth=1
	s_or_b32 exec_lo, exec_lo, s17
	s_and_saveexec_b32 s17, s5
	s_cbranch_execnz .LBB86_69
.LBB86_53:                              ;   in Loop: Header=BB86_47 Depth=1
	s_or_b32 exec_lo, exec_lo, s17
	s_and_saveexec_b32 s17, s6
	s_cbranch_execnz .LBB86_70
.LBB86_54:                              ;   in Loop: Header=BB86_47 Depth=1
	s_or_b32 exec_lo, exec_lo, s17
	s_and_saveexec_b32 s17, s7
	s_cbranch_execnz .LBB86_71
.LBB86_55:                              ;   in Loop: Header=BB86_47 Depth=1
	s_or_b32 exec_lo, exec_lo, s17
	s_and_saveexec_b32 s17, s8
	s_cbranch_execnz .LBB86_72
.LBB86_56:                              ;   in Loop: Header=BB86_47 Depth=1
	s_or_b32 exec_lo, exec_lo, s17
	s_and_saveexec_b32 s17, s9
	s_cbranch_execnz .LBB86_73
.LBB86_57:                              ;   in Loop: Header=BB86_47 Depth=1
	s_or_b32 exec_lo, exec_lo, s17
	s_and_saveexec_b32 s17, s10
	s_cbranch_execnz .LBB86_74
.LBB86_58:                              ;   in Loop: Header=BB86_47 Depth=1
	s_or_b32 exec_lo, exec_lo, s17
	s_and_saveexec_b32 s17, s11
	s_cbranch_execnz .LBB86_75
.LBB86_59:                              ;   in Loop: Header=BB86_47 Depth=1
	s_or_b32 exec_lo, exec_lo, s17
	s_and_saveexec_b32 s17, s12
	s_cbranch_execnz .LBB86_76
.LBB86_60:                              ;   in Loop: Header=BB86_47 Depth=1
	s_or_b32 exec_lo, exec_lo, s17
	s_and_saveexec_b32 s17, s13
	s_cbranch_execnz .LBB86_77
.LBB86_61:                              ;   in Loop: Header=BB86_47 Depth=1
	s_or_b32 exec_lo, exec_lo, s17
	s_and_saveexec_b32 s17, s14
	s_cbranch_execnz .LBB86_78
.LBB86_62:                              ;   in Loop: Header=BB86_47 Depth=1
	s_or_b32 exec_lo, exec_lo, s17
	v_ashrrev_i32_e32 v9, 31, v8
	s_and_saveexec_b32 s17, s15
	s_cbranch_execnz .LBB86_79
.LBB86_63:                              ;   in Loop: Header=BB86_47 Depth=1
	s_or_b32 exec_lo, exec_lo, s17
	s_and_saveexec_b32 s15, vcc_lo
	s_cbranch_execz .LBB86_46
	s_branch .LBB86_80
.LBB86_64:                              ;   in Loop: Header=BB86_47 Depth=1
	ds_load_b32 v4, v5 offset:12288
	s_waitcnt lgkmcnt(0)
	v_add_nc_u32_e32 v8, v4, v8
	s_or_b32 exec_lo, exec_lo, s17
	s_and_saveexec_b32 s17, s1
	s_cbranch_execz .LBB86_49
.LBB86_65:                              ;   in Loop: Header=BB86_47 Depth=1
	ds_load_b32 v4, v5 offset:12296
	s_waitcnt lgkmcnt(0)
	v_add_nc_u32_e32 v8, v8, v4
	s_or_b32 exec_lo, exec_lo, s17
	s_and_saveexec_b32 s17, s2
	s_cbranch_execz .LBB86_50
.LBB86_66:                              ;   in Loop: Header=BB86_47 Depth=1
	ds_load_b32 v4, v5 offset:12304
	s_waitcnt lgkmcnt(0)
	v_add_nc_u32_e32 v8, v8, v4
	s_or_b32 exec_lo, exec_lo, s17
	s_and_saveexec_b32 s17, s3
	s_cbranch_execz .LBB86_51
.LBB86_67:                              ;   in Loop: Header=BB86_47 Depth=1
	ds_load_b32 v4, v5 offset:12312
	s_waitcnt lgkmcnt(0)
	v_add_nc_u32_e32 v8, v8, v4
	s_or_b32 exec_lo, exec_lo, s17
	s_and_saveexec_b32 s17, s4
	s_cbranch_execz .LBB86_52
.LBB86_68:                              ;   in Loop: Header=BB86_47 Depth=1
	ds_load_b32 v4, v5 offset:12320
	s_waitcnt lgkmcnt(0)
	v_add_nc_u32_e32 v8, v8, v4
	s_or_b32 exec_lo, exec_lo, s17
	s_and_saveexec_b32 s17, s5
	s_cbranch_execz .LBB86_53
.LBB86_69:                              ;   in Loop: Header=BB86_47 Depth=1
	ds_load_b32 v4, v5 offset:12328
	s_waitcnt lgkmcnt(0)
	v_add_nc_u32_e32 v8, v8, v4
	s_or_b32 exec_lo, exec_lo, s17
	s_and_saveexec_b32 s17, s6
	s_cbranch_execz .LBB86_54
.LBB86_70:                              ;   in Loop: Header=BB86_47 Depth=1
	ds_load_b32 v4, v5 offset:12336
	s_waitcnt lgkmcnt(0)
	v_add_nc_u32_e32 v8, v8, v4
	s_or_b32 exec_lo, exec_lo, s17
	s_and_saveexec_b32 s17, s7
	s_cbranch_execz .LBB86_55
.LBB86_71:                              ;   in Loop: Header=BB86_47 Depth=1
	ds_load_b32 v4, v5 offset:12344
	s_waitcnt lgkmcnt(0)
	v_add_nc_u32_e32 v8, v8, v4
	s_or_b32 exec_lo, exec_lo, s17
	s_and_saveexec_b32 s17, s8
	s_cbranch_execz .LBB86_56
.LBB86_72:                              ;   in Loop: Header=BB86_47 Depth=1
	ds_load_b32 v4, v5 offset:12352
	s_waitcnt lgkmcnt(0)
	v_add_nc_u32_e32 v8, v8, v4
	s_or_b32 exec_lo, exec_lo, s17
	s_and_saveexec_b32 s17, s9
	s_cbranch_execz .LBB86_57
.LBB86_73:                              ;   in Loop: Header=BB86_47 Depth=1
	ds_load_b32 v4, v5 offset:12360
	s_waitcnt lgkmcnt(0)
	v_add_nc_u32_e32 v8, v8, v4
	s_or_b32 exec_lo, exec_lo, s17
	s_and_saveexec_b32 s17, s10
	s_cbranch_execz .LBB86_58
.LBB86_74:                              ;   in Loop: Header=BB86_47 Depth=1
	ds_load_b32 v4, v5 offset:12368
	s_waitcnt lgkmcnt(0)
	v_add_nc_u32_e32 v8, v8, v4
	s_or_b32 exec_lo, exec_lo, s17
	s_and_saveexec_b32 s17, s11
	s_cbranch_execz .LBB86_59
.LBB86_75:                              ;   in Loop: Header=BB86_47 Depth=1
	ds_load_b32 v4, v5 offset:12376
	s_waitcnt lgkmcnt(0)
	v_add_nc_u32_e32 v8, v8, v4
	s_or_b32 exec_lo, exec_lo, s17
	s_and_saveexec_b32 s17, s12
	s_cbranch_execz .LBB86_60
.LBB86_76:                              ;   in Loop: Header=BB86_47 Depth=1
	ds_load_b32 v4, v5 offset:12384
	s_waitcnt lgkmcnt(0)
	v_add_nc_u32_e32 v8, v8, v4
	s_or_b32 exec_lo, exec_lo, s17
	s_and_saveexec_b32 s17, s13
	s_cbranch_execz .LBB86_61
.LBB86_77:                              ;   in Loop: Header=BB86_47 Depth=1
	ds_load_b32 v4, v5 offset:12392
	s_waitcnt lgkmcnt(0)
	v_add_nc_u32_e32 v8, v8, v4
	s_or_b32 exec_lo, exec_lo, s17
	s_and_saveexec_b32 s17, s14
	s_cbranch_execz .LBB86_62
.LBB86_78:                              ;   in Loop: Header=BB86_47 Depth=1
	ds_load_b32 v4, v5 offset:12400
	s_waitcnt lgkmcnt(0)
	v_add_nc_u32_e32 v8, v8, v4
	s_or_b32 exec_lo, exec_lo, s17
	s_delay_alu instid0(VALU_DEP_1)
	v_ashrrev_i32_e32 v9, 31, v8
	s_and_saveexec_b32 s17, s15
	s_cbranch_execz .LBB86_63
.LBB86_79:                              ;   in Loop: Header=BB86_47 Depth=1
	v_add3_u32 v4, v2, -1, v8
	s_delay_alu instid0(VALU_DEP_1)
	v_lshl_add_u32 v15, v4, 3, 0
	v_lshl_add_u32 v4, v4, 2, 0
	ds_store_b64 v15, v[6:7]
	ds_store_b32 v4, v14 offset:8192
	s_or_b32 exec_lo, exec_lo, s17
	s_and_saveexec_b32 s15, vcc_lo
	s_cbranch_execz .LBB86_46
.LBB86_80:                              ;   in Loop: Header=BB86_47 Depth=1
	ds_store_b64 v5, v[8:9] offset:12408
	s_branch .LBB86_46
.LBB86_81:
	s_or_b32 exec_lo, exec_lo, s16
	s_lshl_b64 s[0:1], s[28:29], 3
	v_mov_b32_e32 v1, 0
	s_add_u32 s0, s18, s0
	s_addc_u32 s1, s19, s1
	s_mov_b32 s6, exec_lo
	s_load_b128 s[0:3], s[0:1], 0x0
	s_waitcnt lgkmcnt(0)
	s_sub_u32 s4, s2, s0
	s_subb_u32 s5, s3, s1
	s_delay_alu instid0(SALU_CYCLE_1)
	v_cmpx_gt_i64_e64 s[4:5], v[0:1]
	s_cbranch_execz .LBB86_91
; %bb.82:
	s_sub_u32 s8, s0, s22
	s_subb_u32 s9, s1, 0
	s_and_b32 s6, s4, 7
	s_sub_u32 s0, s0, s2
	s_subb_u32 s1, s1, s3
	s_mov_b32 s7, 0
	v_cmp_lt_u64_e64 s12, s[0:1], -7
	s_and_b32 s2, s4, -8
	s_cmp_lg_u64 s[6:7], 0
	s_mov_b32 s3, s5
	s_cselect_b32 s13, -1, 0
	s_mov_b32 s14, s7
	s_branch .LBB86_84
.LBB86_83:                              ;   in Loop: Header=BB86_84 Depth=1
	v_add_co_u32 v0, vcc_lo, 0x200, v0
	v_add_co_ci_u32_e32 v1, vcc_lo, 0, v1, vcc_lo
	s_waitcnt lgkmcnt(1)
	v_lshlrev_b64 v[2:3], 2, v[4:5]
	s_delay_alu instid0(VALU_DEP_2) | instskip(NEXT) | instid1(VALU_DEP_2)
	v_cmp_le_i64_e32 vcc_lo, s[4:5], v[0:1]
	v_add_co_u32 v2, s0, s34, v2
	s_delay_alu instid0(VALU_DEP_1)
	v_add_co_ci_u32_e64 v3, s0, s35, v3, s0
	s_or_b32 s14, vcc_lo, s14
	s_waitcnt lgkmcnt(0)
	global_store_b32 v[2:3], v6, off
	s_and_not1_b32 exec_lo, exec_lo, s14
	s_cbranch_execz .LBB86_91
.LBB86_84:                              ; =>This Loop Header: Depth=1
                                        ;     Child Loop BB86_86 Depth 2
                                        ;     Child Loop BB86_90 Depth 2
	v_lshl_add_u32 v2, v0, 3, 0
	v_lshlrev_b32_e32 v3, 2, v0
	s_and_not1_b32 vcc_lo, exec_lo, s12
	s_mov_b64 s[0:1], 0
	s_delay_alu instid0(VALU_DEP_1)
	v_sub_nc_u32_e32 v4, v2, v3
	ds_load_b64 v[2:3], v2
	ds_load_b32 v6, v4 offset:8192
	v_dual_mov_b32 v4, s8 :: v_dual_mov_b32 v5, s9
	s_cbranch_vccnz .LBB86_88
; %bb.85:                               ;   in Loop: Header=BB86_84 Depth=1
	v_dual_mov_b32 v4, s8 :: v_dual_mov_b32 v5, s9
	s_mov_b64 s[10:11], 0
	s_mov_b32 s1, 0
.LBB86_86:                              ;   Parent Loop BB86_84 Depth=1
                                        ; =>  This Inner Loop Header: Depth=2
	s_delay_alu instid0(SALU_CYCLE_1)
	v_mov_b32_e32 v19, s1
	s_add_u32 s10, s10, 8
	s_addc_u32 s11, s11, 0
	s_add_i32 s1, s1, 64
	s_cmp_eq_u64 s[2:3], s[10:11]
	ds_load_2addr_b64 v[7:10], v19 offset1:1
	ds_load_2addr_b64 v[11:14], v19 offset0:2 offset1:3
	ds_load_2addr_b64 v[15:18], v19 offset0:4 offset1:5
	;; [unrolled: 1-line block ×3, first 2 shown]
	s_waitcnt lgkmcnt(3)
	v_cmp_gt_i64_e32 vcc_lo, v[2:3], v[7:8]
	v_cndmask_b32_e64 v7, 0, 1, vcc_lo
	v_cmp_gt_i64_e32 vcc_lo, v[2:3], v[9:10]
	v_cndmask_b32_e64 v8, 0, 1, vcc_lo
	s_waitcnt lgkmcnt(2)
	v_cmp_gt_i64_e32 vcc_lo, v[2:3], v[11:12]
	v_cndmask_b32_e64 v9, 0, 1, vcc_lo
	v_cmp_gt_i64_e32 vcc_lo, v[2:3], v[13:14]
	v_cndmask_b32_e64 v10, 0, 1, vcc_lo
	s_waitcnt lgkmcnt(1)
	v_cmp_gt_i64_e32 vcc_lo, v[2:3], v[15:16]
	v_cndmask_b32_e64 v11, 0, 1, vcc_lo
	v_add_co_u32 v4, vcc_lo, v4, v7
	v_add_co_ci_u32_e32 v5, vcc_lo, 0, v5, vcc_lo
	v_cmp_gt_i64_e32 vcc_lo, v[2:3], v[17:18]
	s_delay_alu instid0(VALU_DEP_3) | instskip(NEXT) | instid1(VALU_DEP_1)
	v_add_co_u32 v4, s0, v4, v8
	v_add_co_ci_u32_e64 v5, s0, 0, v5, s0
	v_cndmask_b32_e64 v7, 0, 1, vcc_lo
	s_delay_alu instid0(VALU_DEP_3) | instskip(NEXT) | instid1(VALU_DEP_3)
	v_add_co_u32 v4, vcc_lo, v4, v9
	v_add_co_ci_u32_e32 v5, vcc_lo, 0, v5, vcc_lo
	s_waitcnt lgkmcnt(0)
	v_cmp_gt_i64_e32 vcc_lo, v[2:3], v[19:20]
	s_delay_alu instid0(VALU_DEP_3) | instskip(NEXT) | instid1(VALU_DEP_1)
	v_add_co_u32 v4, s0, v4, v10
	v_add_co_ci_u32_e64 v5, s0, 0, v5, s0
	v_cndmask_b32_e64 v8, 0, 1, vcc_lo
	s_delay_alu instid0(VALU_DEP_3) | instskip(NEXT) | instid1(VALU_DEP_3)
	v_add_co_u32 v4, vcc_lo, v4, v11
	v_add_co_ci_u32_e32 v5, vcc_lo, 0, v5, vcc_lo
	v_cmp_gt_i64_e32 vcc_lo, v[2:3], v[21:22]
	s_delay_alu instid0(VALU_DEP_3) | instskip(NEXT) | instid1(VALU_DEP_1)
	v_add_co_u32 v4, s0, v4, v7
	v_add_co_ci_u32_e64 v5, s0, 0, v5, s0
	v_cndmask_b32_e64 v7, 0, 1, vcc_lo
	s_delay_alu instid0(VALU_DEP_3) | instskip(NEXT) | instid1(VALU_DEP_3)
	v_add_co_u32 v4, vcc_lo, v4, v8
	v_add_co_ci_u32_e32 v5, vcc_lo, 0, v5, vcc_lo
	s_delay_alu instid0(VALU_DEP_2) | instskip(NEXT) | instid1(VALU_DEP_2)
	v_add_co_u32 v4, vcc_lo, v4, v7
	v_add_co_ci_u32_e32 v5, vcc_lo, 0, v5, vcc_lo
	s_cbranch_scc0 .LBB86_86
; %bb.87:                               ;   in Loop: Header=BB86_84 Depth=1
	s_mov_b64 s[0:1], s[2:3]
.LBB86_88:                              ;   in Loop: Header=BB86_84 Depth=1
	s_and_not1_b32 vcc_lo, exec_lo, s13
	s_cbranch_vccnz .LBB86_83
; %bb.89:                               ;   in Loop: Header=BB86_84 Depth=1
	s_lshl_b32 s0, s0, 3
	s_delay_alu instid0(SALU_CYCLE_1)
	s_add_i32 s10, s0, 0
	s_mov_b64 s[0:1], s[6:7]
.LBB86_90:                              ;   Parent Loop BB86_84 Depth=1
                                        ; =>  This Inner Loop Header: Depth=2
	v_mov_b32_e32 v7, s10
	s_add_i32 s10, s10, 8
	s_add_u32 s0, s0, -1
	s_addc_u32 s1, s1, -1
	s_delay_alu instid0(SALU_CYCLE_1) | instskip(SKIP_4) | instid1(VALU_DEP_1)
	s_cmp_lg_u64 s[0:1], 0
	ds_load_b64 v[7:8], v7
	s_waitcnt lgkmcnt(0)
	v_cmp_gt_i64_e32 vcc_lo, v[2:3], v[7:8]
	v_cndmask_b32_e64 v7, 0, 1, vcc_lo
	v_add_co_u32 v4, vcc_lo, v4, v7
	v_add_co_ci_u32_e32 v5, vcc_lo, 0, v5, vcc_lo
	s_cbranch_scc1 .LBB86_90
	s_branch .LBB86_83
.LBB86_91:
	s_nop 0
	s_sendmsg sendmsg(MSG_DEALLOC_VGPRS)
	s_endpgm
	.section	.rodata,"a",@progbits
	.p2align	6, 0x0
	.amdhsa_kernel _ZN9rocsparseL41csrgemm_numeric_fill_block_per_row_kernelILj512ELj32ELj1024ELj137ELj32EllfEEvT5_PKS1_S3_NS_24const_host_device_scalarIT6_EEPKT4_S3_PKS5_S9_S3_SB_S6_S9_S3_SB_S9_S3_PS5_21rocsparse_index_base_SD_SD_SD_bbb
		.amdhsa_group_segment_fixed_size 0
		.amdhsa_private_segment_fixed_size 0
		.amdhsa_kernarg_size 156
		.amdhsa_user_sgpr_count 15
		.amdhsa_user_sgpr_dispatch_ptr 0
		.amdhsa_user_sgpr_queue_ptr 0
		.amdhsa_user_sgpr_kernarg_segment_ptr 1
		.amdhsa_user_sgpr_dispatch_id 0
		.amdhsa_user_sgpr_private_segment_size 0
		.amdhsa_wavefront_size32 1
		.amdhsa_uses_dynamic_stack 0
		.amdhsa_enable_private_segment 0
		.amdhsa_system_sgpr_workgroup_id_x 1
		.amdhsa_system_sgpr_workgroup_id_y 0
		.amdhsa_system_sgpr_workgroup_id_z 0
		.amdhsa_system_sgpr_workgroup_info 0
		.amdhsa_system_vgpr_workitem_id 0
		.amdhsa_next_free_vgpr 23
		.amdhsa_next_free_sgpr 42
		.amdhsa_reserve_vcc 1
		.amdhsa_float_round_mode_32 0
		.amdhsa_float_round_mode_16_64 0
		.amdhsa_float_denorm_mode_32 3
		.amdhsa_float_denorm_mode_16_64 3
		.amdhsa_dx10_clamp 1
		.amdhsa_ieee_mode 1
		.amdhsa_fp16_overflow 0
		.amdhsa_workgroup_processor_mode 1
		.amdhsa_memory_ordered 1
		.amdhsa_forward_progress 0
		.amdhsa_shared_vgpr_count 0
		.amdhsa_exception_fp_ieee_invalid_op 0
		.amdhsa_exception_fp_denorm_src 0
		.amdhsa_exception_fp_ieee_div_zero 0
		.amdhsa_exception_fp_ieee_overflow 0
		.amdhsa_exception_fp_ieee_underflow 0
		.amdhsa_exception_fp_ieee_inexact 0
		.amdhsa_exception_int_div_zero 0
	.end_amdhsa_kernel
	.section	.text._ZN9rocsparseL41csrgemm_numeric_fill_block_per_row_kernelILj512ELj32ELj1024ELj137ELj32EllfEEvT5_PKS1_S3_NS_24const_host_device_scalarIT6_EEPKT4_S3_PKS5_S9_S3_SB_S6_S9_S3_SB_S9_S3_PS5_21rocsparse_index_base_SD_SD_SD_bbb,"axG",@progbits,_ZN9rocsparseL41csrgemm_numeric_fill_block_per_row_kernelILj512ELj32ELj1024ELj137ELj32EllfEEvT5_PKS1_S3_NS_24const_host_device_scalarIT6_EEPKT4_S3_PKS5_S9_S3_SB_S6_S9_S3_SB_S9_S3_PS5_21rocsparse_index_base_SD_SD_SD_bbb,comdat
.Lfunc_end86:
	.size	_ZN9rocsparseL41csrgemm_numeric_fill_block_per_row_kernelILj512ELj32ELj1024ELj137ELj32EllfEEvT5_PKS1_S3_NS_24const_host_device_scalarIT6_EEPKT4_S3_PKS5_S9_S3_SB_S6_S9_S3_SB_S9_S3_PS5_21rocsparse_index_base_SD_SD_SD_bbb, .Lfunc_end86-_ZN9rocsparseL41csrgemm_numeric_fill_block_per_row_kernelILj512ELj32ELj1024ELj137ELj32EllfEEvT5_PKS1_S3_NS_24const_host_device_scalarIT6_EEPKT4_S3_PKS5_S9_S3_SB_S6_S9_S3_SB_S9_S3_PS5_21rocsparse_index_base_SD_SD_SD_bbb
                                        ; -- End function
	.section	.AMDGPU.csdata,"",@progbits
; Kernel info:
; codeLenInByte = 3552
; NumSgprs: 44
; NumVgprs: 23
; ScratchSize: 0
; MemoryBound: 0
; FloatMode: 240
; IeeeMode: 1
; LDSByteSize: 0 bytes/workgroup (compile time only)
; SGPRBlocks: 5
; VGPRBlocks: 2
; NumSGPRsForWavesPerEU: 44
; NumVGPRsForWavesPerEU: 23
; Occupancy: 16
; WaveLimiterHint : 1
; COMPUTE_PGM_RSRC2:SCRATCH_EN: 0
; COMPUTE_PGM_RSRC2:USER_SGPR: 15
; COMPUTE_PGM_RSRC2:TRAP_HANDLER: 0
; COMPUTE_PGM_RSRC2:TGID_X_EN: 1
; COMPUTE_PGM_RSRC2:TGID_Y_EN: 0
; COMPUTE_PGM_RSRC2:TGID_Z_EN: 0
; COMPUTE_PGM_RSRC2:TIDIG_COMP_CNT: 0
	.section	.text._ZN9rocsparseL41csrgemm_numeric_fill_block_per_row_kernelILj512ELj32ELj1024ELj137ELj64EllfEEvT5_PKS1_S3_NS_24const_host_device_scalarIT6_EEPKT4_S3_PKS5_S9_S3_SB_S6_S9_S3_SB_S9_S3_PS5_21rocsparse_index_base_SD_SD_SD_bbb,"axG",@progbits,_ZN9rocsparseL41csrgemm_numeric_fill_block_per_row_kernelILj512ELj32ELj1024ELj137ELj64EllfEEvT5_PKS1_S3_NS_24const_host_device_scalarIT6_EEPKT4_S3_PKS5_S9_S3_SB_S6_S9_S3_SB_S9_S3_PS5_21rocsparse_index_base_SD_SD_SD_bbb,comdat
	.globl	_ZN9rocsparseL41csrgemm_numeric_fill_block_per_row_kernelILj512ELj32ELj1024ELj137ELj64EllfEEvT5_PKS1_S3_NS_24const_host_device_scalarIT6_EEPKT4_S3_PKS5_S9_S3_SB_S6_S9_S3_SB_S9_S3_PS5_21rocsparse_index_base_SD_SD_SD_bbb ; -- Begin function _ZN9rocsparseL41csrgemm_numeric_fill_block_per_row_kernelILj512ELj32ELj1024ELj137ELj64EllfEEvT5_PKS1_S3_NS_24const_host_device_scalarIT6_EEPKT4_S3_PKS5_S9_S3_SB_S6_S9_S3_SB_S9_S3_PS5_21rocsparse_index_base_SD_SD_SD_bbb
	.p2align	8
	.type	_ZN9rocsparseL41csrgemm_numeric_fill_block_per_row_kernelILj512ELj32ELj1024ELj137ELj64EllfEEvT5_PKS1_S3_NS_24const_host_device_scalarIT6_EEPKT4_S3_PKS5_S9_S3_SB_S6_S9_S3_SB_S9_S3_PS5_21rocsparse_index_base_SD_SD_SD_bbb,@function
_ZN9rocsparseL41csrgemm_numeric_fill_block_per_row_kernelILj512ELj32ELj1024ELj137ELj64EllfEEvT5_PKS1_S3_NS_24const_host_device_scalarIT6_EEPKT4_S3_PKS5_S9_S3_SB_S6_S9_S3_SB_S9_S3_PS5_21rocsparse_index_base_SD_SD_SD_bbb: ; @_ZN9rocsparseL41csrgemm_numeric_fill_block_per_row_kernelILj512ELj32ELj1024ELj137ELj64EllfEEvT5_PKS1_S3_NS_24const_host_device_scalarIT6_EEPKT4_S3_PKS5_S9_S3_SB_S6_S9_S3_SB_S9_S3_PS5_21rocsparse_index_base_SD_SD_SD_bbb
; %bb.0:
	s_clause 0x3
	s_load_b32 s3, s[0:1], 0x98
	s_load_b128 s[20:23], s[0:1], 0x88
	s_load_b64 s[4:5], s[0:1], 0x18
	s_load_b64 s[36:37], s[0:1], 0x50
	s_mov_b32 s2, s15
	s_waitcnt lgkmcnt(0)
	s_bitcmp1_b32 s3, 0
	s_cselect_b32 s38, -1, 0
	s_bitcmp1_b32 s3, 16
	s_cselect_b32 s39, -1, 0
	s_xor_b32 s6, s38, -1
	s_delay_alu instid0(SALU_CYCLE_1) | instskip(NEXT) | instid1(SALU_CYCLE_1)
	s_or_b32 s6, s6, s39
	s_and_b32 vcc_lo, exec_lo, s6
	s_cbranch_vccnz .LBB87_2
; %bb.1:
	s_load_b32 s4, s[4:5], 0x0
	s_waitcnt lgkmcnt(0)
	v_mov_b32_e32 v15, s4
	s_branch .LBB87_3
.LBB87_2:
	v_cndmask_b32_e64 v15, 0, s4, s38
.LBB87_3:
	s_clause 0x4
	s_load_b64 s[34:35], s[0:1], 0x80
	s_load_b256 s[4:11], s[0:1], 0x58
	s_load_b128 s[24:27], s[0:1], 0x40
	s_load_b128 s[28:31], s[0:1], 0x8
	s_load_b256 s[12:19], s[0:1], 0x20
	s_bitcmp1_b32 s3, 8
	s_cselect_b32 s33, -1, 0
	s_delay_alu instid0(SALU_CYCLE_1) | instskip(NEXT) | instid1(SALU_CYCLE_1)
	s_xor_b32 s3, s33, -1
	s_or_b32 s3, s3, s39
	s_delay_alu instid0(SALU_CYCLE_1)
	s_and_b32 vcc_lo, exec_lo, s3
	s_cbranch_vccnz .LBB87_5
; %bb.4:
	s_load_b32 s3, s[36:37], 0x0
	s_waitcnt lgkmcnt(0)
	v_mov_b32_e32 v14, s3
	s_branch .LBB87_6
.LBB87_5:
	v_cndmask_b32_e64 v14, 0, s36, s33
.LBB87_6:
	s_load_b64 s[36:37], s[0:1], 0x0
	v_lshl_add_u32 v11, v0, 3, 0
	v_lshlrev_b32_e32 v1, 2, v0
	v_or_b32_e32 v12, 0xfffffe00, v0
	v_mov_b32_e32 v3, 0
	s_mov_b32 s0, 0
	v_mov_b32_e32 v4, v11
	v_add3_u32 v13, v1, 0, 0x2000
	s_delay_alu instid0(VALU_DEP_1)
	v_dual_mov_b32 v5, v12 :: v_dual_mov_b32 v6, v13
	s_waitcnt lgkmcnt(0)
	v_dual_mov_b32 v1, s36 :: v_dual_mov_b32 v2, s37
.LBB87_7:                               ; =>This Inner Loop Header: Depth=1
	s_delay_alu instid0(VALU_DEP_2) | instskip(NEXT) | instid1(VALU_DEP_1)
	v_add_co_u32 v5, s1, 0x200, v5
	s_xor_b32 s1, s1, -1
	ds_store_b64 v4, v[1:2]
	ds_store_b32 v6, v3
	v_add_nc_u32_e32 v6, 0x800, v6
	v_add_nc_u32_e32 v4, 0x1000, v4
	s_and_b32 s1, exec_lo, s1
	s_delay_alu instid0(SALU_CYCLE_1) | instskip(NEXT) | instid1(SALU_CYCLE_1)
	s_or_b32 s0, s1, s0
	s_and_not1_b32 exec_lo, exec_lo, s0
	s_cbranch_execnz .LBB87_7
; %bb.8:
	s_or_b32 exec_lo, exec_lo, s0
	s_waitcnt lgkmcnt(0)
	s_barrier
	buffer_gl0_inv
	s_load_b64 s[0:1], s[28:29], 0x0
	s_mov_b32 s3, 0
	s_waitcnt lgkmcnt(0)
	s_lshl_b64 s[0:1], s[0:1], 3
	s_delay_alu instid0(SALU_CYCLE_1) | instskip(SKIP_2) | instid1(SALU_CYCLE_1)
	s_add_u32 s28, s30, s0
	s_addc_u32 s29, s31, s1
	s_lshl_b64 s[0:1], s[2:3], 3
	s_add_u32 s0, s28, s0
	s_addc_u32 s1, s29, s1
	s_and_b32 vcc_lo, exec_lo, s38
	s_load_b64 s[28:29], s[0:1], 0x0
	s_cbranch_vccz .LBB87_28
; %bb.9:
	s_waitcnt lgkmcnt(0)
	s_lshl_b64 s[0:1], s[28:29], 3
	v_lshrrev_b32_e32 v1, 5, v0
	s_add_u32 s0, s12, s0
	s_addc_u32 s1, s13, s1
	s_load_b128 s[0:3], s[0:1], 0x0
	s_delay_alu instid0(VALU_DEP_1) | instskip(NEXT) | instid1(VALU_DEP_1)
	v_sub_co_u32 v1, s12, v1, s20
	v_sub_co_ci_u32_e64 v2, null, 0, 0, s12
	s_waitcnt lgkmcnt(0)
	s_delay_alu instid0(VALU_DEP_2) | instskip(NEXT) | instid1(VALU_DEP_2)
	v_add_co_u32 v1, vcc_lo, s0, v1
	v_add_co_ci_u32_e32 v2, vcc_lo, s1, v2, vcc_lo
	s_sub_u32 s0, s2, s20
	s_subb_u32 s1, s3, 0
	s_mov_b32 s2, exec_lo
	s_delay_alu instid0(VALU_DEP_1)
	v_cmpx_gt_i64_e64 s[0:1], v[1:2]
	s_cbranch_execz .LBB87_27
; %bb.10:
	v_and_b32_e32 v3, 31, v0
	s_mov_b32 s12, s21
	s_delay_alu instid0(VALU_DEP_1) | instskip(NEXT) | instid1(VALU_DEP_1)
	v_sub_co_u32 v16, s3, v3, s21
	v_sub_co_ci_u32_e64 v17, null, 0, 0, s3
	s_mov_b32 s3, 0
	s_branch .LBB87_12
.LBB87_11:                              ;   in Loop: Header=BB87_12 Depth=1
	s_or_b32 exec_lo, exec_lo, s13
	v_add_co_u32 v1, vcc_lo, v1, 16
	v_add_co_ci_u32_e32 v2, vcc_lo, 0, v2, vcc_lo
	s_delay_alu instid0(VALU_DEP_1) | instskip(SKIP_1) | instid1(SALU_CYCLE_1)
	v_cmp_le_i64_e32 vcc_lo, s[0:1], v[1:2]
	s_or_b32 s3, vcc_lo, s3
	s_and_not1_b32 exec_lo, exec_lo, s3
	s_cbranch_execz .LBB87_27
.LBB87_12:                              ; =>This Loop Header: Depth=1
                                        ;     Child Loop BB87_15 Depth 2
                                        ;       Child Loop BB87_17 Depth 3
	v_lshlrev_b64 v[3:4], 3, v[1:2]
	s_mov_b32 s13, exec_lo
	s_delay_alu instid0(VALU_DEP_1) | instskip(NEXT) | instid1(VALU_DEP_2)
	v_add_co_u32 v3, vcc_lo, s14, v3
	v_add_co_ci_u32_e32 v4, vcc_lo, s15, v4, vcc_lo
	global_load_b64 v[3:4], v[3:4], off
	s_waitcnt vmcnt(0)
	v_sub_co_u32 v3, vcc_lo, v3, s20
	v_subrev_co_ci_u32_e32 v4, vcc_lo, 0, v4, vcc_lo
	s_delay_alu instid0(VALU_DEP_1) | instskip(NEXT) | instid1(VALU_DEP_1)
	v_lshlrev_b64 v[3:4], 3, v[3:4]
	v_add_co_u32 v3, vcc_lo, s18, v3
	s_delay_alu instid0(VALU_DEP_2)
	v_add_co_ci_u32_e32 v4, vcc_lo, s19, v4, vcc_lo
	global_load_b128 v[5:8], v[3:4], off
	s_waitcnt vmcnt(0)
	v_sub_co_u32 v3, vcc_lo, v7, s12
	v_subrev_co_ci_u32_e32 v4, vcc_lo, 0, v8, vcc_lo
	v_add_co_u32 v5, vcc_lo, v5, v16
	v_add_co_ci_u32_e32 v6, vcc_lo, v6, v17, vcc_lo
	s_delay_alu instid0(VALU_DEP_1)
	v_cmpx_lt_i64_e64 v[5:6], v[3:4]
	s_cbranch_execz .LBB87_11
; %bb.13:                               ;   in Loop: Header=BB87_12 Depth=1
	v_lshlrev_b64 v[7:8], 2, v[1:2]
	s_mov_b32 s21, 0
	s_delay_alu instid0(VALU_DEP_1) | instskip(NEXT) | instid1(VALU_DEP_2)
	v_add_co_u32 v7, vcc_lo, s16, v7
	v_add_co_ci_u32_e32 v8, vcc_lo, s17, v8, vcc_lo
	global_load_b32 v7, v[7:8], off
	s_waitcnt vmcnt(0)
	v_mul_f32_e32 v18, v15, v7
	s_branch .LBB87_15
.LBB87_14:                              ;   in Loop: Header=BB87_15 Depth=2
	s_or_b32 exec_lo, exec_lo, s30
	v_add_co_u32 v5, vcc_lo, v5, 32
	v_add_co_ci_u32_e32 v6, vcc_lo, 0, v6, vcc_lo
	s_delay_alu instid0(VALU_DEP_1) | instskip(SKIP_1) | instid1(SALU_CYCLE_1)
	v_cmp_ge_i64_e32 vcc_lo, v[5:6], v[3:4]
	s_or_b32 s21, vcc_lo, s21
	s_and_not1_b32 exec_lo, exec_lo, s21
	s_cbranch_execz .LBB87_11
.LBB87_15:                              ;   Parent Loop BB87_12 Depth=1
                                        ; =>  This Loop Header: Depth=2
                                        ;       Child Loop BB87_17 Depth 3
	v_lshlrev_b64 v[7:8], 3, v[5:6]
	v_lshlrev_b64 v[9:10], 2, v[5:6]
	s_mov_b32 s30, 0
	s_delay_alu instid0(VALU_DEP_2) | instskip(NEXT) | instid1(VALU_DEP_3)
	v_add_co_u32 v7, vcc_lo, s24, v7
	v_add_co_ci_u32_e32 v8, vcc_lo, s25, v8, vcc_lo
	s_delay_alu instid0(VALU_DEP_3) | instskip(NEXT) | instid1(VALU_DEP_4)
	v_add_co_u32 v9, vcc_lo, s26, v9
	v_add_co_ci_u32_e32 v10, vcc_lo, s27, v10, vcc_lo
	global_load_b64 v[7:8], v[7:8], off
	global_load_b32 v9, v[9:10], off
	s_waitcnt vmcnt(1)
	v_sub_co_u32 v7, vcc_lo, v7, s12
	v_subrev_co_ci_u32_e32 v8, vcc_lo, 0, v8, vcc_lo
	s_delay_alu instid0(VALU_DEP_2) | instskip(SKIP_1) | instid1(VALU_DEP_1)
	v_mul_lo_u32 v10, 0x89, v7
	s_waitcnt vmcnt(0)
	v_dual_mul_f32 v19, v18, v9 :: v_dual_and_b32 v20, 0x3ff, v10
	s_branch .LBB87_17
.LBB87_16:                              ;   in Loop: Header=BB87_17 Depth=3
	s_or_b32 exec_lo, exec_lo, s31
	s_xor_b32 s31, s38, -1
	s_delay_alu instid0(SALU_CYCLE_1) | instskip(NEXT) | instid1(SALU_CYCLE_1)
	s_and_b32 s31, exec_lo, s31
	s_or_b32 s30, s31, s30
	s_delay_alu instid0(SALU_CYCLE_1)
	s_and_not1_b32 exec_lo, exec_lo, s30
	s_cbranch_execz .LBB87_14
.LBB87_17:                              ;   Parent Loop BB87_12 Depth=1
                                        ;     Parent Loop BB87_15 Depth=2
                                        ; =>    This Inner Loop Header: Depth=3
	s_delay_alu instid0(VALU_DEP_1)
	v_lshl_add_u32 v21, v20, 3, 0
	s_mov_b32 s31, exec_lo
                                        ; implicit-def: $sgpr38
	ds_load_b64 v[9:10], v21
	s_waitcnt lgkmcnt(0)
	v_cmpx_ne_u64_e64 v[9:10], v[7:8]
	s_xor_b32 s31, exec_lo, s31
	s_cbranch_execz .LBB87_25
; %bb.18:                               ;   in Loop: Header=BB87_17 Depth=3
	s_mov_b32 s39, exec_lo
                                        ; implicit-def: $sgpr38
	v_cmpx_ne_u64_e64 s[36:37], v[9:10]
	s_xor_b32 s39, exec_lo, s39
; %bb.19:                               ;   in Loop: Header=BB87_17 Depth=3
	v_add_nc_u32_e32 v9, 1, v20
	s_mov_b32 s38, -1
                                        ; implicit-def: $vgpr21
	s_delay_alu instid0(VALU_DEP_1)
	v_and_b32_e32 v20, 0x3ff, v9
; %bb.20:                               ;   in Loop: Header=BB87_17 Depth=3
	s_and_not1_saveexec_b32 s39, s39
	s_cbranch_execz .LBB87_24
; %bb.21:                               ;   in Loop: Header=BB87_17 Depth=3
	v_dual_mov_b32 v9, s36 :: v_dual_mov_b32 v10, s37
	s_mov_b32 s40, -1
	s_mov_b32 s41, exec_lo
	ds_cmpstore_rtn_b64 v[9:10], v21, v[7:8], v[9:10]
	s_waitcnt lgkmcnt(0)
	v_cmpx_eq_u64_e64 s[36:37], v[9:10]
	s_cbranch_execz .LBB87_23
; %bb.22:                               ;   in Loop: Header=BB87_17 Depth=3
	v_lshlrev_b32_e32 v9, 2, v20
	s_xor_b32 s40, exec_lo, -1
	s_delay_alu instid0(VALU_DEP_1)
	v_sub_nc_u32_e32 v9, v21, v9
	ds_add_f32 v9, v19 offset:8192
.LBB87_23:                              ;   in Loop: Header=BB87_17 Depth=3
	s_or_b32 exec_lo, exec_lo, s41
	s_delay_alu instid0(SALU_CYCLE_1) | instskip(SKIP_1) | instid1(SALU_CYCLE_1)
	s_and_not1_b32 s38, s38, exec_lo
	s_and_b32 s40, s40, exec_lo
	s_or_b32 s38, s38, s40
.LBB87_24:                              ;   in Loop: Header=BB87_17 Depth=3
	s_or_b32 exec_lo, exec_lo, s39
	s_delay_alu instid0(SALU_CYCLE_1)
	s_and_b32 s38, s38, exec_lo
                                        ; implicit-def: $vgpr21
.LBB87_25:                              ;   in Loop: Header=BB87_17 Depth=3
	s_and_not1_saveexec_b32 s31, s31
	s_cbranch_execz .LBB87_16
; %bb.26:                               ;   in Loop: Header=BB87_17 Depth=3
	v_lshlrev_b32_e32 v9, 2, v20
	s_and_not1_b32 s38, s38, exec_lo
	s_delay_alu instid0(VALU_DEP_1)
	v_sub_nc_u32_e32 v9, v21, v9
	ds_add_f32 v9, v19 offset:8192
	s_branch .LBB87_16
.LBB87_27:
	s_or_b32 exec_lo, exec_lo, s2
.LBB87_28:
	s_delay_alu instid0(SALU_CYCLE_1)
	s_and_not1_b32 vcc_lo, exec_lo, s33
	s_cbranch_vccnz .LBB87_45
; %bb.29:
	s_waitcnt lgkmcnt(0)
	s_lshl_b64 s[0:1], s[28:29], 3
	s_delay_alu instid0(SALU_CYCLE_1)
	s_add_u32 s0, s4, s0
	s_addc_u32 s1, s5, s1
	v_sub_co_u32 v1, s4, v0, s23
	s_load_b128 s[0:3], s[0:1], 0x0
	v_sub_co_ci_u32_e64 v2, null, 0, 0, s4
	s_waitcnt lgkmcnt(0)
	s_delay_alu instid0(VALU_DEP_2) | instskip(NEXT) | instid1(VALU_DEP_2)
	v_add_co_u32 v1, vcc_lo, s0, v1
	v_add_co_ci_u32_e32 v2, vcc_lo, s1, v2, vcc_lo
	s_sub_u32 s0, s2, s23
	s_subb_u32 s1, s3, 0
	s_mov_b32 s2, 0
	s_mov_b32 s3, exec_lo
	v_cmpx_gt_i64_e64 s[0:1], v[1:2]
	s_cbranch_execz .LBB87_44
; %bb.30:
	s_mov_b32 s4, s23
	s_branch .LBB87_32
.LBB87_31:                              ;   in Loop: Header=BB87_32 Depth=1
	s_or_b32 exec_lo, exec_lo, s5
	v_add_co_u32 v1, vcc_lo, 0x200, v1
	v_add_co_ci_u32_e32 v2, vcc_lo, 0, v2, vcc_lo
	s_delay_alu instid0(VALU_DEP_1) | instskip(SKIP_1) | instid1(SALU_CYCLE_1)
	v_cmp_le_i64_e32 vcc_lo, s[0:1], v[1:2]
	s_or_b32 s2, vcc_lo, s2
	s_and_not1_b32 exec_lo, exec_lo, s2
	s_cbranch_execz .LBB87_44
.LBB87_32:                              ; =>This Loop Header: Depth=1
                                        ;     Child Loop BB87_34 Depth 2
	v_lshlrev_b64 v[3:4], 3, v[1:2]
	v_lshlrev_b64 v[5:6], 2, v[1:2]
	s_mov_b32 s5, 0
	s_delay_alu instid0(VALU_DEP_2) | instskip(NEXT) | instid1(VALU_DEP_3)
	v_add_co_u32 v3, vcc_lo, s6, v3
	v_add_co_ci_u32_e32 v4, vcc_lo, s7, v4, vcc_lo
	s_delay_alu instid0(VALU_DEP_3) | instskip(NEXT) | instid1(VALU_DEP_4)
	v_add_co_u32 v5, vcc_lo, s8, v5
	v_add_co_ci_u32_e32 v6, vcc_lo, s9, v6, vcc_lo
	global_load_b64 v[3:4], v[3:4], off
	global_load_b32 v5, v[5:6], off
	s_waitcnt vmcnt(1)
	v_sub_co_u32 v3, vcc_lo, v3, s4
	v_subrev_co_ci_u32_e32 v4, vcc_lo, 0, v4, vcc_lo
	s_delay_alu instid0(VALU_DEP_2) | instskip(SKIP_1) | instid1(VALU_DEP_1)
	v_mul_lo_u32 v6, 0x89, v3
	s_waitcnt vmcnt(0)
	v_dual_mul_f32 v7, v14, v5 :: v_dual_and_b32 v8, 0x3ff, v6
	s_branch .LBB87_34
.LBB87_33:                              ;   in Loop: Header=BB87_34 Depth=2
	s_or_b32 exec_lo, exec_lo, s12
	s_xor_b32 s12, s13, -1
	s_delay_alu instid0(SALU_CYCLE_1) | instskip(NEXT) | instid1(SALU_CYCLE_1)
	s_and_b32 s12, exec_lo, s12
	s_or_b32 s5, s12, s5
	s_delay_alu instid0(SALU_CYCLE_1)
	s_and_not1_b32 exec_lo, exec_lo, s5
	s_cbranch_execz .LBB87_31
.LBB87_34:                              ;   Parent Loop BB87_32 Depth=1
                                        ; =>  This Inner Loop Header: Depth=2
	s_delay_alu instid0(VALU_DEP_1)
	v_lshl_add_u32 v9, v8, 3, 0
	s_mov_b32 s12, exec_lo
                                        ; implicit-def: $sgpr13
	ds_load_b64 v[5:6], v9
	s_waitcnt lgkmcnt(0)
	v_cmpx_ne_u64_e64 v[5:6], v[3:4]
	s_xor_b32 s12, exec_lo, s12
	s_cbranch_execz .LBB87_42
; %bb.35:                               ;   in Loop: Header=BB87_34 Depth=2
	s_mov_b32 s14, exec_lo
                                        ; implicit-def: $sgpr13
	v_cmpx_ne_u64_e64 s[36:37], v[5:6]
	s_xor_b32 s14, exec_lo, s14
; %bb.36:                               ;   in Loop: Header=BB87_34 Depth=2
	v_add_nc_u32_e32 v5, 1, v8
	s_mov_b32 s13, -1
                                        ; implicit-def: $vgpr9
	s_delay_alu instid0(VALU_DEP_1)
	v_and_b32_e32 v8, 0x3ff, v5
; %bb.37:                               ;   in Loop: Header=BB87_34 Depth=2
	s_and_not1_saveexec_b32 s14, s14
	s_cbranch_execz .LBB87_41
; %bb.38:                               ;   in Loop: Header=BB87_34 Depth=2
	v_dual_mov_b32 v5, s36 :: v_dual_mov_b32 v6, s37
	s_mov_b32 s15, -1
	s_mov_b32 s16, exec_lo
	ds_cmpstore_rtn_b64 v[5:6], v9, v[3:4], v[5:6]
	s_waitcnt lgkmcnt(0)
	v_cmpx_eq_u64_e64 s[36:37], v[5:6]
	s_cbranch_execz .LBB87_40
; %bb.39:                               ;   in Loop: Header=BB87_34 Depth=2
	v_lshlrev_b32_e32 v5, 2, v8
	s_xor_b32 s15, exec_lo, -1
	s_delay_alu instid0(VALU_DEP_1)
	v_sub_nc_u32_e32 v5, v9, v5
	ds_add_f32 v5, v7 offset:8192
.LBB87_40:                              ;   in Loop: Header=BB87_34 Depth=2
	s_or_b32 exec_lo, exec_lo, s16
	s_delay_alu instid0(SALU_CYCLE_1) | instskip(SKIP_1) | instid1(SALU_CYCLE_1)
	s_and_not1_b32 s13, s13, exec_lo
	s_and_b32 s15, s15, exec_lo
	s_or_b32 s13, s13, s15
.LBB87_41:                              ;   in Loop: Header=BB87_34 Depth=2
	s_or_b32 exec_lo, exec_lo, s14
	s_delay_alu instid0(SALU_CYCLE_1)
	s_and_b32 s13, s13, exec_lo
                                        ; implicit-def: $vgpr9
.LBB87_42:                              ;   in Loop: Header=BB87_34 Depth=2
	s_and_not1_saveexec_b32 s12, s12
	s_cbranch_execz .LBB87_33
; %bb.43:                               ;   in Loop: Header=BB87_34 Depth=2
	v_lshlrev_b32_e32 v5, 2, v8
	s_and_not1_b32 s13, s13, exec_lo
	s_delay_alu instid0(VALU_DEP_1)
	v_sub_nc_u32_e32 v5, v9, v5
	ds_add_f32 v5, v7 offset:8192
	s_branch .LBB87_33
.LBB87_44:
	s_or_b32 exec_lo, exec_lo, s3
.LBB87_45:
	v_mbcnt_lo_u32_b32 v1, -1, 0
	v_lshrrev_b32_e32 v2, 3, v0
	v_cmp_eq_u32_e32 vcc_lo, 0x1ff, v0
	v_cmp_lt_u32_e64 s0, 63, v0
	v_cmp_lt_u32_e64 s1, 0x7f, v0
	v_xor_b32_e32 v1, 63, v1
	v_and_b32_e32 v3, 56, v2
	v_cmp_lt_u32_e64 s2, 0xbf, v0
	v_cmp_lt_u32_e64 s3, 0xff, v0
	;; [unrolled: 1-line block ×3, first 2 shown]
	v_lshrrev_b64 v[1:2], v1, -1
	v_add_nc_u32_e32 v10, 0, v3
	v_dual_mov_b32 v2, 0 :: v_dual_mov_b32 v5, 0
	v_cmp_lt_u32_e64 s5, 0x17f, v0
	v_cmp_lt_u32_e64 s6, 0x1bf, v0
	v_mov_b32_e32 v3, 0
	s_mov_b32 s8, 0
	s_waitcnt lgkmcnt(0)
	s_barrier
	buffer_gl0_inv
	s_branch .LBB87_47
.LBB87_46:                              ;   in Loop: Header=BB87_47 Depth=1
	s_or_b32 exec_lo, exec_lo, s7
	s_waitcnt lgkmcnt(0)
	s_barrier
	buffer_gl0_inv
	ds_load_b64 v[6:7], v5 offset:12344
	v_add_co_u32 v12, s7, 0x200, v12
	s_delay_alu instid0(VALU_DEP_1) | instskip(SKIP_4) | instid1(VALU_DEP_1)
	s_xor_b32 s9, s7, -1
	v_add_nc_u32_e32 v13, 0x800, v13
	v_add_nc_u32_e32 v11, 0x1000, v11
	s_waitcnt lgkmcnt(0)
	v_add_co_u32 v2, s7, v6, v2
	v_add_co_ci_u32_e64 v3, s7, v7, v3, s7
	s_and_b32 s7, exec_lo, s9
	s_delay_alu instid0(SALU_CYCLE_1) | instskip(NEXT) | instid1(SALU_CYCLE_1)
	s_or_b32 s8, s7, s8
	s_and_not1_b32 exec_lo, exec_lo, s8
	s_cbranch_execz .LBB87_65
.LBB87_47:                              ; =>This Inner Loop Header: Depth=1
	ds_load_b64 v[6:7], v11
	ds_load_b32 v14, v13
	s_waitcnt lgkmcnt(0)
	s_barrier
	buffer_gl0_inv
	v_cmp_gt_i64_e64 s7, s[36:37], v[6:7]
	s_delay_alu instid0(VALU_DEP_1) | instskip(SKIP_1) | instid1(SALU_CYCLE_1)
	v_and_b32_e32 v8, s7, v1
	s_bcnt1_i32_b32 s9, s7
	v_mov_b32_e32 v4, s9
	s_delay_alu instid0(VALU_DEP_2)
	v_bcnt_u32_b32 v8, v8, 0
	ds_store_b64 v10, v[4:5] offset:12288
	s_waitcnt lgkmcnt(0)
	s_barrier
	buffer_gl0_inv
	s_and_saveexec_b32 s9, s0
	s_cbranch_execnz .LBB87_56
; %bb.48:                               ;   in Loop: Header=BB87_47 Depth=1
	s_or_b32 exec_lo, exec_lo, s9
	s_and_saveexec_b32 s9, s1
	s_cbranch_execnz .LBB87_57
.LBB87_49:                              ;   in Loop: Header=BB87_47 Depth=1
	s_or_b32 exec_lo, exec_lo, s9
	s_and_saveexec_b32 s9, s2
	s_cbranch_execnz .LBB87_58
.LBB87_50:                              ;   in Loop: Header=BB87_47 Depth=1
	s_or_b32 exec_lo, exec_lo, s9
	s_and_saveexec_b32 s9, s3
	s_cbranch_execnz .LBB87_59
.LBB87_51:                              ;   in Loop: Header=BB87_47 Depth=1
	s_or_b32 exec_lo, exec_lo, s9
	s_and_saveexec_b32 s9, s4
	s_cbranch_execnz .LBB87_60
.LBB87_52:                              ;   in Loop: Header=BB87_47 Depth=1
	s_or_b32 exec_lo, exec_lo, s9
	s_and_saveexec_b32 s9, s5
	s_cbranch_execnz .LBB87_61
.LBB87_53:                              ;   in Loop: Header=BB87_47 Depth=1
	s_or_b32 exec_lo, exec_lo, s9
	s_and_saveexec_b32 s9, s6
	s_cbranch_execnz .LBB87_62
.LBB87_54:                              ;   in Loop: Header=BB87_47 Depth=1
	s_or_b32 exec_lo, exec_lo, s9
	v_ashrrev_i32_e32 v9, 31, v8
	s_and_saveexec_b32 s9, s7
	s_cbranch_execnz .LBB87_63
.LBB87_55:                              ;   in Loop: Header=BB87_47 Depth=1
	s_or_b32 exec_lo, exec_lo, s9
	s_and_saveexec_b32 s7, vcc_lo
	s_cbranch_execz .LBB87_46
	s_branch .LBB87_64
.LBB87_56:                              ;   in Loop: Header=BB87_47 Depth=1
	ds_load_b32 v4, v5 offset:12288
	s_waitcnt lgkmcnt(0)
	v_add_nc_u32_e32 v8, v4, v8
	s_or_b32 exec_lo, exec_lo, s9
	s_and_saveexec_b32 s9, s1
	s_cbranch_execz .LBB87_49
.LBB87_57:                              ;   in Loop: Header=BB87_47 Depth=1
	ds_load_b32 v4, v5 offset:12296
	s_waitcnt lgkmcnt(0)
	v_add_nc_u32_e32 v8, v8, v4
	s_or_b32 exec_lo, exec_lo, s9
	s_and_saveexec_b32 s9, s2
	s_cbranch_execz .LBB87_50
.LBB87_58:                              ;   in Loop: Header=BB87_47 Depth=1
	ds_load_b32 v4, v5 offset:12304
	s_waitcnt lgkmcnt(0)
	v_add_nc_u32_e32 v8, v8, v4
	s_or_b32 exec_lo, exec_lo, s9
	s_and_saveexec_b32 s9, s3
	s_cbranch_execz .LBB87_51
.LBB87_59:                              ;   in Loop: Header=BB87_47 Depth=1
	ds_load_b32 v4, v5 offset:12312
	s_waitcnt lgkmcnt(0)
	v_add_nc_u32_e32 v8, v8, v4
	s_or_b32 exec_lo, exec_lo, s9
	s_and_saveexec_b32 s9, s4
	s_cbranch_execz .LBB87_52
.LBB87_60:                              ;   in Loop: Header=BB87_47 Depth=1
	ds_load_b32 v4, v5 offset:12320
	s_waitcnt lgkmcnt(0)
	v_add_nc_u32_e32 v8, v8, v4
	s_or_b32 exec_lo, exec_lo, s9
	s_and_saveexec_b32 s9, s5
	s_cbranch_execz .LBB87_53
.LBB87_61:                              ;   in Loop: Header=BB87_47 Depth=1
	ds_load_b32 v4, v5 offset:12328
	s_waitcnt lgkmcnt(0)
	v_add_nc_u32_e32 v8, v8, v4
	s_or_b32 exec_lo, exec_lo, s9
	s_and_saveexec_b32 s9, s6
	s_cbranch_execz .LBB87_54
.LBB87_62:                              ;   in Loop: Header=BB87_47 Depth=1
	ds_load_b32 v4, v5 offset:12336
	s_waitcnt lgkmcnt(0)
	v_add_nc_u32_e32 v8, v8, v4
	s_or_b32 exec_lo, exec_lo, s9
	s_delay_alu instid0(VALU_DEP_1)
	v_ashrrev_i32_e32 v9, 31, v8
	s_and_saveexec_b32 s9, s7
	s_cbranch_execz .LBB87_55
.LBB87_63:                              ;   in Loop: Header=BB87_47 Depth=1
	v_add3_u32 v4, v2, -1, v8
	s_delay_alu instid0(VALU_DEP_1)
	v_lshl_add_u32 v15, v4, 3, 0
	v_lshl_add_u32 v4, v4, 2, 0
	ds_store_b64 v15, v[6:7]
	ds_store_b32 v4, v14 offset:8192
	s_or_b32 exec_lo, exec_lo, s9
	s_and_saveexec_b32 s7, vcc_lo
	s_cbranch_execz .LBB87_46
.LBB87_64:                              ;   in Loop: Header=BB87_47 Depth=1
	ds_store_b64 v5, v[8:9] offset:12344
	s_branch .LBB87_46
.LBB87_65:
	s_or_b32 exec_lo, exec_lo, s8
	s_lshl_b64 s[0:1], s[28:29], 3
	v_mov_b32_e32 v1, 0
	s_add_u32 s0, s10, s0
	s_addc_u32 s1, s11, s1
	s_mov_b32 s6, exec_lo
	s_load_b128 s[0:3], s[0:1], 0x0
	s_waitcnt lgkmcnt(0)
	s_sub_u32 s4, s2, s0
	s_subb_u32 s5, s3, s1
	s_delay_alu instid0(SALU_CYCLE_1)
	v_cmpx_gt_i64_e64 s[4:5], v[0:1]
	s_cbranch_execz .LBB87_75
; %bb.66:
	s_sub_u32 s8, s0, s22
	s_subb_u32 s9, s1, 0
	s_and_b32 s6, s4, 7
	s_sub_u32 s0, s0, s2
	s_subb_u32 s1, s1, s3
	s_mov_b32 s7, 0
	v_cmp_lt_u64_e64 s12, s[0:1], -7
	s_and_b32 s2, s4, -8
	s_cmp_lg_u64 s[6:7], 0
	s_mov_b32 s3, s5
	s_cselect_b32 s13, -1, 0
	s_mov_b32 s14, s7
	s_branch .LBB87_68
.LBB87_67:                              ;   in Loop: Header=BB87_68 Depth=1
	v_add_co_u32 v0, vcc_lo, 0x200, v0
	v_add_co_ci_u32_e32 v1, vcc_lo, 0, v1, vcc_lo
	s_waitcnt lgkmcnt(1)
	v_lshlrev_b64 v[2:3], 2, v[4:5]
	s_delay_alu instid0(VALU_DEP_2) | instskip(NEXT) | instid1(VALU_DEP_2)
	v_cmp_le_i64_e32 vcc_lo, s[4:5], v[0:1]
	v_add_co_u32 v2, s0, s34, v2
	s_delay_alu instid0(VALU_DEP_1)
	v_add_co_ci_u32_e64 v3, s0, s35, v3, s0
	s_or_b32 s14, vcc_lo, s14
	s_waitcnt lgkmcnt(0)
	global_store_b32 v[2:3], v6, off
	s_and_not1_b32 exec_lo, exec_lo, s14
	s_cbranch_execz .LBB87_75
.LBB87_68:                              ; =>This Loop Header: Depth=1
                                        ;     Child Loop BB87_70 Depth 2
                                        ;     Child Loop BB87_74 Depth 2
	v_lshl_add_u32 v2, v0, 3, 0
	v_lshlrev_b32_e32 v3, 2, v0
	s_and_not1_b32 vcc_lo, exec_lo, s12
	s_mov_b64 s[0:1], 0
	s_delay_alu instid0(VALU_DEP_1)
	v_sub_nc_u32_e32 v4, v2, v3
	ds_load_b64 v[2:3], v2
	ds_load_b32 v6, v4 offset:8192
	v_dual_mov_b32 v4, s8 :: v_dual_mov_b32 v5, s9
	s_cbranch_vccnz .LBB87_72
; %bb.69:                               ;   in Loop: Header=BB87_68 Depth=1
	v_dual_mov_b32 v4, s8 :: v_dual_mov_b32 v5, s9
	s_mov_b64 s[10:11], 0
	s_mov_b32 s1, 0
.LBB87_70:                              ;   Parent Loop BB87_68 Depth=1
                                        ; =>  This Inner Loop Header: Depth=2
	s_delay_alu instid0(SALU_CYCLE_1)
	v_mov_b32_e32 v19, s1
	s_add_u32 s10, s10, 8
	s_addc_u32 s11, s11, 0
	s_add_i32 s1, s1, 64
	s_cmp_eq_u64 s[2:3], s[10:11]
	ds_load_2addr_b64 v[7:10], v19 offset1:1
	ds_load_2addr_b64 v[11:14], v19 offset0:2 offset1:3
	ds_load_2addr_b64 v[15:18], v19 offset0:4 offset1:5
	;; [unrolled: 1-line block ×3, first 2 shown]
	s_waitcnt lgkmcnt(3)
	v_cmp_gt_i64_e32 vcc_lo, v[2:3], v[7:8]
	v_cndmask_b32_e64 v7, 0, 1, vcc_lo
	v_cmp_gt_i64_e32 vcc_lo, v[2:3], v[9:10]
	v_cndmask_b32_e64 v8, 0, 1, vcc_lo
	s_waitcnt lgkmcnt(2)
	v_cmp_gt_i64_e32 vcc_lo, v[2:3], v[11:12]
	v_cndmask_b32_e64 v9, 0, 1, vcc_lo
	v_cmp_gt_i64_e32 vcc_lo, v[2:3], v[13:14]
	v_cndmask_b32_e64 v10, 0, 1, vcc_lo
	s_waitcnt lgkmcnt(1)
	v_cmp_gt_i64_e32 vcc_lo, v[2:3], v[15:16]
	v_cndmask_b32_e64 v11, 0, 1, vcc_lo
	v_add_co_u32 v4, vcc_lo, v4, v7
	v_add_co_ci_u32_e32 v5, vcc_lo, 0, v5, vcc_lo
	v_cmp_gt_i64_e32 vcc_lo, v[2:3], v[17:18]
	s_delay_alu instid0(VALU_DEP_3) | instskip(NEXT) | instid1(VALU_DEP_1)
	v_add_co_u32 v4, s0, v4, v8
	v_add_co_ci_u32_e64 v5, s0, 0, v5, s0
	v_cndmask_b32_e64 v7, 0, 1, vcc_lo
	s_delay_alu instid0(VALU_DEP_3) | instskip(NEXT) | instid1(VALU_DEP_3)
	v_add_co_u32 v4, vcc_lo, v4, v9
	v_add_co_ci_u32_e32 v5, vcc_lo, 0, v5, vcc_lo
	s_waitcnt lgkmcnt(0)
	v_cmp_gt_i64_e32 vcc_lo, v[2:3], v[19:20]
	s_delay_alu instid0(VALU_DEP_3) | instskip(NEXT) | instid1(VALU_DEP_1)
	v_add_co_u32 v4, s0, v4, v10
	v_add_co_ci_u32_e64 v5, s0, 0, v5, s0
	v_cndmask_b32_e64 v8, 0, 1, vcc_lo
	s_delay_alu instid0(VALU_DEP_3) | instskip(NEXT) | instid1(VALU_DEP_3)
	v_add_co_u32 v4, vcc_lo, v4, v11
	v_add_co_ci_u32_e32 v5, vcc_lo, 0, v5, vcc_lo
	v_cmp_gt_i64_e32 vcc_lo, v[2:3], v[21:22]
	s_delay_alu instid0(VALU_DEP_3) | instskip(NEXT) | instid1(VALU_DEP_1)
	v_add_co_u32 v4, s0, v4, v7
	v_add_co_ci_u32_e64 v5, s0, 0, v5, s0
	v_cndmask_b32_e64 v7, 0, 1, vcc_lo
	s_delay_alu instid0(VALU_DEP_3) | instskip(NEXT) | instid1(VALU_DEP_3)
	v_add_co_u32 v4, vcc_lo, v4, v8
	v_add_co_ci_u32_e32 v5, vcc_lo, 0, v5, vcc_lo
	s_delay_alu instid0(VALU_DEP_2) | instskip(NEXT) | instid1(VALU_DEP_2)
	v_add_co_u32 v4, vcc_lo, v4, v7
	v_add_co_ci_u32_e32 v5, vcc_lo, 0, v5, vcc_lo
	s_cbranch_scc0 .LBB87_70
; %bb.71:                               ;   in Loop: Header=BB87_68 Depth=1
	s_mov_b64 s[0:1], s[2:3]
.LBB87_72:                              ;   in Loop: Header=BB87_68 Depth=1
	s_and_not1_b32 vcc_lo, exec_lo, s13
	s_cbranch_vccnz .LBB87_67
; %bb.73:                               ;   in Loop: Header=BB87_68 Depth=1
	s_lshl_b32 s0, s0, 3
	s_delay_alu instid0(SALU_CYCLE_1)
	s_add_i32 s10, s0, 0
	s_mov_b64 s[0:1], s[6:7]
.LBB87_74:                              ;   Parent Loop BB87_68 Depth=1
                                        ; =>  This Inner Loop Header: Depth=2
	v_mov_b32_e32 v7, s10
	s_add_i32 s10, s10, 8
	s_add_u32 s0, s0, -1
	s_addc_u32 s1, s1, -1
	s_delay_alu instid0(SALU_CYCLE_1) | instskip(SKIP_4) | instid1(VALU_DEP_1)
	s_cmp_lg_u64 s[0:1], 0
	ds_load_b64 v[7:8], v7
	s_waitcnt lgkmcnt(0)
	v_cmp_gt_i64_e32 vcc_lo, v[2:3], v[7:8]
	v_cndmask_b32_e64 v7, 0, 1, vcc_lo
	v_add_co_u32 v4, vcc_lo, v4, v7
	v_add_co_ci_u32_e32 v5, vcc_lo, 0, v5, vcc_lo
	s_cbranch_scc1 .LBB87_74
	s_branch .LBB87_67
.LBB87_75:
	s_nop 0
	s_sendmsg sendmsg(MSG_DEALLOC_VGPRS)
	s_endpgm
	.section	.rodata,"a",@progbits
	.p2align	6, 0x0
	.amdhsa_kernel _ZN9rocsparseL41csrgemm_numeric_fill_block_per_row_kernelILj512ELj32ELj1024ELj137ELj64EllfEEvT5_PKS1_S3_NS_24const_host_device_scalarIT6_EEPKT4_S3_PKS5_S9_S3_SB_S6_S9_S3_SB_S9_S3_PS5_21rocsparse_index_base_SD_SD_SD_bbb
		.amdhsa_group_segment_fixed_size 0
		.amdhsa_private_segment_fixed_size 0
		.amdhsa_kernarg_size 156
		.amdhsa_user_sgpr_count 15
		.amdhsa_user_sgpr_dispatch_ptr 0
		.amdhsa_user_sgpr_queue_ptr 0
		.amdhsa_user_sgpr_kernarg_segment_ptr 1
		.amdhsa_user_sgpr_dispatch_id 0
		.amdhsa_user_sgpr_private_segment_size 0
		.amdhsa_wavefront_size32 1
		.amdhsa_uses_dynamic_stack 0
		.amdhsa_enable_private_segment 0
		.amdhsa_system_sgpr_workgroup_id_x 1
		.amdhsa_system_sgpr_workgroup_id_y 0
		.amdhsa_system_sgpr_workgroup_id_z 0
		.amdhsa_system_sgpr_workgroup_info 0
		.amdhsa_system_vgpr_workitem_id 0
		.amdhsa_next_free_vgpr 23
		.amdhsa_next_free_sgpr 42
		.amdhsa_reserve_vcc 1
		.amdhsa_float_round_mode_32 0
		.amdhsa_float_round_mode_16_64 0
		.amdhsa_float_denorm_mode_32 3
		.amdhsa_float_denorm_mode_16_64 3
		.amdhsa_dx10_clamp 1
		.amdhsa_ieee_mode 1
		.amdhsa_fp16_overflow 0
		.amdhsa_workgroup_processor_mode 1
		.amdhsa_memory_ordered 1
		.amdhsa_forward_progress 0
		.amdhsa_shared_vgpr_count 0
		.amdhsa_exception_fp_ieee_invalid_op 0
		.amdhsa_exception_fp_denorm_src 0
		.amdhsa_exception_fp_ieee_div_zero 0
		.amdhsa_exception_fp_ieee_overflow 0
		.amdhsa_exception_fp_ieee_underflow 0
		.amdhsa_exception_fp_ieee_inexact 0
		.amdhsa_exception_int_div_zero 0
	.end_amdhsa_kernel
	.section	.text._ZN9rocsparseL41csrgemm_numeric_fill_block_per_row_kernelILj512ELj32ELj1024ELj137ELj64EllfEEvT5_PKS1_S3_NS_24const_host_device_scalarIT6_EEPKT4_S3_PKS5_S9_S3_SB_S6_S9_S3_SB_S9_S3_PS5_21rocsparse_index_base_SD_SD_SD_bbb,"axG",@progbits,_ZN9rocsparseL41csrgemm_numeric_fill_block_per_row_kernelILj512ELj32ELj1024ELj137ELj64EllfEEvT5_PKS1_S3_NS_24const_host_device_scalarIT6_EEPKT4_S3_PKS5_S9_S3_SB_S6_S9_S3_SB_S9_S3_PS5_21rocsparse_index_base_SD_SD_SD_bbb,comdat
.Lfunc_end87:
	.size	_ZN9rocsparseL41csrgemm_numeric_fill_block_per_row_kernelILj512ELj32ELj1024ELj137ELj64EllfEEvT5_PKS1_S3_NS_24const_host_device_scalarIT6_EEPKT4_S3_PKS5_S9_S3_SB_S6_S9_S3_SB_S9_S3_PS5_21rocsparse_index_base_SD_SD_SD_bbb, .Lfunc_end87-_ZN9rocsparseL41csrgemm_numeric_fill_block_per_row_kernelILj512ELj32ELj1024ELj137ELj64EllfEEvT5_PKS1_S3_NS_24const_host_device_scalarIT6_EEPKT4_S3_PKS5_S9_S3_SB_S6_S9_S3_SB_S9_S3_PS5_21rocsparse_index_base_SD_SD_SD_bbb
                                        ; -- End function
	.section	.AMDGPU.csdata,"",@progbits
; Kernel info:
; codeLenInByte = 3148
; NumSgprs: 44
; NumVgprs: 23
; ScratchSize: 0
; MemoryBound: 0
; FloatMode: 240
; IeeeMode: 1
; LDSByteSize: 0 bytes/workgroup (compile time only)
; SGPRBlocks: 5
; VGPRBlocks: 2
; NumSGPRsForWavesPerEU: 44
; NumVGPRsForWavesPerEU: 23
; Occupancy: 16
; WaveLimiterHint : 1
; COMPUTE_PGM_RSRC2:SCRATCH_EN: 0
; COMPUTE_PGM_RSRC2:USER_SGPR: 15
; COMPUTE_PGM_RSRC2:TRAP_HANDLER: 0
; COMPUTE_PGM_RSRC2:TGID_X_EN: 1
; COMPUTE_PGM_RSRC2:TGID_Y_EN: 0
; COMPUTE_PGM_RSRC2:TGID_Z_EN: 0
; COMPUTE_PGM_RSRC2:TIDIG_COMP_CNT: 0
	.section	.text._ZN9rocsparseL41csrgemm_numeric_fill_block_per_row_kernelILj1024ELj32ELj2048ELj137ELj32EllfEEvT5_PKS1_S3_NS_24const_host_device_scalarIT6_EEPKT4_S3_PKS5_S9_S3_SB_S6_S9_S3_SB_S9_S3_PS5_21rocsparse_index_base_SD_SD_SD_bbb,"axG",@progbits,_ZN9rocsparseL41csrgemm_numeric_fill_block_per_row_kernelILj1024ELj32ELj2048ELj137ELj32EllfEEvT5_PKS1_S3_NS_24const_host_device_scalarIT6_EEPKT4_S3_PKS5_S9_S3_SB_S6_S9_S3_SB_S9_S3_PS5_21rocsparse_index_base_SD_SD_SD_bbb,comdat
	.globl	_ZN9rocsparseL41csrgemm_numeric_fill_block_per_row_kernelILj1024ELj32ELj2048ELj137ELj32EllfEEvT5_PKS1_S3_NS_24const_host_device_scalarIT6_EEPKT4_S3_PKS5_S9_S3_SB_S6_S9_S3_SB_S9_S3_PS5_21rocsparse_index_base_SD_SD_SD_bbb ; -- Begin function _ZN9rocsparseL41csrgemm_numeric_fill_block_per_row_kernelILj1024ELj32ELj2048ELj137ELj32EllfEEvT5_PKS1_S3_NS_24const_host_device_scalarIT6_EEPKT4_S3_PKS5_S9_S3_SB_S6_S9_S3_SB_S9_S3_PS5_21rocsparse_index_base_SD_SD_SD_bbb
	.p2align	8
	.type	_ZN9rocsparseL41csrgemm_numeric_fill_block_per_row_kernelILj1024ELj32ELj2048ELj137ELj32EllfEEvT5_PKS1_S3_NS_24const_host_device_scalarIT6_EEPKT4_S3_PKS5_S9_S3_SB_S6_S9_S3_SB_S9_S3_PS5_21rocsparse_index_base_SD_SD_SD_bbb,@function
_ZN9rocsparseL41csrgemm_numeric_fill_block_per_row_kernelILj1024ELj32ELj2048ELj137ELj32EllfEEvT5_PKS1_S3_NS_24const_host_device_scalarIT6_EEPKT4_S3_PKS5_S9_S3_SB_S6_S9_S3_SB_S9_S3_PS5_21rocsparse_index_base_SD_SD_SD_bbb: ; @_ZN9rocsparseL41csrgemm_numeric_fill_block_per_row_kernelILj1024ELj32ELj2048ELj137ELj32EllfEEvT5_PKS1_S3_NS_24const_host_device_scalarIT6_EEPKT4_S3_PKS5_S9_S3_SB_S6_S9_S3_SB_S9_S3_PS5_21rocsparse_index_base_SD_SD_SD_bbb
; %bb.0:
	s_clause 0x3
	s_load_b32 s3, s[0:1], 0x98
	s_load_b128 s[44:47], s[0:1], 0x88
	s_load_b64 s[4:5], s[0:1], 0x18
	s_load_b64 s[20:21], s[0:1], 0x50
	s_mov_b32 s2, s15
	s_waitcnt lgkmcnt(0)
	s_bitcmp1_b32 s3, 0
	s_cselect_b32 s23, -1, 0
	s_bitcmp1_b32 s3, 16
	s_cselect_b32 s24, -1, 0
	s_xor_b32 s6, s23, -1
	s_delay_alu instid0(SALU_CYCLE_1) | instskip(NEXT) | instid1(SALU_CYCLE_1)
	s_or_b32 s6, s6, s24
	s_and_b32 vcc_lo, exec_lo, s6
	s_cbranch_vccnz .LBB88_2
; %bb.1:
	s_load_b32 s4, s[4:5], 0x0
	s_waitcnt lgkmcnt(0)
	v_mov_b32_e32 v16, s4
	s_branch .LBB88_3
.LBB88_2:
	v_cndmask_b32_e64 v16, 0, s4, s23
.LBB88_3:
	s_clause 0x4
	s_load_b64 s[34:35], s[0:1], 0x80
	s_load_b256 s[36:43], s[0:1], 0x58
	s_load_b128 s[12:15], s[0:1], 0x40
	s_load_b128 s[16:19], s[0:1], 0x8
	s_load_b256 s[4:11], s[0:1], 0x20
	s_bitcmp1_b32 s3, 8
	s_cselect_b32 s22, -1, 0
	s_delay_alu instid0(SALU_CYCLE_1) | instskip(NEXT) | instid1(SALU_CYCLE_1)
	s_xor_b32 s3, s22, -1
	s_or_b32 s3, s3, s24
	s_delay_alu instid0(SALU_CYCLE_1)
	s_and_b32 vcc_lo, exec_lo, s3
	s_cbranch_vccnz .LBB88_5
; %bb.4:
	s_load_b32 s3, s[20:21], 0x0
	s_waitcnt lgkmcnt(0)
	v_mov_b32_e32 v14, s3
	s_branch .LBB88_6
.LBB88_5:
	v_cndmask_b32_e64 v14, 0, s20, s22
.LBB88_6:
	s_load_b64 s[48:49], s[0:1], 0x0
	v_lshl_add_u32 v11, v0, 3, 0
	v_lshlrev_b32_e32 v1, 2, v0
	v_or_b32_e32 v12, 0xfffffc00, v0
	v_mov_b32_e32 v3, 0
	s_mov_b32 s0, 0
	v_mov_b32_e32 v4, v11
	v_add3_u32 v13, v1, 0, 0x4000
	s_delay_alu instid0(VALU_DEP_1)
	v_dual_mov_b32 v5, v12 :: v_dual_mov_b32 v6, v13
	s_waitcnt lgkmcnt(0)
	v_dual_mov_b32 v1, s48 :: v_dual_mov_b32 v2, s49
.LBB88_7:                               ; =>This Inner Loop Header: Depth=1
	s_delay_alu instid0(VALU_DEP_2) | instskip(NEXT) | instid1(VALU_DEP_1)
	v_add_co_u32 v5, s1, 0x400, v5
	s_xor_b32 s1, s1, -1
	ds_store_b64 v4, v[1:2]
	ds_store_b32 v6, v3
	v_add_nc_u32_e32 v6, 0x1000, v6
	v_add_nc_u32_e32 v4, 0x2000, v4
	s_and_b32 s1, exec_lo, s1
	s_delay_alu instid0(SALU_CYCLE_1) | instskip(NEXT) | instid1(SALU_CYCLE_1)
	s_or_b32 s0, s1, s0
	s_and_not1_b32 exec_lo, exec_lo, s0
	s_cbranch_execnz .LBB88_7
; %bb.8:
	s_or_b32 exec_lo, exec_lo, s0
	s_waitcnt lgkmcnt(0)
	s_barrier
	buffer_gl0_inv
	s_load_b64 s[0:1], s[16:17], 0x0
	s_mov_b32 s3, 0
	v_lshrrev_b32_e32 v15, 5, v0
	s_waitcnt lgkmcnt(0)
	s_lshl_b64 s[0:1], s[0:1], 3
	s_delay_alu instid0(SALU_CYCLE_1) | instskip(SKIP_2) | instid1(SALU_CYCLE_1)
	s_add_u32 s16, s18, s0
	s_addc_u32 s17, s19, s1
	s_lshl_b64 s[0:1], s[2:3], 3
	s_add_u32 s0, s16, s0
	s_addc_u32 s1, s17, s1
	s_and_b32 vcc_lo, exec_lo, s23
	s_load_b64 s[50:51], s[0:1], 0x0
	s_cbranch_vccz .LBB88_28
; %bb.9:
	s_waitcnt lgkmcnt(0)
	s_lshl_b64 s[0:1], s[50:51], 3
	s_delay_alu instid0(SALU_CYCLE_1)
	s_add_u32 s0, s4, s0
	s_addc_u32 s1, s5, s1
	v_sub_co_u32 v1, s4, v15, s44
	s_load_b128 s[0:3], s[0:1], 0x0
	v_sub_co_ci_u32_e64 v2, null, 0, 0, s4
	s_waitcnt lgkmcnt(0)
	s_delay_alu instid0(VALU_DEP_2) | instskip(NEXT) | instid1(VALU_DEP_2)
	v_add_co_u32 v1, vcc_lo, s0, v1
	v_add_co_ci_u32_e32 v2, vcc_lo, s1, v2, vcc_lo
	s_sub_u32 s0, s2, s44
	s_subb_u32 s1, s3, 0
	s_mov_b32 s2, exec_lo
	s_delay_alu instid0(VALU_DEP_1)
	v_cmpx_gt_i64_e64 s[0:1], v[1:2]
	s_cbranch_execz .LBB88_27
; %bb.10:
	v_and_b32_e32 v3, 31, v0
	s_mov_b32 s4, s45
	s_delay_alu instid0(VALU_DEP_1) | instskip(NEXT) | instid1(VALU_DEP_1)
	v_sub_co_u32 v17, s3, v3, s45
	v_sub_co_ci_u32_e64 v18, null, 0, 0, s3
	s_mov_b32 s3, 0
	s_branch .LBB88_12
.LBB88_11:                              ;   in Loop: Header=BB88_12 Depth=1
	s_or_b32 exec_lo, exec_lo, s5
	v_add_co_u32 v1, vcc_lo, v1, 32
	v_add_co_ci_u32_e32 v2, vcc_lo, 0, v2, vcc_lo
	s_delay_alu instid0(VALU_DEP_1) | instskip(SKIP_1) | instid1(SALU_CYCLE_1)
	v_cmp_le_i64_e32 vcc_lo, s[0:1], v[1:2]
	s_or_b32 s3, vcc_lo, s3
	s_and_not1_b32 exec_lo, exec_lo, s3
	s_cbranch_execz .LBB88_27
.LBB88_12:                              ; =>This Loop Header: Depth=1
                                        ;     Child Loop BB88_15 Depth 2
                                        ;       Child Loop BB88_17 Depth 3
	v_lshlrev_b64 v[3:4], 3, v[1:2]
	s_mov_b32 s5, exec_lo
	s_delay_alu instid0(VALU_DEP_1) | instskip(NEXT) | instid1(VALU_DEP_2)
	v_add_co_u32 v3, vcc_lo, s6, v3
	v_add_co_ci_u32_e32 v4, vcc_lo, s7, v4, vcc_lo
	global_load_b64 v[3:4], v[3:4], off
	s_waitcnt vmcnt(0)
	v_sub_co_u32 v3, vcc_lo, v3, s44
	v_subrev_co_ci_u32_e32 v4, vcc_lo, 0, v4, vcc_lo
	s_delay_alu instid0(VALU_DEP_1) | instskip(NEXT) | instid1(VALU_DEP_1)
	v_lshlrev_b64 v[3:4], 3, v[3:4]
	v_add_co_u32 v3, vcc_lo, s10, v3
	s_delay_alu instid0(VALU_DEP_2)
	v_add_co_ci_u32_e32 v4, vcc_lo, s11, v4, vcc_lo
	global_load_b128 v[5:8], v[3:4], off
	s_waitcnt vmcnt(0)
	v_sub_co_u32 v3, vcc_lo, v7, s4
	v_subrev_co_ci_u32_e32 v4, vcc_lo, 0, v8, vcc_lo
	v_add_co_u32 v5, vcc_lo, v5, v17
	v_add_co_ci_u32_e32 v6, vcc_lo, v6, v18, vcc_lo
	s_delay_alu instid0(VALU_DEP_1)
	v_cmpx_lt_i64_e64 v[5:6], v[3:4]
	s_cbranch_execz .LBB88_11
; %bb.13:                               ;   in Loop: Header=BB88_12 Depth=1
	v_lshlrev_b64 v[7:8], 2, v[1:2]
	s_mov_b32 s16, 0
	s_delay_alu instid0(VALU_DEP_1) | instskip(NEXT) | instid1(VALU_DEP_2)
	v_add_co_u32 v7, vcc_lo, s8, v7
	v_add_co_ci_u32_e32 v8, vcc_lo, s9, v8, vcc_lo
	global_load_b32 v7, v[7:8], off
	s_waitcnt vmcnt(0)
	v_mul_f32_e32 v19, v16, v7
	s_branch .LBB88_15
.LBB88_14:                              ;   in Loop: Header=BB88_15 Depth=2
	s_or_b32 exec_lo, exec_lo, s17
	v_add_co_u32 v5, vcc_lo, v5, 32
	v_add_co_ci_u32_e32 v6, vcc_lo, 0, v6, vcc_lo
	s_delay_alu instid0(VALU_DEP_1) | instskip(SKIP_1) | instid1(SALU_CYCLE_1)
	v_cmp_ge_i64_e32 vcc_lo, v[5:6], v[3:4]
	s_or_b32 s16, vcc_lo, s16
	s_and_not1_b32 exec_lo, exec_lo, s16
	s_cbranch_execz .LBB88_11
.LBB88_15:                              ;   Parent Loop BB88_12 Depth=1
                                        ; =>  This Loop Header: Depth=2
                                        ;       Child Loop BB88_17 Depth 3
	v_lshlrev_b64 v[7:8], 3, v[5:6]
	v_lshlrev_b64 v[9:10], 2, v[5:6]
	s_mov_b32 s17, 0
	s_delay_alu instid0(VALU_DEP_2) | instskip(NEXT) | instid1(VALU_DEP_3)
	v_add_co_u32 v7, vcc_lo, s12, v7
	v_add_co_ci_u32_e32 v8, vcc_lo, s13, v8, vcc_lo
	s_delay_alu instid0(VALU_DEP_3) | instskip(NEXT) | instid1(VALU_DEP_4)
	v_add_co_u32 v9, vcc_lo, s14, v9
	v_add_co_ci_u32_e32 v10, vcc_lo, s15, v10, vcc_lo
	global_load_b64 v[7:8], v[7:8], off
	global_load_b32 v9, v[9:10], off
	s_waitcnt vmcnt(1)
	v_sub_co_u32 v7, vcc_lo, v7, s4
	v_subrev_co_ci_u32_e32 v8, vcc_lo, 0, v8, vcc_lo
	s_delay_alu instid0(VALU_DEP_2) | instskip(SKIP_1) | instid1(VALU_DEP_1)
	v_mul_lo_u32 v10, 0x89, v7
	s_waitcnt vmcnt(0)
	v_dual_mul_f32 v20, v19, v9 :: v_dual_and_b32 v21, 0x7ff, v10
	s_branch .LBB88_17
.LBB88_16:                              ;   in Loop: Header=BB88_17 Depth=3
	s_or_b32 exec_lo, exec_lo, s18
	s_xor_b32 s18, s19, -1
	s_delay_alu instid0(SALU_CYCLE_1) | instskip(NEXT) | instid1(SALU_CYCLE_1)
	s_and_b32 s18, exec_lo, s18
	s_or_b32 s17, s18, s17
	s_delay_alu instid0(SALU_CYCLE_1)
	s_and_not1_b32 exec_lo, exec_lo, s17
	s_cbranch_execz .LBB88_14
.LBB88_17:                              ;   Parent Loop BB88_12 Depth=1
                                        ;     Parent Loop BB88_15 Depth=2
                                        ; =>    This Inner Loop Header: Depth=3
	s_delay_alu instid0(VALU_DEP_1)
	v_lshl_add_u32 v22, v21, 3, 0
	s_mov_b32 s18, exec_lo
                                        ; implicit-def: $sgpr19
	ds_load_b64 v[9:10], v22
	s_waitcnt lgkmcnt(0)
	v_cmpx_ne_u64_e64 v[9:10], v[7:8]
	s_xor_b32 s18, exec_lo, s18
	s_cbranch_execz .LBB88_25
; %bb.18:                               ;   in Loop: Header=BB88_17 Depth=3
	s_mov_b32 s20, exec_lo
                                        ; implicit-def: $sgpr19
	v_cmpx_ne_u64_e64 s[48:49], v[9:10]
	s_xor_b32 s20, exec_lo, s20
; %bb.19:                               ;   in Loop: Header=BB88_17 Depth=3
	v_add_nc_u32_e32 v9, 1, v21
	s_mov_b32 s19, -1
                                        ; implicit-def: $vgpr22
	s_delay_alu instid0(VALU_DEP_1)
	v_and_b32_e32 v21, 0x7ff, v9
; %bb.20:                               ;   in Loop: Header=BB88_17 Depth=3
	s_and_not1_saveexec_b32 s20, s20
	s_cbranch_execz .LBB88_24
; %bb.21:                               ;   in Loop: Header=BB88_17 Depth=3
	v_dual_mov_b32 v9, s48 :: v_dual_mov_b32 v10, s49
	s_mov_b32 s21, -1
	s_mov_b32 s23, exec_lo
	ds_cmpstore_rtn_b64 v[9:10], v22, v[7:8], v[9:10]
	s_waitcnt lgkmcnt(0)
	v_cmpx_eq_u64_e64 s[48:49], v[9:10]
	s_cbranch_execz .LBB88_23
; %bb.22:                               ;   in Loop: Header=BB88_17 Depth=3
	v_lshlrev_b32_e32 v9, 2, v21
	s_xor_b32 s21, exec_lo, -1
	s_delay_alu instid0(VALU_DEP_1)
	v_sub_nc_u32_e32 v9, v22, v9
	ds_add_f32 v9, v20 offset:16384
.LBB88_23:                              ;   in Loop: Header=BB88_17 Depth=3
	s_or_b32 exec_lo, exec_lo, s23
	s_delay_alu instid0(SALU_CYCLE_1) | instskip(SKIP_1) | instid1(SALU_CYCLE_1)
	s_and_not1_b32 s19, s19, exec_lo
	s_and_b32 s21, s21, exec_lo
	s_or_b32 s19, s19, s21
.LBB88_24:                              ;   in Loop: Header=BB88_17 Depth=3
	s_or_b32 exec_lo, exec_lo, s20
	s_delay_alu instid0(SALU_CYCLE_1)
	s_and_b32 s19, s19, exec_lo
                                        ; implicit-def: $vgpr22
.LBB88_25:                              ;   in Loop: Header=BB88_17 Depth=3
	s_and_not1_saveexec_b32 s18, s18
	s_cbranch_execz .LBB88_16
; %bb.26:                               ;   in Loop: Header=BB88_17 Depth=3
	v_lshlrev_b32_e32 v9, 2, v21
	s_and_not1_b32 s19, s19, exec_lo
	s_delay_alu instid0(VALU_DEP_1)
	v_sub_nc_u32_e32 v9, v22, v9
	ds_add_f32 v9, v20 offset:16384
	s_branch .LBB88_16
.LBB88_27:
	s_or_b32 exec_lo, exec_lo, s2
.LBB88_28:
	s_delay_alu instid0(SALU_CYCLE_1)
	s_and_not1_b32 vcc_lo, exec_lo, s22
	s_cbranch_vccnz .LBB88_45
; %bb.29:
	s_waitcnt lgkmcnt(0)
	s_lshl_b64 s[0:1], s[50:51], 3
	v_sub_co_u32 v1, s4, v0, s47
	s_add_u32 s0, s36, s0
	s_addc_u32 s1, s37, s1
	v_sub_co_ci_u32_e64 v2, null, 0, 0, s4
	s_load_b128 s[0:3], s[0:1], 0x0
	s_waitcnt lgkmcnt(0)
	v_add_co_u32 v1, vcc_lo, s0, v1
	s_delay_alu instid0(VALU_DEP_2)
	v_add_co_ci_u32_e32 v2, vcc_lo, s1, v2, vcc_lo
	s_sub_u32 s0, s2, s47
	s_subb_u32 s1, s3, 0
	s_mov_b32 s2, 0
	s_mov_b32 s3, exec_lo
	v_cmpx_gt_i64_e64 s[0:1], v[1:2]
	s_cbranch_execz .LBB88_44
; %bb.30:
	s_mov_b32 s4, s47
	s_branch .LBB88_32
.LBB88_31:                              ;   in Loop: Header=BB88_32 Depth=1
	s_or_b32 exec_lo, exec_lo, s5
	v_add_co_u32 v1, vcc_lo, 0x400, v1
	v_add_co_ci_u32_e32 v2, vcc_lo, 0, v2, vcc_lo
	s_delay_alu instid0(VALU_DEP_1) | instskip(SKIP_1) | instid1(SALU_CYCLE_1)
	v_cmp_le_i64_e32 vcc_lo, s[0:1], v[1:2]
	s_or_b32 s2, vcc_lo, s2
	s_and_not1_b32 exec_lo, exec_lo, s2
	s_cbranch_execz .LBB88_44
.LBB88_32:                              ; =>This Loop Header: Depth=1
                                        ;     Child Loop BB88_34 Depth 2
	v_lshlrev_b64 v[3:4], 3, v[1:2]
	v_lshlrev_b64 v[5:6], 2, v[1:2]
	s_mov_b32 s5, 0
	s_delay_alu instid0(VALU_DEP_2) | instskip(NEXT) | instid1(VALU_DEP_3)
	v_add_co_u32 v3, vcc_lo, s38, v3
	v_add_co_ci_u32_e32 v4, vcc_lo, s39, v4, vcc_lo
	s_delay_alu instid0(VALU_DEP_3) | instskip(NEXT) | instid1(VALU_DEP_4)
	v_add_co_u32 v5, vcc_lo, s40, v5
	v_add_co_ci_u32_e32 v6, vcc_lo, s41, v6, vcc_lo
	global_load_b64 v[3:4], v[3:4], off
	global_load_b32 v5, v[5:6], off
	s_waitcnt vmcnt(1)
	v_sub_co_u32 v3, vcc_lo, v3, s4
	v_subrev_co_ci_u32_e32 v4, vcc_lo, 0, v4, vcc_lo
	s_delay_alu instid0(VALU_DEP_2) | instskip(SKIP_1) | instid1(VALU_DEP_1)
	v_mul_lo_u32 v6, 0x89, v3
	s_waitcnt vmcnt(0)
	v_dual_mul_f32 v7, v14, v5 :: v_dual_and_b32 v8, 0x7ff, v6
	s_branch .LBB88_34
.LBB88_33:                              ;   in Loop: Header=BB88_34 Depth=2
	s_or_b32 exec_lo, exec_lo, s6
	s_xor_b32 s6, s7, -1
	s_delay_alu instid0(SALU_CYCLE_1) | instskip(NEXT) | instid1(SALU_CYCLE_1)
	s_and_b32 s6, exec_lo, s6
	s_or_b32 s5, s6, s5
	s_delay_alu instid0(SALU_CYCLE_1)
	s_and_not1_b32 exec_lo, exec_lo, s5
	s_cbranch_execz .LBB88_31
.LBB88_34:                              ;   Parent Loop BB88_32 Depth=1
                                        ; =>  This Inner Loop Header: Depth=2
	s_delay_alu instid0(VALU_DEP_1)
	v_lshl_add_u32 v9, v8, 3, 0
	s_mov_b32 s6, exec_lo
                                        ; implicit-def: $sgpr7
	ds_load_b64 v[5:6], v9
	s_waitcnt lgkmcnt(0)
	v_cmpx_ne_u64_e64 v[5:6], v[3:4]
	s_xor_b32 s6, exec_lo, s6
	s_cbranch_execz .LBB88_42
; %bb.35:                               ;   in Loop: Header=BB88_34 Depth=2
	s_mov_b32 s8, exec_lo
                                        ; implicit-def: $sgpr7
	v_cmpx_ne_u64_e64 s[48:49], v[5:6]
	s_xor_b32 s8, exec_lo, s8
; %bb.36:                               ;   in Loop: Header=BB88_34 Depth=2
	v_add_nc_u32_e32 v5, 1, v8
	s_mov_b32 s7, -1
                                        ; implicit-def: $vgpr9
	s_delay_alu instid0(VALU_DEP_1)
	v_and_b32_e32 v8, 0x7ff, v5
; %bb.37:                               ;   in Loop: Header=BB88_34 Depth=2
	s_and_not1_saveexec_b32 s8, s8
	s_cbranch_execz .LBB88_41
; %bb.38:                               ;   in Loop: Header=BB88_34 Depth=2
	v_dual_mov_b32 v5, s48 :: v_dual_mov_b32 v6, s49
	s_mov_b32 s9, -1
	s_mov_b32 s10, exec_lo
	ds_cmpstore_rtn_b64 v[5:6], v9, v[3:4], v[5:6]
	s_waitcnt lgkmcnt(0)
	v_cmpx_eq_u64_e64 s[48:49], v[5:6]
	s_cbranch_execz .LBB88_40
; %bb.39:                               ;   in Loop: Header=BB88_34 Depth=2
	v_lshlrev_b32_e32 v5, 2, v8
	s_xor_b32 s9, exec_lo, -1
	s_delay_alu instid0(VALU_DEP_1)
	v_sub_nc_u32_e32 v5, v9, v5
	ds_add_f32 v5, v7 offset:16384
.LBB88_40:                              ;   in Loop: Header=BB88_34 Depth=2
	s_or_b32 exec_lo, exec_lo, s10
	s_delay_alu instid0(SALU_CYCLE_1) | instskip(SKIP_1) | instid1(SALU_CYCLE_1)
	s_and_not1_b32 s7, s7, exec_lo
	s_and_b32 s9, s9, exec_lo
	s_or_b32 s7, s7, s9
.LBB88_41:                              ;   in Loop: Header=BB88_34 Depth=2
	s_or_b32 exec_lo, exec_lo, s8
	s_delay_alu instid0(SALU_CYCLE_1)
	s_and_b32 s7, s7, exec_lo
                                        ; implicit-def: $vgpr9
.LBB88_42:                              ;   in Loop: Header=BB88_34 Depth=2
	s_and_not1_saveexec_b32 s6, s6
	s_cbranch_execz .LBB88_33
; %bb.43:                               ;   in Loop: Header=BB88_34 Depth=2
	v_lshlrev_b32_e32 v5, 2, v8
	s_and_not1_b32 s7, s7, exec_lo
	s_delay_alu instid0(VALU_DEP_1)
	v_sub_nc_u32_e32 v5, v9, v5
	ds_add_f32 v5, v7 offset:16384
	s_branch .LBB88_33
.LBB88_44:
	s_or_b32 exec_lo, exec_lo, s3
.LBB88_45:
	v_mbcnt_lo_u32_b32 v1, -1, 0
	v_lshl_add_u32 v10, v15, 3, 0
	v_cmp_eq_u32_e32 vcc_lo, 0x3ff, v0
	v_cmp_lt_u32_e64 s0, 31, v0
	v_cmp_lt_u32_e64 s1, 63, v0
	v_xor_b32_e32 v1, 63, v1
	v_cmp_lt_u32_e64 s2, 0x5f, v0
	v_cmp_lt_u32_e64 s3, 0x7f, v0
	;; [unrolled: 1-line block ×4, first 2 shown]
	v_lshrrev_b64 v[1:2], v1, -1
	v_dual_mov_b32 v2, 0 :: v_dual_mov_b32 v5, 0
	v_cmp_lt_u32_e64 s6, 0xdf, v0
	v_cmp_lt_u32_e64 s7, 0xff, v0
	;; [unrolled: 1-line block ×25, first 2 shown]
	v_mov_b32_e32 v3, 0
	s_mov_b32 s33, 0
	s_waitcnt lgkmcnt(0)
	s_barrier
	buffer_gl0_inv
	s_branch .LBB88_47
.LBB88_46:                              ;   in Loop: Header=BB88_47 Depth=1
	s_or_b32 exec_lo, exec_lo, s31
	s_waitcnt lgkmcnt(0)
	s_barrier
	buffer_gl0_inv
	ds_load_b64 v[6:7], v5 offset:24824
	v_add_co_u32 v12, s31, 0x400, v12
	s_delay_alu instid0(VALU_DEP_1) | instskip(SKIP_4) | instid1(VALU_DEP_1)
	s_xor_b32 s36, s31, -1
	v_add_nc_u32_e32 v13, 0x1000, v13
	v_add_nc_u32_e32 v11, 0x2000, v11
	s_waitcnt lgkmcnt(0)
	v_add_co_u32 v2, s31, v6, v2
	v_add_co_ci_u32_e64 v3, s31, v7, v3, s31
	s_and_b32 s31, exec_lo, s36
	s_delay_alu instid0(SALU_CYCLE_1) | instskip(NEXT) | instid1(SALU_CYCLE_1)
	s_or_b32 s33, s31, s33
	s_and_not1_b32 exec_lo, exec_lo, s33
	s_cbranch_execz .LBB88_113
.LBB88_47:                              ; =>This Inner Loop Header: Depth=1
	ds_load_b64 v[6:7], v11
	ds_load_b32 v14, v13
	s_waitcnt lgkmcnt(0)
	s_barrier
	buffer_gl0_inv
	v_cmp_gt_i64_e64 s31, s[48:49], v[6:7]
	s_delay_alu instid0(VALU_DEP_1) | instskip(SKIP_1) | instid1(SALU_CYCLE_1)
	v_and_b32_e32 v8, s31, v1
	s_bcnt1_i32_b32 s36, s31
	v_mov_b32_e32 v4, s36
	s_delay_alu instid0(VALU_DEP_2)
	v_bcnt_u32_b32 v8, v8, 0
	ds_store_b64 v10, v[4:5] offset:24576
	s_waitcnt lgkmcnt(0)
	s_barrier
	buffer_gl0_inv
	s_and_saveexec_b32 s36, s0
	s_cbranch_execnz .LBB88_80
; %bb.48:                               ;   in Loop: Header=BB88_47 Depth=1
	s_or_b32 exec_lo, exec_lo, s36
	s_and_saveexec_b32 s36, s1
	s_cbranch_execnz .LBB88_81
.LBB88_49:                              ;   in Loop: Header=BB88_47 Depth=1
	s_or_b32 exec_lo, exec_lo, s36
	s_and_saveexec_b32 s36, s2
	s_cbranch_execnz .LBB88_82
.LBB88_50:                              ;   in Loop: Header=BB88_47 Depth=1
	s_or_b32 exec_lo, exec_lo, s36
	s_and_saveexec_b32 s36, s3
	s_cbranch_execnz .LBB88_83
.LBB88_51:                              ;   in Loop: Header=BB88_47 Depth=1
	s_or_b32 exec_lo, exec_lo, s36
	s_and_saveexec_b32 s36, s4
	s_cbranch_execnz .LBB88_84
.LBB88_52:                              ;   in Loop: Header=BB88_47 Depth=1
	s_or_b32 exec_lo, exec_lo, s36
	s_and_saveexec_b32 s36, s5
	s_cbranch_execnz .LBB88_85
.LBB88_53:                              ;   in Loop: Header=BB88_47 Depth=1
	s_or_b32 exec_lo, exec_lo, s36
	s_and_saveexec_b32 s36, s6
	s_cbranch_execnz .LBB88_86
.LBB88_54:                              ;   in Loop: Header=BB88_47 Depth=1
	s_or_b32 exec_lo, exec_lo, s36
	s_and_saveexec_b32 s36, s7
	s_cbranch_execnz .LBB88_87
.LBB88_55:                              ;   in Loop: Header=BB88_47 Depth=1
	s_or_b32 exec_lo, exec_lo, s36
	s_and_saveexec_b32 s36, s8
	s_cbranch_execnz .LBB88_88
.LBB88_56:                              ;   in Loop: Header=BB88_47 Depth=1
	s_or_b32 exec_lo, exec_lo, s36
	s_and_saveexec_b32 s36, s9
	s_cbranch_execnz .LBB88_89
.LBB88_57:                              ;   in Loop: Header=BB88_47 Depth=1
	s_or_b32 exec_lo, exec_lo, s36
	s_and_saveexec_b32 s36, s10
	s_cbranch_execnz .LBB88_90
.LBB88_58:                              ;   in Loop: Header=BB88_47 Depth=1
	s_or_b32 exec_lo, exec_lo, s36
	s_and_saveexec_b32 s36, s11
	s_cbranch_execnz .LBB88_91
.LBB88_59:                              ;   in Loop: Header=BB88_47 Depth=1
	s_or_b32 exec_lo, exec_lo, s36
	s_and_saveexec_b32 s36, s12
	s_cbranch_execnz .LBB88_92
.LBB88_60:                              ;   in Loop: Header=BB88_47 Depth=1
	s_or_b32 exec_lo, exec_lo, s36
	s_and_saveexec_b32 s36, s13
	s_cbranch_execnz .LBB88_93
.LBB88_61:                              ;   in Loop: Header=BB88_47 Depth=1
	s_or_b32 exec_lo, exec_lo, s36
	s_and_saveexec_b32 s36, s14
	s_cbranch_execnz .LBB88_94
.LBB88_62:                              ;   in Loop: Header=BB88_47 Depth=1
	s_or_b32 exec_lo, exec_lo, s36
	s_and_saveexec_b32 s36, s15
	s_cbranch_execnz .LBB88_95
.LBB88_63:                              ;   in Loop: Header=BB88_47 Depth=1
	s_or_b32 exec_lo, exec_lo, s36
	s_and_saveexec_b32 s36, s16
	s_cbranch_execnz .LBB88_96
.LBB88_64:                              ;   in Loop: Header=BB88_47 Depth=1
	s_or_b32 exec_lo, exec_lo, s36
	s_and_saveexec_b32 s36, s17
	s_cbranch_execnz .LBB88_97
.LBB88_65:                              ;   in Loop: Header=BB88_47 Depth=1
	s_or_b32 exec_lo, exec_lo, s36
	s_and_saveexec_b32 s36, s18
	s_cbranch_execnz .LBB88_98
.LBB88_66:                              ;   in Loop: Header=BB88_47 Depth=1
	s_or_b32 exec_lo, exec_lo, s36
	s_and_saveexec_b32 s36, s19
	s_cbranch_execnz .LBB88_99
.LBB88_67:                              ;   in Loop: Header=BB88_47 Depth=1
	s_or_b32 exec_lo, exec_lo, s36
	s_and_saveexec_b32 s36, s20
	s_cbranch_execnz .LBB88_100
.LBB88_68:                              ;   in Loop: Header=BB88_47 Depth=1
	s_or_b32 exec_lo, exec_lo, s36
	s_and_saveexec_b32 s36, s21
	s_cbranch_execnz .LBB88_101
.LBB88_69:                              ;   in Loop: Header=BB88_47 Depth=1
	s_or_b32 exec_lo, exec_lo, s36
	s_and_saveexec_b32 s36, s22
	s_cbranch_execnz .LBB88_102
.LBB88_70:                              ;   in Loop: Header=BB88_47 Depth=1
	s_or_b32 exec_lo, exec_lo, s36
	s_and_saveexec_b32 s36, s23
	s_cbranch_execnz .LBB88_103
.LBB88_71:                              ;   in Loop: Header=BB88_47 Depth=1
	s_or_b32 exec_lo, exec_lo, s36
	s_and_saveexec_b32 s36, s24
	s_cbranch_execnz .LBB88_104
.LBB88_72:                              ;   in Loop: Header=BB88_47 Depth=1
	s_or_b32 exec_lo, exec_lo, s36
	s_and_saveexec_b32 s36, s25
	s_cbranch_execnz .LBB88_105
.LBB88_73:                              ;   in Loop: Header=BB88_47 Depth=1
	s_or_b32 exec_lo, exec_lo, s36
	s_and_saveexec_b32 s36, s26
	s_cbranch_execnz .LBB88_106
.LBB88_74:                              ;   in Loop: Header=BB88_47 Depth=1
	s_or_b32 exec_lo, exec_lo, s36
	s_and_saveexec_b32 s36, s27
	s_cbranch_execnz .LBB88_107
.LBB88_75:                              ;   in Loop: Header=BB88_47 Depth=1
	s_or_b32 exec_lo, exec_lo, s36
	s_and_saveexec_b32 s36, s28
	s_cbranch_execnz .LBB88_108
.LBB88_76:                              ;   in Loop: Header=BB88_47 Depth=1
	s_or_b32 exec_lo, exec_lo, s36
	s_and_saveexec_b32 s36, s29
	s_cbranch_execnz .LBB88_109
.LBB88_77:                              ;   in Loop: Header=BB88_47 Depth=1
	s_or_b32 exec_lo, exec_lo, s36
	s_and_saveexec_b32 s36, s30
	s_cbranch_execnz .LBB88_110
.LBB88_78:                              ;   in Loop: Header=BB88_47 Depth=1
	s_or_b32 exec_lo, exec_lo, s36
	v_ashrrev_i32_e32 v9, 31, v8
	s_and_saveexec_b32 s36, s31
	s_cbranch_execnz .LBB88_111
.LBB88_79:                              ;   in Loop: Header=BB88_47 Depth=1
	s_or_b32 exec_lo, exec_lo, s36
	s_and_saveexec_b32 s31, vcc_lo
	s_cbranch_execz .LBB88_46
	s_branch .LBB88_112
.LBB88_80:                              ;   in Loop: Header=BB88_47 Depth=1
	ds_load_b32 v4, v5 offset:24576
	s_waitcnt lgkmcnt(0)
	v_add_nc_u32_e32 v8, v4, v8
	s_or_b32 exec_lo, exec_lo, s36
	s_and_saveexec_b32 s36, s1
	s_cbranch_execz .LBB88_49
.LBB88_81:                              ;   in Loop: Header=BB88_47 Depth=1
	ds_load_b32 v4, v5 offset:24584
	s_waitcnt lgkmcnt(0)
	v_add_nc_u32_e32 v8, v8, v4
	s_or_b32 exec_lo, exec_lo, s36
	s_and_saveexec_b32 s36, s2
	s_cbranch_execz .LBB88_50
.LBB88_82:                              ;   in Loop: Header=BB88_47 Depth=1
	ds_load_b32 v4, v5 offset:24592
	s_waitcnt lgkmcnt(0)
	v_add_nc_u32_e32 v8, v8, v4
	s_or_b32 exec_lo, exec_lo, s36
	s_and_saveexec_b32 s36, s3
	s_cbranch_execz .LBB88_51
.LBB88_83:                              ;   in Loop: Header=BB88_47 Depth=1
	ds_load_b32 v4, v5 offset:24600
	s_waitcnt lgkmcnt(0)
	v_add_nc_u32_e32 v8, v8, v4
	s_or_b32 exec_lo, exec_lo, s36
	s_and_saveexec_b32 s36, s4
	s_cbranch_execz .LBB88_52
.LBB88_84:                              ;   in Loop: Header=BB88_47 Depth=1
	ds_load_b32 v4, v5 offset:24608
	s_waitcnt lgkmcnt(0)
	v_add_nc_u32_e32 v8, v8, v4
	s_or_b32 exec_lo, exec_lo, s36
	s_and_saveexec_b32 s36, s5
	s_cbranch_execz .LBB88_53
.LBB88_85:                              ;   in Loop: Header=BB88_47 Depth=1
	ds_load_b32 v4, v5 offset:24616
	s_waitcnt lgkmcnt(0)
	v_add_nc_u32_e32 v8, v8, v4
	s_or_b32 exec_lo, exec_lo, s36
	s_and_saveexec_b32 s36, s6
	s_cbranch_execz .LBB88_54
.LBB88_86:                              ;   in Loop: Header=BB88_47 Depth=1
	ds_load_b32 v4, v5 offset:24624
	s_waitcnt lgkmcnt(0)
	v_add_nc_u32_e32 v8, v8, v4
	s_or_b32 exec_lo, exec_lo, s36
	s_and_saveexec_b32 s36, s7
	s_cbranch_execz .LBB88_55
.LBB88_87:                              ;   in Loop: Header=BB88_47 Depth=1
	ds_load_b32 v4, v5 offset:24632
	s_waitcnt lgkmcnt(0)
	v_add_nc_u32_e32 v8, v8, v4
	s_or_b32 exec_lo, exec_lo, s36
	s_and_saveexec_b32 s36, s8
	s_cbranch_execz .LBB88_56
.LBB88_88:                              ;   in Loop: Header=BB88_47 Depth=1
	ds_load_b32 v4, v5 offset:24640
	s_waitcnt lgkmcnt(0)
	v_add_nc_u32_e32 v8, v8, v4
	s_or_b32 exec_lo, exec_lo, s36
	s_and_saveexec_b32 s36, s9
	s_cbranch_execz .LBB88_57
.LBB88_89:                              ;   in Loop: Header=BB88_47 Depth=1
	ds_load_b32 v4, v5 offset:24648
	s_waitcnt lgkmcnt(0)
	v_add_nc_u32_e32 v8, v8, v4
	s_or_b32 exec_lo, exec_lo, s36
	s_and_saveexec_b32 s36, s10
	s_cbranch_execz .LBB88_58
.LBB88_90:                              ;   in Loop: Header=BB88_47 Depth=1
	ds_load_b32 v4, v5 offset:24656
	s_waitcnt lgkmcnt(0)
	v_add_nc_u32_e32 v8, v8, v4
	s_or_b32 exec_lo, exec_lo, s36
	s_and_saveexec_b32 s36, s11
	s_cbranch_execz .LBB88_59
.LBB88_91:                              ;   in Loop: Header=BB88_47 Depth=1
	ds_load_b32 v4, v5 offset:24664
	s_waitcnt lgkmcnt(0)
	v_add_nc_u32_e32 v8, v8, v4
	s_or_b32 exec_lo, exec_lo, s36
	s_and_saveexec_b32 s36, s12
	s_cbranch_execz .LBB88_60
.LBB88_92:                              ;   in Loop: Header=BB88_47 Depth=1
	ds_load_b32 v4, v5 offset:24672
	s_waitcnt lgkmcnt(0)
	v_add_nc_u32_e32 v8, v8, v4
	s_or_b32 exec_lo, exec_lo, s36
	s_and_saveexec_b32 s36, s13
	s_cbranch_execz .LBB88_61
.LBB88_93:                              ;   in Loop: Header=BB88_47 Depth=1
	ds_load_b32 v4, v5 offset:24680
	s_waitcnt lgkmcnt(0)
	v_add_nc_u32_e32 v8, v8, v4
	s_or_b32 exec_lo, exec_lo, s36
	s_and_saveexec_b32 s36, s14
	s_cbranch_execz .LBB88_62
.LBB88_94:                              ;   in Loop: Header=BB88_47 Depth=1
	ds_load_b32 v4, v5 offset:24688
	s_waitcnt lgkmcnt(0)
	v_add_nc_u32_e32 v8, v8, v4
	s_or_b32 exec_lo, exec_lo, s36
	s_and_saveexec_b32 s36, s15
	s_cbranch_execz .LBB88_63
.LBB88_95:                              ;   in Loop: Header=BB88_47 Depth=1
	ds_load_b32 v4, v5 offset:24696
	s_waitcnt lgkmcnt(0)
	v_add_nc_u32_e32 v8, v8, v4
	s_or_b32 exec_lo, exec_lo, s36
	s_and_saveexec_b32 s36, s16
	s_cbranch_execz .LBB88_64
.LBB88_96:                              ;   in Loop: Header=BB88_47 Depth=1
	ds_load_b32 v4, v5 offset:24704
	s_waitcnt lgkmcnt(0)
	v_add_nc_u32_e32 v8, v8, v4
	s_or_b32 exec_lo, exec_lo, s36
	s_and_saveexec_b32 s36, s17
	s_cbranch_execz .LBB88_65
.LBB88_97:                              ;   in Loop: Header=BB88_47 Depth=1
	ds_load_b32 v4, v5 offset:24712
	s_waitcnt lgkmcnt(0)
	v_add_nc_u32_e32 v8, v8, v4
	s_or_b32 exec_lo, exec_lo, s36
	s_and_saveexec_b32 s36, s18
	s_cbranch_execz .LBB88_66
.LBB88_98:                              ;   in Loop: Header=BB88_47 Depth=1
	ds_load_b32 v4, v5 offset:24720
	s_waitcnt lgkmcnt(0)
	v_add_nc_u32_e32 v8, v8, v4
	s_or_b32 exec_lo, exec_lo, s36
	s_and_saveexec_b32 s36, s19
	s_cbranch_execz .LBB88_67
.LBB88_99:                              ;   in Loop: Header=BB88_47 Depth=1
	ds_load_b32 v4, v5 offset:24728
	s_waitcnt lgkmcnt(0)
	v_add_nc_u32_e32 v8, v8, v4
	s_or_b32 exec_lo, exec_lo, s36
	s_and_saveexec_b32 s36, s20
	s_cbranch_execz .LBB88_68
.LBB88_100:                             ;   in Loop: Header=BB88_47 Depth=1
	ds_load_b32 v4, v5 offset:24736
	s_waitcnt lgkmcnt(0)
	v_add_nc_u32_e32 v8, v8, v4
	s_or_b32 exec_lo, exec_lo, s36
	s_and_saveexec_b32 s36, s21
	s_cbranch_execz .LBB88_69
.LBB88_101:                             ;   in Loop: Header=BB88_47 Depth=1
	ds_load_b32 v4, v5 offset:24744
	s_waitcnt lgkmcnt(0)
	v_add_nc_u32_e32 v8, v8, v4
	s_or_b32 exec_lo, exec_lo, s36
	s_and_saveexec_b32 s36, s22
	s_cbranch_execz .LBB88_70
.LBB88_102:                             ;   in Loop: Header=BB88_47 Depth=1
	ds_load_b32 v4, v5 offset:24752
	s_waitcnt lgkmcnt(0)
	v_add_nc_u32_e32 v8, v8, v4
	s_or_b32 exec_lo, exec_lo, s36
	s_and_saveexec_b32 s36, s23
	s_cbranch_execz .LBB88_71
.LBB88_103:                             ;   in Loop: Header=BB88_47 Depth=1
	ds_load_b32 v4, v5 offset:24760
	s_waitcnt lgkmcnt(0)
	v_add_nc_u32_e32 v8, v8, v4
	s_or_b32 exec_lo, exec_lo, s36
	s_and_saveexec_b32 s36, s24
	s_cbranch_execz .LBB88_72
.LBB88_104:                             ;   in Loop: Header=BB88_47 Depth=1
	ds_load_b32 v4, v5 offset:24768
	s_waitcnt lgkmcnt(0)
	v_add_nc_u32_e32 v8, v8, v4
	s_or_b32 exec_lo, exec_lo, s36
	s_and_saveexec_b32 s36, s25
	s_cbranch_execz .LBB88_73
.LBB88_105:                             ;   in Loop: Header=BB88_47 Depth=1
	ds_load_b32 v4, v5 offset:24776
	s_waitcnt lgkmcnt(0)
	v_add_nc_u32_e32 v8, v8, v4
	s_or_b32 exec_lo, exec_lo, s36
	s_and_saveexec_b32 s36, s26
	s_cbranch_execz .LBB88_74
.LBB88_106:                             ;   in Loop: Header=BB88_47 Depth=1
	ds_load_b32 v4, v5 offset:24784
	s_waitcnt lgkmcnt(0)
	v_add_nc_u32_e32 v8, v8, v4
	s_or_b32 exec_lo, exec_lo, s36
	s_and_saveexec_b32 s36, s27
	s_cbranch_execz .LBB88_75
.LBB88_107:                             ;   in Loop: Header=BB88_47 Depth=1
	ds_load_b32 v4, v5 offset:24792
	s_waitcnt lgkmcnt(0)
	v_add_nc_u32_e32 v8, v8, v4
	s_or_b32 exec_lo, exec_lo, s36
	s_and_saveexec_b32 s36, s28
	s_cbranch_execz .LBB88_76
.LBB88_108:                             ;   in Loop: Header=BB88_47 Depth=1
	ds_load_b32 v4, v5 offset:24800
	s_waitcnt lgkmcnt(0)
	v_add_nc_u32_e32 v8, v8, v4
	s_or_b32 exec_lo, exec_lo, s36
	s_and_saveexec_b32 s36, s29
	s_cbranch_execz .LBB88_77
.LBB88_109:                             ;   in Loop: Header=BB88_47 Depth=1
	ds_load_b32 v4, v5 offset:24808
	s_waitcnt lgkmcnt(0)
	v_add_nc_u32_e32 v8, v8, v4
	s_or_b32 exec_lo, exec_lo, s36
	s_and_saveexec_b32 s36, s30
	s_cbranch_execz .LBB88_78
.LBB88_110:                             ;   in Loop: Header=BB88_47 Depth=1
	ds_load_b32 v4, v5 offset:24816
	s_waitcnt lgkmcnt(0)
	v_add_nc_u32_e32 v8, v8, v4
	s_or_b32 exec_lo, exec_lo, s36
	s_delay_alu instid0(VALU_DEP_1)
	v_ashrrev_i32_e32 v9, 31, v8
	s_and_saveexec_b32 s36, s31
	s_cbranch_execz .LBB88_79
.LBB88_111:                             ;   in Loop: Header=BB88_47 Depth=1
	v_add3_u32 v4, v2, -1, v8
	s_delay_alu instid0(VALU_DEP_1)
	v_lshl_add_u32 v15, v4, 3, 0
	v_lshl_add_u32 v4, v4, 2, 0
	ds_store_b64 v15, v[6:7]
	ds_store_b32 v4, v14 offset:16384
	s_or_b32 exec_lo, exec_lo, s36
	s_and_saveexec_b32 s31, vcc_lo
	s_cbranch_execz .LBB88_46
.LBB88_112:                             ;   in Loop: Header=BB88_47 Depth=1
	ds_store_b64 v5, v[8:9] offset:24824
	s_branch .LBB88_46
.LBB88_113:
	s_or_b32 exec_lo, exec_lo, s33
	s_lshl_b64 s[0:1], s[50:51], 3
	v_mov_b32_e32 v1, 0
	s_add_u32 s0, s42, s0
	s_addc_u32 s1, s43, s1
	s_mov_b32 s6, exec_lo
	s_load_b128 s[0:3], s[0:1], 0x0
	s_waitcnt lgkmcnt(0)
	s_sub_u32 s4, s2, s0
	s_subb_u32 s5, s3, s1
	s_delay_alu instid0(SALU_CYCLE_1)
	v_cmpx_gt_i64_e64 s[4:5], v[0:1]
	s_cbranch_execz .LBB88_123
; %bb.114:
	s_sub_u32 s8, s0, s46
	s_subb_u32 s9, s1, 0
	s_and_b32 s6, s4, 7
	s_sub_u32 s0, s0, s2
	s_subb_u32 s1, s1, s3
	s_mov_b32 s7, 0
	v_cmp_lt_u64_e64 s12, s[0:1], -7
	s_and_b32 s2, s4, -8
	s_cmp_lg_u64 s[6:7], 0
	s_mov_b32 s3, s5
	s_cselect_b32 s13, -1, 0
	s_mov_b32 s14, s7
	s_branch .LBB88_116
.LBB88_115:                             ;   in Loop: Header=BB88_116 Depth=1
	v_add_co_u32 v0, vcc_lo, 0x400, v0
	v_add_co_ci_u32_e32 v1, vcc_lo, 0, v1, vcc_lo
	s_waitcnt lgkmcnt(1)
	v_lshlrev_b64 v[2:3], 2, v[4:5]
	s_delay_alu instid0(VALU_DEP_2) | instskip(NEXT) | instid1(VALU_DEP_2)
	v_cmp_le_i64_e32 vcc_lo, s[4:5], v[0:1]
	v_add_co_u32 v2, s0, s34, v2
	s_delay_alu instid0(VALU_DEP_1)
	v_add_co_ci_u32_e64 v3, s0, s35, v3, s0
	s_or_b32 s14, vcc_lo, s14
	s_waitcnt lgkmcnt(0)
	global_store_b32 v[2:3], v6, off
	s_and_not1_b32 exec_lo, exec_lo, s14
	s_cbranch_execz .LBB88_123
.LBB88_116:                             ; =>This Loop Header: Depth=1
                                        ;     Child Loop BB88_118 Depth 2
                                        ;     Child Loop BB88_122 Depth 2
	v_lshl_add_u32 v2, v0, 3, 0
	v_lshlrev_b32_e32 v3, 2, v0
	s_and_not1_b32 vcc_lo, exec_lo, s12
	s_mov_b64 s[0:1], 0
	s_delay_alu instid0(VALU_DEP_1)
	v_sub_nc_u32_e32 v4, v2, v3
	ds_load_b64 v[2:3], v2
	ds_load_b32 v6, v4 offset:16384
	v_dual_mov_b32 v4, s8 :: v_dual_mov_b32 v5, s9
	s_cbranch_vccnz .LBB88_120
; %bb.117:                              ;   in Loop: Header=BB88_116 Depth=1
	v_dual_mov_b32 v4, s8 :: v_dual_mov_b32 v5, s9
	s_mov_b64 s[10:11], 0
	s_mov_b32 s1, 0
.LBB88_118:                             ;   Parent Loop BB88_116 Depth=1
                                        ; =>  This Inner Loop Header: Depth=2
	s_delay_alu instid0(SALU_CYCLE_1)
	v_mov_b32_e32 v19, s1
	s_add_u32 s10, s10, 8
	s_addc_u32 s11, s11, 0
	s_add_i32 s1, s1, 64
	s_cmp_eq_u64 s[2:3], s[10:11]
	ds_load_2addr_b64 v[7:10], v19 offset1:1
	ds_load_2addr_b64 v[11:14], v19 offset0:2 offset1:3
	ds_load_2addr_b64 v[15:18], v19 offset0:4 offset1:5
	;; [unrolled: 1-line block ×3, first 2 shown]
	s_waitcnt lgkmcnt(3)
	v_cmp_gt_i64_e32 vcc_lo, v[2:3], v[7:8]
	v_cndmask_b32_e64 v7, 0, 1, vcc_lo
	v_cmp_gt_i64_e32 vcc_lo, v[2:3], v[9:10]
	v_cndmask_b32_e64 v8, 0, 1, vcc_lo
	s_waitcnt lgkmcnt(2)
	v_cmp_gt_i64_e32 vcc_lo, v[2:3], v[11:12]
	v_cndmask_b32_e64 v9, 0, 1, vcc_lo
	v_cmp_gt_i64_e32 vcc_lo, v[2:3], v[13:14]
	v_cndmask_b32_e64 v10, 0, 1, vcc_lo
	s_waitcnt lgkmcnt(1)
	v_cmp_gt_i64_e32 vcc_lo, v[2:3], v[15:16]
	v_cndmask_b32_e64 v11, 0, 1, vcc_lo
	v_add_co_u32 v4, vcc_lo, v4, v7
	v_add_co_ci_u32_e32 v5, vcc_lo, 0, v5, vcc_lo
	v_cmp_gt_i64_e32 vcc_lo, v[2:3], v[17:18]
	s_delay_alu instid0(VALU_DEP_3) | instskip(NEXT) | instid1(VALU_DEP_1)
	v_add_co_u32 v4, s0, v4, v8
	v_add_co_ci_u32_e64 v5, s0, 0, v5, s0
	v_cndmask_b32_e64 v7, 0, 1, vcc_lo
	s_delay_alu instid0(VALU_DEP_3) | instskip(NEXT) | instid1(VALU_DEP_3)
	v_add_co_u32 v4, vcc_lo, v4, v9
	v_add_co_ci_u32_e32 v5, vcc_lo, 0, v5, vcc_lo
	s_waitcnt lgkmcnt(0)
	v_cmp_gt_i64_e32 vcc_lo, v[2:3], v[19:20]
	s_delay_alu instid0(VALU_DEP_3) | instskip(NEXT) | instid1(VALU_DEP_1)
	v_add_co_u32 v4, s0, v4, v10
	v_add_co_ci_u32_e64 v5, s0, 0, v5, s0
	v_cndmask_b32_e64 v8, 0, 1, vcc_lo
	s_delay_alu instid0(VALU_DEP_3) | instskip(NEXT) | instid1(VALU_DEP_3)
	v_add_co_u32 v4, vcc_lo, v4, v11
	v_add_co_ci_u32_e32 v5, vcc_lo, 0, v5, vcc_lo
	v_cmp_gt_i64_e32 vcc_lo, v[2:3], v[21:22]
	s_delay_alu instid0(VALU_DEP_3) | instskip(NEXT) | instid1(VALU_DEP_1)
	v_add_co_u32 v4, s0, v4, v7
	v_add_co_ci_u32_e64 v5, s0, 0, v5, s0
	v_cndmask_b32_e64 v7, 0, 1, vcc_lo
	s_delay_alu instid0(VALU_DEP_3) | instskip(NEXT) | instid1(VALU_DEP_3)
	v_add_co_u32 v4, vcc_lo, v4, v8
	v_add_co_ci_u32_e32 v5, vcc_lo, 0, v5, vcc_lo
	s_delay_alu instid0(VALU_DEP_2) | instskip(NEXT) | instid1(VALU_DEP_2)
	v_add_co_u32 v4, vcc_lo, v4, v7
	v_add_co_ci_u32_e32 v5, vcc_lo, 0, v5, vcc_lo
	s_cbranch_scc0 .LBB88_118
; %bb.119:                              ;   in Loop: Header=BB88_116 Depth=1
	s_mov_b64 s[0:1], s[2:3]
.LBB88_120:                             ;   in Loop: Header=BB88_116 Depth=1
	s_and_not1_b32 vcc_lo, exec_lo, s13
	s_cbranch_vccnz .LBB88_115
; %bb.121:                              ;   in Loop: Header=BB88_116 Depth=1
	s_lshl_b32 s0, s0, 3
	s_delay_alu instid0(SALU_CYCLE_1)
	s_add_i32 s10, s0, 0
	s_mov_b64 s[0:1], s[6:7]
.LBB88_122:                             ;   Parent Loop BB88_116 Depth=1
                                        ; =>  This Inner Loop Header: Depth=2
	v_mov_b32_e32 v7, s10
	s_add_i32 s10, s10, 8
	s_add_u32 s0, s0, -1
	s_addc_u32 s1, s1, -1
	s_delay_alu instid0(SALU_CYCLE_1) | instskip(SKIP_4) | instid1(VALU_DEP_1)
	s_cmp_lg_u64 s[0:1], 0
	ds_load_b64 v[7:8], v7
	s_waitcnt lgkmcnt(0)
	v_cmp_gt_i64_e32 vcc_lo, v[2:3], v[7:8]
	v_cndmask_b32_e64 v7, 0, 1, vcc_lo
	v_add_co_u32 v4, vcc_lo, v4, v7
	v_add_co_ci_u32_e32 v5, vcc_lo, 0, v5, vcc_lo
	s_cbranch_scc1 .LBB88_122
	s_branch .LBB88_115
.LBB88_123:
	s_nop 0
	s_sendmsg sendmsg(MSG_DEALLOC_VGPRS)
	s_endpgm
	.section	.rodata,"a",@progbits
	.p2align	6, 0x0
	.amdhsa_kernel _ZN9rocsparseL41csrgemm_numeric_fill_block_per_row_kernelILj1024ELj32ELj2048ELj137ELj32EllfEEvT5_PKS1_S3_NS_24const_host_device_scalarIT6_EEPKT4_S3_PKS5_S9_S3_SB_S6_S9_S3_SB_S9_S3_PS5_21rocsparse_index_base_SD_SD_SD_bbb
		.amdhsa_group_segment_fixed_size 0
		.amdhsa_private_segment_fixed_size 0
		.amdhsa_kernarg_size 156
		.amdhsa_user_sgpr_count 15
		.amdhsa_user_sgpr_dispatch_ptr 0
		.amdhsa_user_sgpr_queue_ptr 0
		.amdhsa_user_sgpr_kernarg_segment_ptr 1
		.amdhsa_user_sgpr_dispatch_id 0
		.amdhsa_user_sgpr_private_segment_size 0
		.amdhsa_wavefront_size32 1
		.amdhsa_uses_dynamic_stack 0
		.amdhsa_enable_private_segment 0
		.amdhsa_system_sgpr_workgroup_id_x 1
		.amdhsa_system_sgpr_workgroup_id_y 0
		.amdhsa_system_sgpr_workgroup_id_z 0
		.amdhsa_system_sgpr_workgroup_info 0
		.amdhsa_system_vgpr_workitem_id 0
		.amdhsa_next_free_vgpr 23
		.amdhsa_next_free_sgpr 52
		.amdhsa_reserve_vcc 1
		.amdhsa_float_round_mode_32 0
		.amdhsa_float_round_mode_16_64 0
		.amdhsa_float_denorm_mode_32 3
		.amdhsa_float_denorm_mode_16_64 3
		.amdhsa_dx10_clamp 1
		.amdhsa_ieee_mode 1
		.amdhsa_fp16_overflow 0
		.amdhsa_workgroup_processor_mode 1
		.amdhsa_memory_ordered 1
		.amdhsa_forward_progress 0
		.amdhsa_shared_vgpr_count 0
		.amdhsa_exception_fp_ieee_invalid_op 0
		.amdhsa_exception_fp_denorm_src 0
		.amdhsa_exception_fp_ieee_div_zero 0
		.amdhsa_exception_fp_ieee_overflow 0
		.amdhsa_exception_fp_ieee_underflow 0
		.amdhsa_exception_fp_ieee_inexact 0
		.amdhsa_exception_int_div_zero 0
	.end_amdhsa_kernel
	.section	.text._ZN9rocsparseL41csrgemm_numeric_fill_block_per_row_kernelILj1024ELj32ELj2048ELj137ELj32EllfEEvT5_PKS1_S3_NS_24const_host_device_scalarIT6_EEPKT4_S3_PKS5_S9_S3_SB_S6_S9_S3_SB_S9_S3_PS5_21rocsparse_index_base_SD_SD_SD_bbb,"axG",@progbits,_ZN9rocsparseL41csrgemm_numeric_fill_block_per_row_kernelILj1024ELj32ELj2048ELj137ELj32EllfEEvT5_PKS1_S3_NS_24const_host_device_scalarIT6_EEPKT4_S3_PKS5_S9_S3_SB_S6_S9_S3_SB_S9_S3_PS5_21rocsparse_index_base_SD_SD_SD_bbb,comdat
.Lfunc_end88:
	.size	_ZN9rocsparseL41csrgemm_numeric_fill_block_per_row_kernelILj1024ELj32ELj2048ELj137ELj32EllfEEvT5_PKS1_S3_NS_24const_host_device_scalarIT6_EEPKT4_S3_PKS5_S9_S3_SB_S6_S9_S3_SB_S9_S3_PS5_21rocsparse_index_base_SD_SD_SD_bbb, .Lfunc_end88-_ZN9rocsparseL41csrgemm_numeric_fill_block_per_row_kernelILj1024ELj32ELj2048ELj137ELj32EllfEEvT5_PKS1_S3_NS_24const_host_device_scalarIT6_EEPKT4_S3_PKS5_S9_S3_SB_S6_S9_S3_SB_S9_S3_PS5_21rocsparse_index_base_SD_SD_SD_bbb
                                        ; -- End function
	.section	.AMDGPU.csdata,"",@progbits
; Kernel info:
; codeLenInByte = 4384
; NumSgprs: 54
; NumVgprs: 23
; ScratchSize: 0
; MemoryBound: 0
; FloatMode: 240
; IeeeMode: 1
; LDSByteSize: 0 bytes/workgroup (compile time only)
; SGPRBlocks: 6
; VGPRBlocks: 2
; NumSGPRsForWavesPerEU: 54
; NumVGPRsForWavesPerEU: 23
; Occupancy: 16
; WaveLimiterHint : 1
; COMPUTE_PGM_RSRC2:SCRATCH_EN: 0
; COMPUTE_PGM_RSRC2:USER_SGPR: 15
; COMPUTE_PGM_RSRC2:TRAP_HANDLER: 0
; COMPUTE_PGM_RSRC2:TGID_X_EN: 1
; COMPUTE_PGM_RSRC2:TGID_Y_EN: 0
; COMPUTE_PGM_RSRC2:TGID_Z_EN: 0
; COMPUTE_PGM_RSRC2:TIDIG_COMP_CNT: 0
	.section	.text._ZN9rocsparseL41csrgemm_numeric_fill_block_per_row_kernelILj1024ELj32ELj2048ELj137ELj64EllfEEvT5_PKS1_S3_NS_24const_host_device_scalarIT6_EEPKT4_S3_PKS5_S9_S3_SB_S6_S9_S3_SB_S9_S3_PS5_21rocsparse_index_base_SD_SD_SD_bbb,"axG",@progbits,_ZN9rocsparseL41csrgemm_numeric_fill_block_per_row_kernelILj1024ELj32ELj2048ELj137ELj64EllfEEvT5_PKS1_S3_NS_24const_host_device_scalarIT6_EEPKT4_S3_PKS5_S9_S3_SB_S6_S9_S3_SB_S9_S3_PS5_21rocsparse_index_base_SD_SD_SD_bbb,comdat
	.globl	_ZN9rocsparseL41csrgemm_numeric_fill_block_per_row_kernelILj1024ELj32ELj2048ELj137ELj64EllfEEvT5_PKS1_S3_NS_24const_host_device_scalarIT6_EEPKT4_S3_PKS5_S9_S3_SB_S6_S9_S3_SB_S9_S3_PS5_21rocsparse_index_base_SD_SD_SD_bbb ; -- Begin function _ZN9rocsparseL41csrgemm_numeric_fill_block_per_row_kernelILj1024ELj32ELj2048ELj137ELj64EllfEEvT5_PKS1_S3_NS_24const_host_device_scalarIT6_EEPKT4_S3_PKS5_S9_S3_SB_S6_S9_S3_SB_S9_S3_PS5_21rocsparse_index_base_SD_SD_SD_bbb
	.p2align	8
	.type	_ZN9rocsparseL41csrgemm_numeric_fill_block_per_row_kernelILj1024ELj32ELj2048ELj137ELj64EllfEEvT5_PKS1_S3_NS_24const_host_device_scalarIT6_EEPKT4_S3_PKS5_S9_S3_SB_S6_S9_S3_SB_S9_S3_PS5_21rocsparse_index_base_SD_SD_SD_bbb,@function
_ZN9rocsparseL41csrgemm_numeric_fill_block_per_row_kernelILj1024ELj32ELj2048ELj137ELj64EllfEEvT5_PKS1_S3_NS_24const_host_device_scalarIT6_EEPKT4_S3_PKS5_S9_S3_SB_S6_S9_S3_SB_S9_S3_PS5_21rocsparse_index_base_SD_SD_SD_bbb: ; @_ZN9rocsparseL41csrgemm_numeric_fill_block_per_row_kernelILj1024ELj32ELj2048ELj137ELj64EllfEEvT5_PKS1_S3_NS_24const_host_device_scalarIT6_EEPKT4_S3_PKS5_S9_S3_SB_S6_S9_S3_SB_S9_S3_PS5_21rocsparse_index_base_SD_SD_SD_bbb
; %bb.0:
	s_clause 0x3
	s_load_b32 s3, s[0:1], 0x98
	s_load_b128 s[20:23], s[0:1], 0x88
	s_load_b64 s[4:5], s[0:1], 0x18
	s_load_b64 s[36:37], s[0:1], 0x50
	s_mov_b32 s2, s15
	s_waitcnt lgkmcnt(0)
	s_bitcmp1_b32 s3, 0
	s_cselect_b32 s38, -1, 0
	s_bitcmp1_b32 s3, 16
	s_cselect_b32 s39, -1, 0
	s_xor_b32 s6, s38, -1
	s_delay_alu instid0(SALU_CYCLE_1) | instskip(NEXT) | instid1(SALU_CYCLE_1)
	s_or_b32 s6, s6, s39
	s_and_b32 vcc_lo, exec_lo, s6
	s_cbranch_vccnz .LBB89_2
; %bb.1:
	s_load_b32 s4, s[4:5], 0x0
	s_waitcnt lgkmcnt(0)
	v_mov_b32_e32 v15, s4
	s_branch .LBB89_3
.LBB89_2:
	v_cndmask_b32_e64 v15, 0, s4, s38
.LBB89_3:
	s_clause 0x4
	s_load_b64 s[34:35], s[0:1], 0x80
	s_load_b256 s[12:19], s[0:1], 0x58
	s_load_b128 s[24:27], s[0:1], 0x40
	s_load_b128 s[28:31], s[0:1], 0x8
	s_load_b256 s[4:11], s[0:1], 0x20
	s_bitcmp1_b32 s3, 8
	s_cselect_b32 s33, -1, 0
	s_delay_alu instid0(SALU_CYCLE_1) | instskip(NEXT) | instid1(SALU_CYCLE_1)
	s_xor_b32 s3, s33, -1
	s_or_b32 s3, s3, s39
	s_delay_alu instid0(SALU_CYCLE_1)
	s_and_b32 vcc_lo, exec_lo, s3
	s_cbranch_vccnz .LBB89_5
; %bb.4:
	s_load_b32 s3, s[36:37], 0x0
	s_waitcnt lgkmcnt(0)
	v_mov_b32_e32 v14, s3
	s_branch .LBB89_6
.LBB89_5:
	v_cndmask_b32_e64 v14, 0, s36, s33
.LBB89_6:
	s_load_b64 s[36:37], s[0:1], 0x0
	v_lshl_add_u32 v11, v0, 3, 0
	v_lshlrev_b32_e32 v1, 2, v0
	v_or_b32_e32 v12, 0xfffffc00, v0
	v_mov_b32_e32 v3, 0
	s_mov_b32 s0, 0
	v_mov_b32_e32 v4, v11
	v_add3_u32 v13, v1, 0, 0x4000
	s_delay_alu instid0(VALU_DEP_1)
	v_dual_mov_b32 v5, v12 :: v_dual_mov_b32 v6, v13
	s_waitcnt lgkmcnt(0)
	v_dual_mov_b32 v1, s36 :: v_dual_mov_b32 v2, s37
.LBB89_7:                               ; =>This Inner Loop Header: Depth=1
	s_delay_alu instid0(VALU_DEP_2) | instskip(NEXT) | instid1(VALU_DEP_1)
	v_add_co_u32 v5, s1, 0x400, v5
	s_xor_b32 s1, s1, -1
	ds_store_b64 v4, v[1:2]
	ds_store_b32 v6, v3
	v_add_nc_u32_e32 v6, 0x1000, v6
	v_add_nc_u32_e32 v4, 0x2000, v4
	s_and_b32 s1, exec_lo, s1
	s_delay_alu instid0(SALU_CYCLE_1) | instskip(NEXT) | instid1(SALU_CYCLE_1)
	s_or_b32 s0, s1, s0
	s_and_not1_b32 exec_lo, exec_lo, s0
	s_cbranch_execnz .LBB89_7
; %bb.8:
	s_or_b32 exec_lo, exec_lo, s0
	s_waitcnt lgkmcnt(0)
	s_barrier
	buffer_gl0_inv
	s_load_b64 s[0:1], s[28:29], 0x0
	s_mov_b32 s3, 0
	s_waitcnt lgkmcnt(0)
	s_lshl_b64 s[0:1], s[0:1], 3
	s_delay_alu instid0(SALU_CYCLE_1) | instskip(SKIP_2) | instid1(SALU_CYCLE_1)
	s_add_u32 s28, s30, s0
	s_addc_u32 s29, s31, s1
	s_lshl_b64 s[0:1], s[2:3], 3
	s_add_u32 s0, s28, s0
	s_addc_u32 s1, s29, s1
	s_and_b32 vcc_lo, exec_lo, s38
	s_load_b64 s[28:29], s[0:1], 0x0
	s_cbranch_vccz .LBB89_28
; %bb.9:
	s_waitcnt lgkmcnt(0)
	s_lshl_b64 s[0:1], s[28:29], 3
	v_lshrrev_b32_e32 v1, 5, v0
	s_add_u32 s0, s4, s0
	s_addc_u32 s1, s5, s1
	s_load_b128 s[0:3], s[0:1], 0x0
	s_delay_alu instid0(VALU_DEP_1) | instskip(NEXT) | instid1(VALU_DEP_1)
	v_sub_co_u32 v1, s4, v1, s20
	v_sub_co_ci_u32_e64 v2, null, 0, 0, s4
	s_waitcnt lgkmcnt(0)
	s_delay_alu instid0(VALU_DEP_2) | instskip(NEXT) | instid1(VALU_DEP_2)
	v_add_co_u32 v1, vcc_lo, s0, v1
	v_add_co_ci_u32_e32 v2, vcc_lo, s1, v2, vcc_lo
	s_sub_u32 s0, s2, s20
	s_subb_u32 s1, s3, 0
	s_mov_b32 s2, exec_lo
	s_delay_alu instid0(VALU_DEP_1)
	v_cmpx_gt_i64_e64 s[0:1], v[1:2]
	s_cbranch_execz .LBB89_27
; %bb.10:
	v_and_b32_e32 v3, 31, v0
	s_mov_b32 s4, s21
	s_delay_alu instid0(VALU_DEP_1) | instskip(NEXT) | instid1(VALU_DEP_1)
	v_sub_co_u32 v16, s3, v3, s21
	v_sub_co_ci_u32_e64 v17, null, 0, 0, s3
	s_mov_b32 s3, 0
	s_branch .LBB89_12
.LBB89_11:                              ;   in Loop: Header=BB89_12 Depth=1
	s_or_b32 exec_lo, exec_lo, s5
	v_add_co_u32 v1, vcc_lo, v1, 32
	v_add_co_ci_u32_e32 v2, vcc_lo, 0, v2, vcc_lo
	s_delay_alu instid0(VALU_DEP_1) | instskip(SKIP_1) | instid1(SALU_CYCLE_1)
	v_cmp_le_i64_e32 vcc_lo, s[0:1], v[1:2]
	s_or_b32 s3, vcc_lo, s3
	s_and_not1_b32 exec_lo, exec_lo, s3
	s_cbranch_execz .LBB89_27
.LBB89_12:                              ; =>This Loop Header: Depth=1
                                        ;     Child Loop BB89_15 Depth 2
                                        ;       Child Loop BB89_17 Depth 3
	v_lshlrev_b64 v[3:4], 3, v[1:2]
	s_mov_b32 s5, exec_lo
	s_delay_alu instid0(VALU_DEP_1) | instskip(NEXT) | instid1(VALU_DEP_2)
	v_add_co_u32 v3, vcc_lo, s6, v3
	v_add_co_ci_u32_e32 v4, vcc_lo, s7, v4, vcc_lo
	global_load_b64 v[3:4], v[3:4], off
	s_waitcnt vmcnt(0)
	v_sub_co_u32 v3, vcc_lo, v3, s20
	v_subrev_co_ci_u32_e32 v4, vcc_lo, 0, v4, vcc_lo
	s_delay_alu instid0(VALU_DEP_1) | instskip(NEXT) | instid1(VALU_DEP_1)
	v_lshlrev_b64 v[3:4], 3, v[3:4]
	v_add_co_u32 v3, vcc_lo, s10, v3
	s_delay_alu instid0(VALU_DEP_2)
	v_add_co_ci_u32_e32 v4, vcc_lo, s11, v4, vcc_lo
	global_load_b128 v[5:8], v[3:4], off
	s_waitcnt vmcnt(0)
	v_sub_co_u32 v3, vcc_lo, v7, s4
	v_subrev_co_ci_u32_e32 v4, vcc_lo, 0, v8, vcc_lo
	v_add_co_u32 v5, vcc_lo, v5, v16
	v_add_co_ci_u32_e32 v6, vcc_lo, v6, v17, vcc_lo
	s_delay_alu instid0(VALU_DEP_1)
	v_cmpx_lt_i64_e64 v[5:6], v[3:4]
	s_cbranch_execz .LBB89_11
; %bb.13:                               ;   in Loop: Header=BB89_12 Depth=1
	v_lshlrev_b64 v[7:8], 2, v[1:2]
	s_mov_b32 s21, 0
	s_delay_alu instid0(VALU_DEP_1) | instskip(NEXT) | instid1(VALU_DEP_2)
	v_add_co_u32 v7, vcc_lo, s8, v7
	v_add_co_ci_u32_e32 v8, vcc_lo, s9, v8, vcc_lo
	global_load_b32 v7, v[7:8], off
	s_waitcnt vmcnt(0)
	v_mul_f32_e32 v18, v15, v7
	s_branch .LBB89_15
.LBB89_14:                              ;   in Loop: Header=BB89_15 Depth=2
	s_or_b32 exec_lo, exec_lo, s30
	v_add_co_u32 v5, vcc_lo, v5, 32
	v_add_co_ci_u32_e32 v6, vcc_lo, 0, v6, vcc_lo
	s_delay_alu instid0(VALU_DEP_1) | instskip(SKIP_1) | instid1(SALU_CYCLE_1)
	v_cmp_ge_i64_e32 vcc_lo, v[5:6], v[3:4]
	s_or_b32 s21, vcc_lo, s21
	s_and_not1_b32 exec_lo, exec_lo, s21
	s_cbranch_execz .LBB89_11
.LBB89_15:                              ;   Parent Loop BB89_12 Depth=1
                                        ; =>  This Loop Header: Depth=2
                                        ;       Child Loop BB89_17 Depth 3
	v_lshlrev_b64 v[7:8], 3, v[5:6]
	v_lshlrev_b64 v[9:10], 2, v[5:6]
	s_mov_b32 s30, 0
	s_delay_alu instid0(VALU_DEP_2) | instskip(NEXT) | instid1(VALU_DEP_3)
	v_add_co_u32 v7, vcc_lo, s24, v7
	v_add_co_ci_u32_e32 v8, vcc_lo, s25, v8, vcc_lo
	s_delay_alu instid0(VALU_DEP_3) | instskip(NEXT) | instid1(VALU_DEP_4)
	v_add_co_u32 v9, vcc_lo, s26, v9
	v_add_co_ci_u32_e32 v10, vcc_lo, s27, v10, vcc_lo
	global_load_b64 v[7:8], v[7:8], off
	global_load_b32 v9, v[9:10], off
	s_waitcnt vmcnt(1)
	v_sub_co_u32 v7, vcc_lo, v7, s4
	v_subrev_co_ci_u32_e32 v8, vcc_lo, 0, v8, vcc_lo
	s_delay_alu instid0(VALU_DEP_2) | instskip(SKIP_1) | instid1(VALU_DEP_1)
	v_mul_lo_u32 v10, 0x89, v7
	s_waitcnt vmcnt(0)
	v_dual_mul_f32 v19, v18, v9 :: v_dual_and_b32 v20, 0x7ff, v10
	s_branch .LBB89_17
.LBB89_16:                              ;   in Loop: Header=BB89_17 Depth=3
	s_or_b32 exec_lo, exec_lo, s31
	s_xor_b32 s31, s38, -1
	s_delay_alu instid0(SALU_CYCLE_1) | instskip(NEXT) | instid1(SALU_CYCLE_1)
	s_and_b32 s31, exec_lo, s31
	s_or_b32 s30, s31, s30
	s_delay_alu instid0(SALU_CYCLE_1)
	s_and_not1_b32 exec_lo, exec_lo, s30
	s_cbranch_execz .LBB89_14
.LBB89_17:                              ;   Parent Loop BB89_12 Depth=1
                                        ;     Parent Loop BB89_15 Depth=2
                                        ; =>    This Inner Loop Header: Depth=3
	s_delay_alu instid0(VALU_DEP_1)
	v_lshl_add_u32 v21, v20, 3, 0
	s_mov_b32 s31, exec_lo
                                        ; implicit-def: $sgpr38
	ds_load_b64 v[9:10], v21
	s_waitcnt lgkmcnt(0)
	v_cmpx_ne_u64_e64 v[9:10], v[7:8]
	s_xor_b32 s31, exec_lo, s31
	s_cbranch_execz .LBB89_25
; %bb.18:                               ;   in Loop: Header=BB89_17 Depth=3
	s_mov_b32 s39, exec_lo
                                        ; implicit-def: $sgpr38
	v_cmpx_ne_u64_e64 s[36:37], v[9:10]
	s_xor_b32 s39, exec_lo, s39
; %bb.19:                               ;   in Loop: Header=BB89_17 Depth=3
	v_add_nc_u32_e32 v9, 1, v20
	s_mov_b32 s38, -1
                                        ; implicit-def: $vgpr21
	s_delay_alu instid0(VALU_DEP_1)
	v_and_b32_e32 v20, 0x7ff, v9
; %bb.20:                               ;   in Loop: Header=BB89_17 Depth=3
	s_and_not1_saveexec_b32 s39, s39
	s_cbranch_execz .LBB89_24
; %bb.21:                               ;   in Loop: Header=BB89_17 Depth=3
	v_dual_mov_b32 v9, s36 :: v_dual_mov_b32 v10, s37
	s_mov_b32 s40, -1
	s_mov_b32 s41, exec_lo
	ds_cmpstore_rtn_b64 v[9:10], v21, v[7:8], v[9:10]
	s_waitcnt lgkmcnt(0)
	v_cmpx_eq_u64_e64 s[36:37], v[9:10]
	s_cbranch_execz .LBB89_23
; %bb.22:                               ;   in Loop: Header=BB89_17 Depth=3
	v_lshlrev_b32_e32 v9, 2, v20
	s_xor_b32 s40, exec_lo, -1
	s_delay_alu instid0(VALU_DEP_1)
	v_sub_nc_u32_e32 v9, v21, v9
	ds_add_f32 v9, v19 offset:16384
.LBB89_23:                              ;   in Loop: Header=BB89_17 Depth=3
	s_or_b32 exec_lo, exec_lo, s41
	s_delay_alu instid0(SALU_CYCLE_1) | instskip(SKIP_1) | instid1(SALU_CYCLE_1)
	s_and_not1_b32 s38, s38, exec_lo
	s_and_b32 s40, s40, exec_lo
	s_or_b32 s38, s38, s40
.LBB89_24:                              ;   in Loop: Header=BB89_17 Depth=3
	s_or_b32 exec_lo, exec_lo, s39
	s_delay_alu instid0(SALU_CYCLE_1)
	s_and_b32 s38, s38, exec_lo
                                        ; implicit-def: $vgpr21
.LBB89_25:                              ;   in Loop: Header=BB89_17 Depth=3
	s_and_not1_saveexec_b32 s31, s31
	s_cbranch_execz .LBB89_16
; %bb.26:                               ;   in Loop: Header=BB89_17 Depth=3
	v_lshlrev_b32_e32 v9, 2, v20
	s_and_not1_b32 s38, s38, exec_lo
	s_delay_alu instid0(VALU_DEP_1)
	v_sub_nc_u32_e32 v9, v21, v9
	ds_add_f32 v9, v19 offset:16384
	s_branch .LBB89_16
.LBB89_27:
	s_or_b32 exec_lo, exec_lo, s2
.LBB89_28:
	s_delay_alu instid0(SALU_CYCLE_1)
	s_and_not1_b32 vcc_lo, exec_lo, s33
	s_cbranch_vccnz .LBB89_45
; %bb.29:
	s_waitcnt lgkmcnt(0)
	s_lshl_b64 s[0:1], s[28:29], 3
	v_sub_co_u32 v1, s4, v0, s23
	s_add_u32 s0, s12, s0
	s_addc_u32 s1, s13, s1
	v_sub_co_ci_u32_e64 v2, null, 0, 0, s4
	s_load_b128 s[0:3], s[0:1], 0x0
	s_waitcnt lgkmcnt(0)
	v_add_co_u32 v1, vcc_lo, s0, v1
	s_delay_alu instid0(VALU_DEP_2)
	v_add_co_ci_u32_e32 v2, vcc_lo, s1, v2, vcc_lo
	s_sub_u32 s0, s2, s23
	s_subb_u32 s1, s3, 0
	s_mov_b32 s2, 0
	s_mov_b32 s3, exec_lo
	v_cmpx_gt_i64_e64 s[0:1], v[1:2]
	s_cbranch_execz .LBB89_44
; %bb.30:
	s_mov_b32 s4, s23
	s_branch .LBB89_32
.LBB89_31:                              ;   in Loop: Header=BB89_32 Depth=1
	s_or_b32 exec_lo, exec_lo, s5
	v_add_co_u32 v1, vcc_lo, 0x400, v1
	v_add_co_ci_u32_e32 v2, vcc_lo, 0, v2, vcc_lo
	s_delay_alu instid0(VALU_DEP_1) | instskip(SKIP_1) | instid1(SALU_CYCLE_1)
	v_cmp_le_i64_e32 vcc_lo, s[0:1], v[1:2]
	s_or_b32 s2, vcc_lo, s2
	s_and_not1_b32 exec_lo, exec_lo, s2
	s_cbranch_execz .LBB89_44
.LBB89_32:                              ; =>This Loop Header: Depth=1
                                        ;     Child Loop BB89_34 Depth 2
	v_lshlrev_b64 v[3:4], 3, v[1:2]
	v_lshlrev_b64 v[5:6], 2, v[1:2]
	s_mov_b32 s5, 0
	s_delay_alu instid0(VALU_DEP_2) | instskip(NEXT) | instid1(VALU_DEP_3)
	v_add_co_u32 v3, vcc_lo, s14, v3
	v_add_co_ci_u32_e32 v4, vcc_lo, s15, v4, vcc_lo
	s_delay_alu instid0(VALU_DEP_3) | instskip(NEXT) | instid1(VALU_DEP_4)
	v_add_co_u32 v5, vcc_lo, s16, v5
	v_add_co_ci_u32_e32 v6, vcc_lo, s17, v6, vcc_lo
	global_load_b64 v[3:4], v[3:4], off
	global_load_b32 v5, v[5:6], off
	s_waitcnt vmcnt(1)
	v_sub_co_u32 v3, vcc_lo, v3, s4
	v_subrev_co_ci_u32_e32 v4, vcc_lo, 0, v4, vcc_lo
	s_delay_alu instid0(VALU_DEP_2) | instskip(SKIP_1) | instid1(VALU_DEP_1)
	v_mul_lo_u32 v6, 0x89, v3
	s_waitcnt vmcnt(0)
	v_dual_mul_f32 v7, v14, v5 :: v_dual_and_b32 v8, 0x7ff, v6
	s_branch .LBB89_34
.LBB89_33:                              ;   in Loop: Header=BB89_34 Depth=2
	s_or_b32 exec_lo, exec_lo, s6
	s_xor_b32 s6, s7, -1
	s_delay_alu instid0(SALU_CYCLE_1) | instskip(NEXT) | instid1(SALU_CYCLE_1)
	s_and_b32 s6, exec_lo, s6
	s_or_b32 s5, s6, s5
	s_delay_alu instid0(SALU_CYCLE_1)
	s_and_not1_b32 exec_lo, exec_lo, s5
	s_cbranch_execz .LBB89_31
.LBB89_34:                              ;   Parent Loop BB89_32 Depth=1
                                        ; =>  This Inner Loop Header: Depth=2
	s_delay_alu instid0(VALU_DEP_1)
	v_lshl_add_u32 v9, v8, 3, 0
	s_mov_b32 s6, exec_lo
                                        ; implicit-def: $sgpr7
	ds_load_b64 v[5:6], v9
	s_waitcnt lgkmcnt(0)
	v_cmpx_ne_u64_e64 v[5:6], v[3:4]
	s_xor_b32 s6, exec_lo, s6
	s_cbranch_execz .LBB89_42
; %bb.35:                               ;   in Loop: Header=BB89_34 Depth=2
	s_mov_b32 s8, exec_lo
                                        ; implicit-def: $sgpr7
	v_cmpx_ne_u64_e64 s[36:37], v[5:6]
	s_xor_b32 s8, exec_lo, s8
; %bb.36:                               ;   in Loop: Header=BB89_34 Depth=2
	v_add_nc_u32_e32 v5, 1, v8
	s_mov_b32 s7, -1
                                        ; implicit-def: $vgpr9
	s_delay_alu instid0(VALU_DEP_1)
	v_and_b32_e32 v8, 0x7ff, v5
; %bb.37:                               ;   in Loop: Header=BB89_34 Depth=2
	s_and_not1_saveexec_b32 s8, s8
	s_cbranch_execz .LBB89_41
; %bb.38:                               ;   in Loop: Header=BB89_34 Depth=2
	v_dual_mov_b32 v5, s36 :: v_dual_mov_b32 v6, s37
	s_mov_b32 s9, -1
	s_mov_b32 s10, exec_lo
	ds_cmpstore_rtn_b64 v[5:6], v9, v[3:4], v[5:6]
	s_waitcnt lgkmcnt(0)
	v_cmpx_eq_u64_e64 s[36:37], v[5:6]
	s_cbranch_execz .LBB89_40
; %bb.39:                               ;   in Loop: Header=BB89_34 Depth=2
	v_lshlrev_b32_e32 v5, 2, v8
	s_xor_b32 s9, exec_lo, -1
	s_delay_alu instid0(VALU_DEP_1)
	v_sub_nc_u32_e32 v5, v9, v5
	ds_add_f32 v5, v7 offset:16384
.LBB89_40:                              ;   in Loop: Header=BB89_34 Depth=2
	s_or_b32 exec_lo, exec_lo, s10
	s_delay_alu instid0(SALU_CYCLE_1) | instskip(SKIP_1) | instid1(SALU_CYCLE_1)
	s_and_not1_b32 s7, s7, exec_lo
	s_and_b32 s9, s9, exec_lo
	s_or_b32 s7, s7, s9
.LBB89_41:                              ;   in Loop: Header=BB89_34 Depth=2
	s_or_b32 exec_lo, exec_lo, s8
	s_delay_alu instid0(SALU_CYCLE_1)
	s_and_b32 s7, s7, exec_lo
                                        ; implicit-def: $vgpr9
.LBB89_42:                              ;   in Loop: Header=BB89_34 Depth=2
	s_and_not1_saveexec_b32 s6, s6
	s_cbranch_execz .LBB89_33
; %bb.43:                               ;   in Loop: Header=BB89_34 Depth=2
	v_lshlrev_b32_e32 v5, 2, v8
	s_and_not1_b32 s7, s7, exec_lo
	s_delay_alu instid0(VALU_DEP_1)
	v_sub_nc_u32_e32 v5, v9, v5
	ds_add_f32 v5, v7 offset:16384
	s_branch .LBB89_33
.LBB89_44:
	s_or_b32 exec_lo, exec_lo, s3
.LBB89_45:
	v_mbcnt_lo_u32_b32 v1, -1, 0
	v_lshrrev_b32_e32 v2, 3, v0
	v_cmp_eq_u32_e32 vcc_lo, 0x3ff, v0
	v_cmp_lt_u32_e64 s0, 63, v0
	v_cmp_lt_u32_e64 s1, 0x7f, v0
	v_xor_b32_e32 v1, 63, v1
	v_and_b32_e32 v3, 0x78, v2
	v_cmp_lt_u32_e64 s2, 0xbf, v0
	v_cmp_lt_u32_e64 s3, 0xff, v0
	;; [unrolled: 1-line block ×3, first 2 shown]
	v_lshrrev_b64 v[1:2], v1, -1
	v_add_nc_u32_e32 v10, 0, v3
	v_dual_mov_b32 v2, 0 :: v_dual_mov_b32 v5, 0
	v_cmp_lt_u32_e64 s5, 0x17f, v0
	v_cmp_lt_u32_e64 s6, 0x1bf, v0
	;; [unrolled: 1-line block ×10, first 2 shown]
	v_mov_b32_e32 v3, 0
	s_mov_b32 s16, 0
	s_waitcnt lgkmcnt(0)
	s_barrier
	buffer_gl0_inv
	s_branch .LBB89_47
.LBB89_46:                              ;   in Loop: Header=BB89_47 Depth=1
	s_or_b32 exec_lo, exec_lo, s15
	s_waitcnt lgkmcnt(0)
	s_barrier
	buffer_gl0_inv
	ds_load_b64 v[6:7], v5 offset:24696
	v_add_co_u32 v12, s15, 0x400, v12
	s_delay_alu instid0(VALU_DEP_1) | instskip(SKIP_4) | instid1(VALU_DEP_1)
	s_xor_b32 s17, s15, -1
	v_add_nc_u32_e32 v13, 0x1000, v13
	v_add_nc_u32_e32 v11, 0x2000, v11
	s_waitcnt lgkmcnt(0)
	v_add_co_u32 v2, s15, v6, v2
	v_add_co_ci_u32_e64 v3, s15, v7, v3, s15
	s_and_b32 s15, exec_lo, s17
	s_delay_alu instid0(SALU_CYCLE_1) | instskip(NEXT) | instid1(SALU_CYCLE_1)
	s_or_b32 s16, s15, s16
	s_and_not1_b32 exec_lo, exec_lo, s16
	s_cbranch_execz .LBB89_81
.LBB89_47:                              ; =>This Inner Loop Header: Depth=1
	ds_load_b64 v[6:7], v11
	ds_load_b32 v14, v13
	s_waitcnt lgkmcnt(0)
	s_barrier
	buffer_gl0_inv
	v_cmp_gt_i64_e64 s15, s[36:37], v[6:7]
	s_delay_alu instid0(VALU_DEP_1) | instskip(SKIP_1) | instid1(SALU_CYCLE_1)
	v_and_b32_e32 v8, s15, v1
	s_bcnt1_i32_b32 s17, s15
	v_mov_b32_e32 v4, s17
	s_delay_alu instid0(VALU_DEP_2)
	v_bcnt_u32_b32 v8, v8, 0
	ds_store_b64 v10, v[4:5] offset:24576
	s_waitcnt lgkmcnt(0)
	s_barrier
	buffer_gl0_inv
	s_and_saveexec_b32 s17, s0
	s_cbranch_execnz .LBB89_64
; %bb.48:                               ;   in Loop: Header=BB89_47 Depth=1
	s_or_b32 exec_lo, exec_lo, s17
	s_and_saveexec_b32 s17, s1
	s_cbranch_execnz .LBB89_65
.LBB89_49:                              ;   in Loop: Header=BB89_47 Depth=1
	s_or_b32 exec_lo, exec_lo, s17
	s_and_saveexec_b32 s17, s2
	s_cbranch_execnz .LBB89_66
.LBB89_50:                              ;   in Loop: Header=BB89_47 Depth=1
	s_or_b32 exec_lo, exec_lo, s17
	s_and_saveexec_b32 s17, s3
	s_cbranch_execnz .LBB89_67
.LBB89_51:                              ;   in Loop: Header=BB89_47 Depth=1
	s_or_b32 exec_lo, exec_lo, s17
	s_and_saveexec_b32 s17, s4
	s_cbranch_execnz .LBB89_68
.LBB89_52:                              ;   in Loop: Header=BB89_47 Depth=1
	s_or_b32 exec_lo, exec_lo, s17
	s_and_saveexec_b32 s17, s5
	s_cbranch_execnz .LBB89_69
.LBB89_53:                              ;   in Loop: Header=BB89_47 Depth=1
	s_or_b32 exec_lo, exec_lo, s17
	s_and_saveexec_b32 s17, s6
	s_cbranch_execnz .LBB89_70
.LBB89_54:                              ;   in Loop: Header=BB89_47 Depth=1
	s_or_b32 exec_lo, exec_lo, s17
	s_and_saveexec_b32 s17, s7
	s_cbranch_execnz .LBB89_71
.LBB89_55:                              ;   in Loop: Header=BB89_47 Depth=1
	s_or_b32 exec_lo, exec_lo, s17
	s_and_saveexec_b32 s17, s8
	s_cbranch_execnz .LBB89_72
.LBB89_56:                              ;   in Loop: Header=BB89_47 Depth=1
	s_or_b32 exec_lo, exec_lo, s17
	s_and_saveexec_b32 s17, s9
	s_cbranch_execnz .LBB89_73
.LBB89_57:                              ;   in Loop: Header=BB89_47 Depth=1
	s_or_b32 exec_lo, exec_lo, s17
	s_and_saveexec_b32 s17, s10
	s_cbranch_execnz .LBB89_74
.LBB89_58:                              ;   in Loop: Header=BB89_47 Depth=1
	s_or_b32 exec_lo, exec_lo, s17
	s_and_saveexec_b32 s17, s11
	s_cbranch_execnz .LBB89_75
.LBB89_59:                              ;   in Loop: Header=BB89_47 Depth=1
	s_or_b32 exec_lo, exec_lo, s17
	s_and_saveexec_b32 s17, s12
	s_cbranch_execnz .LBB89_76
.LBB89_60:                              ;   in Loop: Header=BB89_47 Depth=1
	s_or_b32 exec_lo, exec_lo, s17
	s_and_saveexec_b32 s17, s13
	s_cbranch_execnz .LBB89_77
.LBB89_61:                              ;   in Loop: Header=BB89_47 Depth=1
	s_or_b32 exec_lo, exec_lo, s17
	s_and_saveexec_b32 s17, s14
	s_cbranch_execnz .LBB89_78
.LBB89_62:                              ;   in Loop: Header=BB89_47 Depth=1
	s_or_b32 exec_lo, exec_lo, s17
	v_ashrrev_i32_e32 v9, 31, v8
	s_and_saveexec_b32 s17, s15
	s_cbranch_execnz .LBB89_79
.LBB89_63:                              ;   in Loop: Header=BB89_47 Depth=1
	s_or_b32 exec_lo, exec_lo, s17
	s_and_saveexec_b32 s15, vcc_lo
	s_cbranch_execz .LBB89_46
	s_branch .LBB89_80
.LBB89_64:                              ;   in Loop: Header=BB89_47 Depth=1
	ds_load_b32 v4, v5 offset:24576
	s_waitcnt lgkmcnt(0)
	v_add_nc_u32_e32 v8, v4, v8
	s_or_b32 exec_lo, exec_lo, s17
	s_and_saveexec_b32 s17, s1
	s_cbranch_execz .LBB89_49
.LBB89_65:                              ;   in Loop: Header=BB89_47 Depth=1
	ds_load_b32 v4, v5 offset:24584
	s_waitcnt lgkmcnt(0)
	v_add_nc_u32_e32 v8, v8, v4
	s_or_b32 exec_lo, exec_lo, s17
	s_and_saveexec_b32 s17, s2
	s_cbranch_execz .LBB89_50
.LBB89_66:                              ;   in Loop: Header=BB89_47 Depth=1
	ds_load_b32 v4, v5 offset:24592
	s_waitcnt lgkmcnt(0)
	v_add_nc_u32_e32 v8, v8, v4
	s_or_b32 exec_lo, exec_lo, s17
	s_and_saveexec_b32 s17, s3
	s_cbranch_execz .LBB89_51
.LBB89_67:                              ;   in Loop: Header=BB89_47 Depth=1
	ds_load_b32 v4, v5 offset:24600
	s_waitcnt lgkmcnt(0)
	v_add_nc_u32_e32 v8, v8, v4
	s_or_b32 exec_lo, exec_lo, s17
	s_and_saveexec_b32 s17, s4
	s_cbranch_execz .LBB89_52
.LBB89_68:                              ;   in Loop: Header=BB89_47 Depth=1
	ds_load_b32 v4, v5 offset:24608
	s_waitcnt lgkmcnt(0)
	v_add_nc_u32_e32 v8, v8, v4
	s_or_b32 exec_lo, exec_lo, s17
	s_and_saveexec_b32 s17, s5
	s_cbranch_execz .LBB89_53
.LBB89_69:                              ;   in Loop: Header=BB89_47 Depth=1
	ds_load_b32 v4, v5 offset:24616
	s_waitcnt lgkmcnt(0)
	v_add_nc_u32_e32 v8, v8, v4
	s_or_b32 exec_lo, exec_lo, s17
	s_and_saveexec_b32 s17, s6
	s_cbranch_execz .LBB89_54
.LBB89_70:                              ;   in Loop: Header=BB89_47 Depth=1
	ds_load_b32 v4, v5 offset:24624
	s_waitcnt lgkmcnt(0)
	v_add_nc_u32_e32 v8, v8, v4
	s_or_b32 exec_lo, exec_lo, s17
	s_and_saveexec_b32 s17, s7
	s_cbranch_execz .LBB89_55
.LBB89_71:                              ;   in Loop: Header=BB89_47 Depth=1
	ds_load_b32 v4, v5 offset:24632
	s_waitcnt lgkmcnt(0)
	v_add_nc_u32_e32 v8, v8, v4
	s_or_b32 exec_lo, exec_lo, s17
	s_and_saveexec_b32 s17, s8
	s_cbranch_execz .LBB89_56
.LBB89_72:                              ;   in Loop: Header=BB89_47 Depth=1
	ds_load_b32 v4, v5 offset:24640
	s_waitcnt lgkmcnt(0)
	v_add_nc_u32_e32 v8, v8, v4
	s_or_b32 exec_lo, exec_lo, s17
	s_and_saveexec_b32 s17, s9
	s_cbranch_execz .LBB89_57
.LBB89_73:                              ;   in Loop: Header=BB89_47 Depth=1
	ds_load_b32 v4, v5 offset:24648
	s_waitcnt lgkmcnt(0)
	v_add_nc_u32_e32 v8, v8, v4
	s_or_b32 exec_lo, exec_lo, s17
	s_and_saveexec_b32 s17, s10
	s_cbranch_execz .LBB89_58
.LBB89_74:                              ;   in Loop: Header=BB89_47 Depth=1
	ds_load_b32 v4, v5 offset:24656
	s_waitcnt lgkmcnt(0)
	v_add_nc_u32_e32 v8, v8, v4
	s_or_b32 exec_lo, exec_lo, s17
	s_and_saveexec_b32 s17, s11
	s_cbranch_execz .LBB89_59
.LBB89_75:                              ;   in Loop: Header=BB89_47 Depth=1
	ds_load_b32 v4, v5 offset:24664
	s_waitcnt lgkmcnt(0)
	v_add_nc_u32_e32 v8, v8, v4
	s_or_b32 exec_lo, exec_lo, s17
	s_and_saveexec_b32 s17, s12
	s_cbranch_execz .LBB89_60
.LBB89_76:                              ;   in Loop: Header=BB89_47 Depth=1
	ds_load_b32 v4, v5 offset:24672
	s_waitcnt lgkmcnt(0)
	v_add_nc_u32_e32 v8, v8, v4
	s_or_b32 exec_lo, exec_lo, s17
	s_and_saveexec_b32 s17, s13
	s_cbranch_execz .LBB89_61
.LBB89_77:                              ;   in Loop: Header=BB89_47 Depth=1
	ds_load_b32 v4, v5 offset:24680
	s_waitcnt lgkmcnt(0)
	v_add_nc_u32_e32 v8, v8, v4
	s_or_b32 exec_lo, exec_lo, s17
	s_and_saveexec_b32 s17, s14
	s_cbranch_execz .LBB89_62
.LBB89_78:                              ;   in Loop: Header=BB89_47 Depth=1
	ds_load_b32 v4, v5 offset:24688
	s_waitcnt lgkmcnt(0)
	v_add_nc_u32_e32 v8, v8, v4
	s_or_b32 exec_lo, exec_lo, s17
	s_delay_alu instid0(VALU_DEP_1)
	v_ashrrev_i32_e32 v9, 31, v8
	s_and_saveexec_b32 s17, s15
	s_cbranch_execz .LBB89_63
.LBB89_79:                              ;   in Loop: Header=BB89_47 Depth=1
	v_add3_u32 v4, v2, -1, v8
	s_delay_alu instid0(VALU_DEP_1)
	v_lshl_add_u32 v15, v4, 3, 0
	v_lshl_add_u32 v4, v4, 2, 0
	ds_store_b64 v15, v[6:7]
	ds_store_b32 v4, v14 offset:16384
	s_or_b32 exec_lo, exec_lo, s17
	s_and_saveexec_b32 s15, vcc_lo
	s_cbranch_execz .LBB89_46
.LBB89_80:                              ;   in Loop: Header=BB89_47 Depth=1
	ds_store_b64 v5, v[8:9] offset:24696
	s_branch .LBB89_46
.LBB89_81:
	s_or_b32 exec_lo, exec_lo, s16
	s_lshl_b64 s[0:1], s[28:29], 3
	v_mov_b32_e32 v1, 0
	s_add_u32 s0, s18, s0
	s_addc_u32 s1, s19, s1
	s_mov_b32 s6, exec_lo
	s_load_b128 s[0:3], s[0:1], 0x0
	s_waitcnt lgkmcnt(0)
	s_sub_u32 s4, s2, s0
	s_subb_u32 s5, s3, s1
	s_delay_alu instid0(SALU_CYCLE_1)
	v_cmpx_gt_i64_e64 s[4:5], v[0:1]
	s_cbranch_execz .LBB89_91
; %bb.82:
	s_sub_u32 s8, s0, s22
	s_subb_u32 s9, s1, 0
	s_and_b32 s6, s4, 7
	s_sub_u32 s0, s0, s2
	s_subb_u32 s1, s1, s3
	s_mov_b32 s7, 0
	v_cmp_lt_u64_e64 s12, s[0:1], -7
	s_and_b32 s2, s4, -8
	s_cmp_lg_u64 s[6:7], 0
	s_mov_b32 s3, s5
	s_cselect_b32 s13, -1, 0
	s_mov_b32 s14, s7
	s_branch .LBB89_84
.LBB89_83:                              ;   in Loop: Header=BB89_84 Depth=1
	v_add_co_u32 v0, vcc_lo, 0x400, v0
	v_add_co_ci_u32_e32 v1, vcc_lo, 0, v1, vcc_lo
	s_waitcnt lgkmcnt(1)
	v_lshlrev_b64 v[2:3], 2, v[4:5]
	s_delay_alu instid0(VALU_DEP_2) | instskip(NEXT) | instid1(VALU_DEP_2)
	v_cmp_le_i64_e32 vcc_lo, s[4:5], v[0:1]
	v_add_co_u32 v2, s0, s34, v2
	s_delay_alu instid0(VALU_DEP_1)
	v_add_co_ci_u32_e64 v3, s0, s35, v3, s0
	s_or_b32 s14, vcc_lo, s14
	s_waitcnt lgkmcnt(0)
	global_store_b32 v[2:3], v6, off
	s_and_not1_b32 exec_lo, exec_lo, s14
	s_cbranch_execz .LBB89_91
.LBB89_84:                              ; =>This Loop Header: Depth=1
                                        ;     Child Loop BB89_86 Depth 2
                                        ;     Child Loop BB89_90 Depth 2
	v_lshl_add_u32 v2, v0, 3, 0
	v_lshlrev_b32_e32 v3, 2, v0
	s_and_not1_b32 vcc_lo, exec_lo, s12
	s_mov_b64 s[0:1], 0
	s_delay_alu instid0(VALU_DEP_1)
	v_sub_nc_u32_e32 v4, v2, v3
	ds_load_b64 v[2:3], v2
	ds_load_b32 v6, v4 offset:16384
	v_dual_mov_b32 v4, s8 :: v_dual_mov_b32 v5, s9
	s_cbranch_vccnz .LBB89_88
; %bb.85:                               ;   in Loop: Header=BB89_84 Depth=1
	v_dual_mov_b32 v4, s8 :: v_dual_mov_b32 v5, s9
	s_mov_b64 s[10:11], 0
	s_mov_b32 s1, 0
.LBB89_86:                              ;   Parent Loop BB89_84 Depth=1
                                        ; =>  This Inner Loop Header: Depth=2
	s_delay_alu instid0(SALU_CYCLE_1)
	v_mov_b32_e32 v19, s1
	s_add_u32 s10, s10, 8
	s_addc_u32 s11, s11, 0
	s_add_i32 s1, s1, 64
	s_cmp_eq_u64 s[2:3], s[10:11]
	ds_load_2addr_b64 v[7:10], v19 offset1:1
	ds_load_2addr_b64 v[11:14], v19 offset0:2 offset1:3
	ds_load_2addr_b64 v[15:18], v19 offset0:4 offset1:5
	;; [unrolled: 1-line block ×3, first 2 shown]
	s_waitcnt lgkmcnt(3)
	v_cmp_gt_i64_e32 vcc_lo, v[2:3], v[7:8]
	v_cndmask_b32_e64 v7, 0, 1, vcc_lo
	v_cmp_gt_i64_e32 vcc_lo, v[2:3], v[9:10]
	v_cndmask_b32_e64 v8, 0, 1, vcc_lo
	s_waitcnt lgkmcnt(2)
	v_cmp_gt_i64_e32 vcc_lo, v[2:3], v[11:12]
	v_cndmask_b32_e64 v9, 0, 1, vcc_lo
	v_cmp_gt_i64_e32 vcc_lo, v[2:3], v[13:14]
	v_cndmask_b32_e64 v10, 0, 1, vcc_lo
	s_waitcnt lgkmcnt(1)
	v_cmp_gt_i64_e32 vcc_lo, v[2:3], v[15:16]
	v_cndmask_b32_e64 v11, 0, 1, vcc_lo
	v_add_co_u32 v4, vcc_lo, v4, v7
	v_add_co_ci_u32_e32 v5, vcc_lo, 0, v5, vcc_lo
	v_cmp_gt_i64_e32 vcc_lo, v[2:3], v[17:18]
	s_delay_alu instid0(VALU_DEP_3) | instskip(NEXT) | instid1(VALU_DEP_1)
	v_add_co_u32 v4, s0, v4, v8
	v_add_co_ci_u32_e64 v5, s0, 0, v5, s0
	v_cndmask_b32_e64 v7, 0, 1, vcc_lo
	s_delay_alu instid0(VALU_DEP_3) | instskip(NEXT) | instid1(VALU_DEP_3)
	v_add_co_u32 v4, vcc_lo, v4, v9
	v_add_co_ci_u32_e32 v5, vcc_lo, 0, v5, vcc_lo
	s_waitcnt lgkmcnt(0)
	v_cmp_gt_i64_e32 vcc_lo, v[2:3], v[19:20]
	s_delay_alu instid0(VALU_DEP_3) | instskip(NEXT) | instid1(VALU_DEP_1)
	v_add_co_u32 v4, s0, v4, v10
	v_add_co_ci_u32_e64 v5, s0, 0, v5, s0
	v_cndmask_b32_e64 v8, 0, 1, vcc_lo
	s_delay_alu instid0(VALU_DEP_3) | instskip(NEXT) | instid1(VALU_DEP_3)
	v_add_co_u32 v4, vcc_lo, v4, v11
	v_add_co_ci_u32_e32 v5, vcc_lo, 0, v5, vcc_lo
	v_cmp_gt_i64_e32 vcc_lo, v[2:3], v[21:22]
	s_delay_alu instid0(VALU_DEP_3) | instskip(NEXT) | instid1(VALU_DEP_1)
	v_add_co_u32 v4, s0, v4, v7
	v_add_co_ci_u32_e64 v5, s0, 0, v5, s0
	v_cndmask_b32_e64 v7, 0, 1, vcc_lo
	s_delay_alu instid0(VALU_DEP_3) | instskip(NEXT) | instid1(VALU_DEP_3)
	v_add_co_u32 v4, vcc_lo, v4, v8
	v_add_co_ci_u32_e32 v5, vcc_lo, 0, v5, vcc_lo
	s_delay_alu instid0(VALU_DEP_2) | instskip(NEXT) | instid1(VALU_DEP_2)
	v_add_co_u32 v4, vcc_lo, v4, v7
	v_add_co_ci_u32_e32 v5, vcc_lo, 0, v5, vcc_lo
	s_cbranch_scc0 .LBB89_86
; %bb.87:                               ;   in Loop: Header=BB89_84 Depth=1
	s_mov_b64 s[0:1], s[2:3]
.LBB89_88:                              ;   in Loop: Header=BB89_84 Depth=1
	s_and_not1_b32 vcc_lo, exec_lo, s13
	s_cbranch_vccnz .LBB89_83
; %bb.89:                               ;   in Loop: Header=BB89_84 Depth=1
	s_lshl_b32 s0, s0, 3
	s_delay_alu instid0(SALU_CYCLE_1)
	s_add_i32 s10, s0, 0
	s_mov_b64 s[0:1], s[6:7]
.LBB89_90:                              ;   Parent Loop BB89_84 Depth=1
                                        ; =>  This Inner Loop Header: Depth=2
	v_mov_b32_e32 v7, s10
	s_add_i32 s10, s10, 8
	s_add_u32 s0, s0, -1
	s_addc_u32 s1, s1, -1
	s_delay_alu instid0(SALU_CYCLE_1) | instskip(SKIP_4) | instid1(VALU_DEP_1)
	s_cmp_lg_u64 s[0:1], 0
	ds_load_b64 v[7:8], v7
	s_waitcnt lgkmcnt(0)
	v_cmp_gt_i64_e32 vcc_lo, v[2:3], v[7:8]
	v_cndmask_b32_e64 v7, 0, 1, vcc_lo
	v_add_co_u32 v4, vcc_lo, v4, v7
	v_add_co_ci_u32_e32 v5, vcc_lo, 0, v5, vcc_lo
	s_cbranch_scc1 .LBB89_90
	s_branch .LBB89_83
.LBB89_91:
	s_nop 0
	s_sendmsg sendmsg(MSG_DEALLOC_VGPRS)
	s_endpgm
	.section	.rodata,"a",@progbits
	.p2align	6, 0x0
	.amdhsa_kernel _ZN9rocsparseL41csrgemm_numeric_fill_block_per_row_kernelILj1024ELj32ELj2048ELj137ELj64EllfEEvT5_PKS1_S3_NS_24const_host_device_scalarIT6_EEPKT4_S3_PKS5_S9_S3_SB_S6_S9_S3_SB_S9_S3_PS5_21rocsparse_index_base_SD_SD_SD_bbb
		.amdhsa_group_segment_fixed_size 0
		.amdhsa_private_segment_fixed_size 0
		.amdhsa_kernarg_size 156
		.amdhsa_user_sgpr_count 15
		.amdhsa_user_sgpr_dispatch_ptr 0
		.amdhsa_user_sgpr_queue_ptr 0
		.amdhsa_user_sgpr_kernarg_segment_ptr 1
		.amdhsa_user_sgpr_dispatch_id 0
		.amdhsa_user_sgpr_private_segment_size 0
		.amdhsa_wavefront_size32 1
		.amdhsa_uses_dynamic_stack 0
		.amdhsa_enable_private_segment 0
		.amdhsa_system_sgpr_workgroup_id_x 1
		.amdhsa_system_sgpr_workgroup_id_y 0
		.amdhsa_system_sgpr_workgroup_id_z 0
		.amdhsa_system_sgpr_workgroup_info 0
		.amdhsa_system_vgpr_workitem_id 0
		.amdhsa_next_free_vgpr 23
		.amdhsa_next_free_sgpr 42
		.amdhsa_reserve_vcc 1
		.amdhsa_float_round_mode_32 0
		.amdhsa_float_round_mode_16_64 0
		.amdhsa_float_denorm_mode_32 3
		.amdhsa_float_denorm_mode_16_64 3
		.amdhsa_dx10_clamp 1
		.amdhsa_ieee_mode 1
		.amdhsa_fp16_overflow 0
		.amdhsa_workgroup_processor_mode 1
		.amdhsa_memory_ordered 1
		.amdhsa_forward_progress 0
		.amdhsa_shared_vgpr_count 0
		.amdhsa_exception_fp_ieee_invalid_op 0
		.amdhsa_exception_fp_denorm_src 0
		.amdhsa_exception_fp_ieee_div_zero 0
		.amdhsa_exception_fp_ieee_overflow 0
		.amdhsa_exception_fp_ieee_underflow 0
		.amdhsa_exception_fp_ieee_inexact 0
		.amdhsa_exception_int_div_zero 0
	.end_amdhsa_kernel
	.section	.text._ZN9rocsparseL41csrgemm_numeric_fill_block_per_row_kernelILj1024ELj32ELj2048ELj137ELj64EllfEEvT5_PKS1_S3_NS_24const_host_device_scalarIT6_EEPKT4_S3_PKS5_S9_S3_SB_S6_S9_S3_SB_S9_S3_PS5_21rocsparse_index_base_SD_SD_SD_bbb,"axG",@progbits,_ZN9rocsparseL41csrgemm_numeric_fill_block_per_row_kernelILj1024ELj32ELj2048ELj137ELj64EllfEEvT5_PKS1_S3_NS_24const_host_device_scalarIT6_EEPKT4_S3_PKS5_S9_S3_SB_S6_S9_S3_SB_S9_S3_PS5_21rocsparse_index_base_SD_SD_SD_bbb,comdat
.Lfunc_end89:
	.size	_ZN9rocsparseL41csrgemm_numeric_fill_block_per_row_kernelILj1024ELj32ELj2048ELj137ELj64EllfEEvT5_PKS1_S3_NS_24const_host_device_scalarIT6_EEPKT4_S3_PKS5_S9_S3_SB_S6_S9_S3_SB_S9_S3_PS5_21rocsparse_index_base_SD_SD_SD_bbb, .Lfunc_end89-_ZN9rocsparseL41csrgemm_numeric_fill_block_per_row_kernelILj1024ELj32ELj2048ELj137ELj64EllfEEvT5_PKS1_S3_NS_24const_host_device_scalarIT6_EEPKT4_S3_PKS5_S9_S3_SB_S6_S9_S3_SB_S9_S3_PS5_21rocsparse_index_base_SD_SD_SD_bbb
                                        ; -- End function
	.section	.AMDGPU.csdata,"",@progbits
; Kernel info:
; codeLenInByte = 3564
; NumSgprs: 44
; NumVgprs: 23
; ScratchSize: 0
; MemoryBound: 0
; FloatMode: 240
; IeeeMode: 1
; LDSByteSize: 0 bytes/workgroup (compile time only)
; SGPRBlocks: 5
; VGPRBlocks: 2
; NumSGPRsForWavesPerEU: 44
; NumVGPRsForWavesPerEU: 23
; Occupancy: 16
; WaveLimiterHint : 1
; COMPUTE_PGM_RSRC2:SCRATCH_EN: 0
; COMPUTE_PGM_RSRC2:USER_SGPR: 15
; COMPUTE_PGM_RSRC2:TRAP_HANDLER: 0
; COMPUTE_PGM_RSRC2:TGID_X_EN: 1
; COMPUTE_PGM_RSRC2:TGID_Y_EN: 0
; COMPUTE_PGM_RSRC2:TGID_Z_EN: 0
; COMPUTE_PGM_RSRC2:TIDIG_COMP_CNT: 0
	.section	.text._ZN9rocsparseL41csrgemm_numeric_fill_block_per_row_kernelILj1024ELj64ELj4096ELj137ELj32EllfEEvT5_PKS1_S3_NS_24const_host_device_scalarIT6_EEPKT4_S3_PKS5_S9_S3_SB_S6_S9_S3_SB_S9_S3_PS5_21rocsparse_index_base_SD_SD_SD_bbb,"axG",@progbits,_ZN9rocsparseL41csrgemm_numeric_fill_block_per_row_kernelILj1024ELj64ELj4096ELj137ELj32EllfEEvT5_PKS1_S3_NS_24const_host_device_scalarIT6_EEPKT4_S3_PKS5_S9_S3_SB_S6_S9_S3_SB_S9_S3_PS5_21rocsparse_index_base_SD_SD_SD_bbb,comdat
	.globl	_ZN9rocsparseL41csrgemm_numeric_fill_block_per_row_kernelILj1024ELj64ELj4096ELj137ELj32EllfEEvT5_PKS1_S3_NS_24const_host_device_scalarIT6_EEPKT4_S3_PKS5_S9_S3_SB_S6_S9_S3_SB_S9_S3_PS5_21rocsparse_index_base_SD_SD_SD_bbb ; -- Begin function _ZN9rocsparseL41csrgemm_numeric_fill_block_per_row_kernelILj1024ELj64ELj4096ELj137ELj32EllfEEvT5_PKS1_S3_NS_24const_host_device_scalarIT6_EEPKT4_S3_PKS5_S9_S3_SB_S6_S9_S3_SB_S9_S3_PS5_21rocsparse_index_base_SD_SD_SD_bbb
	.p2align	8
	.type	_ZN9rocsparseL41csrgemm_numeric_fill_block_per_row_kernelILj1024ELj64ELj4096ELj137ELj32EllfEEvT5_PKS1_S3_NS_24const_host_device_scalarIT6_EEPKT4_S3_PKS5_S9_S3_SB_S6_S9_S3_SB_S9_S3_PS5_21rocsparse_index_base_SD_SD_SD_bbb,@function
_ZN9rocsparseL41csrgemm_numeric_fill_block_per_row_kernelILj1024ELj64ELj4096ELj137ELj32EllfEEvT5_PKS1_S3_NS_24const_host_device_scalarIT6_EEPKT4_S3_PKS5_S9_S3_SB_S6_S9_S3_SB_S9_S3_PS5_21rocsparse_index_base_SD_SD_SD_bbb: ; @_ZN9rocsparseL41csrgemm_numeric_fill_block_per_row_kernelILj1024ELj64ELj4096ELj137ELj32EllfEEvT5_PKS1_S3_NS_24const_host_device_scalarIT6_EEPKT4_S3_PKS5_S9_S3_SB_S6_S9_S3_SB_S9_S3_PS5_21rocsparse_index_base_SD_SD_SD_bbb
; %bb.0:
	s_clause 0x3
	s_load_b32 s3, s[0:1], 0x98
	s_load_b128 s[44:47], s[0:1], 0x88
	s_load_b64 s[4:5], s[0:1], 0x18
	s_load_b64 s[20:21], s[0:1], 0x50
	s_mov_b32 s2, s15
	s_waitcnt lgkmcnt(0)
	s_bitcmp1_b32 s3, 0
	s_cselect_b32 s23, -1, 0
	s_bitcmp1_b32 s3, 16
	s_cselect_b32 s24, -1, 0
	s_xor_b32 s6, s23, -1
	s_delay_alu instid0(SALU_CYCLE_1) | instskip(NEXT) | instid1(SALU_CYCLE_1)
	s_or_b32 s6, s6, s24
	s_and_b32 vcc_lo, exec_lo, s6
	s_cbranch_vccnz .LBB90_2
; %bb.1:
	s_load_b32 s4, s[4:5], 0x0
	s_waitcnt lgkmcnt(0)
	v_mov_b32_e32 v15, s4
	s_branch .LBB90_3
.LBB90_2:
	v_cndmask_b32_e64 v15, 0, s4, s23
.LBB90_3:
	s_clause 0x4
	s_load_b64 s[34:35], s[0:1], 0x80
	s_load_b256 s[36:43], s[0:1], 0x58
	s_load_b128 s[12:15], s[0:1], 0x40
	s_load_b128 s[16:19], s[0:1], 0x8
	s_load_b256 s[4:11], s[0:1], 0x20
	s_bitcmp1_b32 s3, 8
	s_cselect_b32 s22, -1, 0
	s_delay_alu instid0(SALU_CYCLE_1) | instskip(NEXT) | instid1(SALU_CYCLE_1)
	s_xor_b32 s3, s22, -1
	s_or_b32 s3, s3, s24
	s_delay_alu instid0(SALU_CYCLE_1)
	s_and_b32 vcc_lo, exec_lo, s3
	s_cbranch_vccnz .LBB90_5
; %bb.4:
	s_load_b32 s3, s[20:21], 0x0
	s_waitcnt lgkmcnt(0)
	v_mov_b32_e32 v14, s3
	s_branch .LBB90_6
.LBB90_5:
	v_cndmask_b32_e64 v14, 0, s20, s22
.LBB90_6:
	s_load_b64 s[48:49], s[0:1], 0x0
	v_lshl_add_u32 v11, v0, 3, 0
	v_lshlrev_b32_e32 v1, 2, v0
	v_or_b32_e32 v12, 0xfffffc00, v0
	v_mov_b32_e32 v3, 0
	s_mov_b32 s0, 0
	v_mov_b32_e32 v4, v11
	v_add3_u32 v13, v1, 0, 0x8000
	s_delay_alu instid0(VALU_DEP_1)
	v_dual_mov_b32 v5, v12 :: v_dual_mov_b32 v6, v13
	s_waitcnt lgkmcnt(0)
	v_dual_mov_b32 v1, s48 :: v_dual_mov_b32 v2, s49
.LBB90_7:                               ; =>This Inner Loop Header: Depth=1
	s_delay_alu instid0(VALU_DEP_2)
	v_add_nc_u32_e32 v5, 0x400, v5
	ds_store_b64 v4, v[1:2]
	ds_store_b32 v6, v3
	v_add_nc_u32_e32 v6, 0x1000, v6
	v_add_nc_u32_e32 v4, 0x2000, v4
	v_cmp_lt_u32_e32 vcc_lo, 0xbff, v5
	s_or_b32 s0, vcc_lo, s0
	s_delay_alu instid0(SALU_CYCLE_1)
	s_and_not1_b32 exec_lo, exec_lo, s0
	s_cbranch_execnz .LBB90_7
; %bb.8:
	s_or_b32 exec_lo, exec_lo, s0
	s_waitcnt lgkmcnt(0)
	s_barrier
	buffer_gl0_inv
	s_load_b64 s[0:1], s[16:17], 0x0
	s_mov_b32 s3, 0
	s_waitcnt lgkmcnt(0)
	s_lshl_b64 s[0:1], s[0:1], 3
	s_delay_alu instid0(SALU_CYCLE_1) | instskip(SKIP_2) | instid1(SALU_CYCLE_1)
	s_add_u32 s16, s18, s0
	s_addc_u32 s17, s19, s1
	s_lshl_b64 s[0:1], s[2:3], 3
	s_add_u32 s0, s16, s0
	s_addc_u32 s1, s17, s1
	s_and_b32 vcc_lo, exec_lo, s23
	s_load_b64 s[50:51], s[0:1], 0x0
	s_cbranch_vccz .LBB90_28
; %bb.9:
	s_waitcnt lgkmcnt(0)
	s_lshl_b64 s[0:1], s[50:51], 3
	v_lshrrev_b32_e32 v1, 6, v0
	s_add_u32 s0, s4, s0
	s_addc_u32 s1, s5, s1
	s_load_b128 s[0:3], s[0:1], 0x0
	s_delay_alu instid0(VALU_DEP_1) | instskip(NEXT) | instid1(VALU_DEP_1)
	v_sub_co_u32 v1, s4, v1, s44
	v_sub_co_ci_u32_e64 v2, null, 0, 0, s4
	s_waitcnt lgkmcnt(0)
	s_delay_alu instid0(VALU_DEP_2) | instskip(NEXT) | instid1(VALU_DEP_2)
	v_add_co_u32 v1, vcc_lo, s0, v1
	v_add_co_ci_u32_e32 v2, vcc_lo, s1, v2, vcc_lo
	s_sub_u32 s0, s2, s44
	s_subb_u32 s1, s3, 0
	s_mov_b32 s2, exec_lo
	s_delay_alu instid0(VALU_DEP_1)
	v_cmpx_gt_i64_e64 s[0:1], v[1:2]
	s_cbranch_execz .LBB90_27
; %bb.10:
	v_and_b32_e32 v3, 63, v0
	s_mov_b32 s4, s45
	s_delay_alu instid0(VALU_DEP_1) | instskip(NEXT) | instid1(VALU_DEP_1)
	v_sub_co_u32 v16, s3, v3, s45
	v_sub_co_ci_u32_e64 v17, null, 0, 0, s3
	s_mov_b32 s3, 0
	s_branch .LBB90_12
.LBB90_11:                              ;   in Loop: Header=BB90_12 Depth=1
	s_or_b32 exec_lo, exec_lo, s5
	v_add_co_u32 v1, vcc_lo, v1, 16
	v_add_co_ci_u32_e32 v2, vcc_lo, 0, v2, vcc_lo
	s_delay_alu instid0(VALU_DEP_1) | instskip(SKIP_1) | instid1(SALU_CYCLE_1)
	v_cmp_le_i64_e32 vcc_lo, s[0:1], v[1:2]
	s_or_b32 s3, vcc_lo, s3
	s_and_not1_b32 exec_lo, exec_lo, s3
	s_cbranch_execz .LBB90_27
.LBB90_12:                              ; =>This Loop Header: Depth=1
                                        ;     Child Loop BB90_15 Depth 2
                                        ;       Child Loop BB90_17 Depth 3
	v_lshlrev_b64 v[3:4], 3, v[1:2]
	s_mov_b32 s5, exec_lo
	s_delay_alu instid0(VALU_DEP_1) | instskip(NEXT) | instid1(VALU_DEP_2)
	v_add_co_u32 v3, vcc_lo, s6, v3
	v_add_co_ci_u32_e32 v4, vcc_lo, s7, v4, vcc_lo
	global_load_b64 v[3:4], v[3:4], off
	s_waitcnt vmcnt(0)
	v_sub_co_u32 v3, vcc_lo, v3, s44
	v_subrev_co_ci_u32_e32 v4, vcc_lo, 0, v4, vcc_lo
	s_delay_alu instid0(VALU_DEP_1) | instskip(NEXT) | instid1(VALU_DEP_1)
	v_lshlrev_b64 v[3:4], 3, v[3:4]
	v_add_co_u32 v3, vcc_lo, s10, v3
	s_delay_alu instid0(VALU_DEP_2)
	v_add_co_ci_u32_e32 v4, vcc_lo, s11, v4, vcc_lo
	global_load_b128 v[5:8], v[3:4], off
	s_waitcnt vmcnt(0)
	v_sub_co_u32 v3, vcc_lo, v7, s4
	v_subrev_co_ci_u32_e32 v4, vcc_lo, 0, v8, vcc_lo
	v_add_co_u32 v5, vcc_lo, v5, v16
	v_add_co_ci_u32_e32 v6, vcc_lo, v6, v17, vcc_lo
	s_delay_alu instid0(VALU_DEP_1)
	v_cmpx_lt_i64_e64 v[5:6], v[3:4]
	s_cbranch_execz .LBB90_11
; %bb.13:                               ;   in Loop: Header=BB90_12 Depth=1
	v_lshlrev_b64 v[7:8], 2, v[1:2]
	s_mov_b32 s16, 0
	s_delay_alu instid0(VALU_DEP_1) | instskip(NEXT) | instid1(VALU_DEP_2)
	v_add_co_u32 v7, vcc_lo, s8, v7
	v_add_co_ci_u32_e32 v8, vcc_lo, s9, v8, vcc_lo
	global_load_b32 v7, v[7:8], off
	s_waitcnt vmcnt(0)
	v_mul_f32_e32 v18, v15, v7
	s_branch .LBB90_15
.LBB90_14:                              ;   in Loop: Header=BB90_15 Depth=2
	s_or_b32 exec_lo, exec_lo, s17
	v_add_co_u32 v5, vcc_lo, v5, 64
	v_add_co_ci_u32_e32 v6, vcc_lo, 0, v6, vcc_lo
	s_delay_alu instid0(VALU_DEP_1) | instskip(SKIP_1) | instid1(SALU_CYCLE_1)
	v_cmp_ge_i64_e32 vcc_lo, v[5:6], v[3:4]
	s_or_b32 s16, vcc_lo, s16
	s_and_not1_b32 exec_lo, exec_lo, s16
	s_cbranch_execz .LBB90_11
.LBB90_15:                              ;   Parent Loop BB90_12 Depth=1
                                        ; =>  This Loop Header: Depth=2
                                        ;       Child Loop BB90_17 Depth 3
	v_lshlrev_b64 v[7:8], 3, v[5:6]
	v_lshlrev_b64 v[9:10], 2, v[5:6]
	s_mov_b32 s17, 0
	s_delay_alu instid0(VALU_DEP_2) | instskip(NEXT) | instid1(VALU_DEP_3)
	v_add_co_u32 v7, vcc_lo, s12, v7
	v_add_co_ci_u32_e32 v8, vcc_lo, s13, v8, vcc_lo
	s_delay_alu instid0(VALU_DEP_3) | instskip(NEXT) | instid1(VALU_DEP_4)
	v_add_co_u32 v9, vcc_lo, s14, v9
	v_add_co_ci_u32_e32 v10, vcc_lo, s15, v10, vcc_lo
	global_load_b64 v[7:8], v[7:8], off
	global_load_b32 v9, v[9:10], off
	s_waitcnt vmcnt(1)
	v_sub_co_u32 v7, vcc_lo, v7, s4
	v_subrev_co_ci_u32_e32 v8, vcc_lo, 0, v8, vcc_lo
	s_delay_alu instid0(VALU_DEP_2) | instskip(SKIP_1) | instid1(VALU_DEP_1)
	v_mul_lo_u32 v10, 0x89, v7
	s_waitcnt vmcnt(0)
	v_dual_mul_f32 v19, v18, v9 :: v_dual_and_b32 v20, 0xfff, v10
	s_branch .LBB90_17
.LBB90_16:                              ;   in Loop: Header=BB90_17 Depth=3
	s_or_b32 exec_lo, exec_lo, s18
	s_xor_b32 s18, s19, -1
	s_delay_alu instid0(SALU_CYCLE_1) | instskip(NEXT) | instid1(SALU_CYCLE_1)
	s_and_b32 s18, exec_lo, s18
	s_or_b32 s17, s18, s17
	s_delay_alu instid0(SALU_CYCLE_1)
	s_and_not1_b32 exec_lo, exec_lo, s17
	s_cbranch_execz .LBB90_14
.LBB90_17:                              ;   Parent Loop BB90_12 Depth=1
                                        ;     Parent Loop BB90_15 Depth=2
                                        ; =>    This Inner Loop Header: Depth=3
	s_delay_alu instid0(VALU_DEP_1)
	v_lshl_add_u32 v21, v20, 3, 0
	s_mov_b32 s18, exec_lo
                                        ; implicit-def: $sgpr19
	ds_load_b64 v[9:10], v21
	s_waitcnt lgkmcnt(0)
	v_cmpx_ne_u64_e64 v[9:10], v[7:8]
	s_xor_b32 s18, exec_lo, s18
	s_cbranch_execz .LBB90_25
; %bb.18:                               ;   in Loop: Header=BB90_17 Depth=3
	s_mov_b32 s20, exec_lo
                                        ; implicit-def: $sgpr19
	v_cmpx_ne_u64_e64 s[48:49], v[9:10]
	s_xor_b32 s20, exec_lo, s20
; %bb.19:                               ;   in Loop: Header=BB90_17 Depth=3
	v_add_nc_u32_e32 v9, 1, v20
	s_mov_b32 s19, -1
                                        ; implicit-def: $vgpr21
	s_delay_alu instid0(VALU_DEP_1)
	v_and_b32_e32 v20, 0xfff, v9
; %bb.20:                               ;   in Loop: Header=BB90_17 Depth=3
	s_and_not1_saveexec_b32 s20, s20
	s_cbranch_execz .LBB90_24
; %bb.21:                               ;   in Loop: Header=BB90_17 Depth=3
	v_dual_mov_b32 v9, s48 :: v_dual_mov_b32 v10, s49
	s_mov_b32 s21, -1
	s_mov_b32 s23, exec_lo
	ds_cmpstore_rtn_b64 v[9:10], v21, v[7:8], v[9:10]
	s_waitcnt lgkmcnt(0)
	v_cmpx_eq_u64_e64 s[48:49], v[9:10]
	s_cbranch_execz .LBB90_23
; %bb.22:                               ;   in Loop: Header=BB90_17 Depth=3
	v_lshlrev_b32_e32 v9, 2, v20
	s_xor_b32 s21, exec_lo, -1
	s_delay_alu instid0(VALU_DEP_1)
	v_sub_nc_u32_e32 v9, v21, v9
	ds_add_f32 v9, v19 offset:32768
.LBB90_23:                              ;   in Loop: Header=BB90_17 Depth=3
	s_or_b32 exec_lo, exec_lo, s23
	s_delay_alu instid0(SALU_CYCLE_1) | instskip(SKIP_1) | instid1(SALU_CYCLE_1)
	s_and_not1_b32 s19, s19, exec_lo
	s_and_b32 s21, s21, exec_lo
	s_or_b32 s19, s19, s21
.LBB90_24:                              ;   in Loop: Header=BB90_17 Depth=3
	s_or_b32 exec_lo, exec_lo, s20
	s_delay_alu instid0(SALU_CYCLE_1)
	s_and_b32 s19, s19, exec_lo
                                        ; implicit-def: $vgpr21
.LBB90_25:                              ;   in Loop: Header=BB90_17 Depth=3
	s_and_not1_saveexec_b32 s18, s18
	s_cbranch_execz .LBB90_16
; %bb.26:                               ;   in Loop: Header=BB90_17 Depth=3
	v_lshlrev_b32_e32 v9, 2, v20
	s_and_not1_b32 s19, s19, exec_lo
	s_delay_alu instid0(VALU_DEP_1)
	v_sub_nc_u32_e32 v9, v21, v9
	ds_add_f32 v9, v19 offset:32768
	s_branch .LBB90_16
.LBB90_27:
	s_or_b32 exec_lo, exec_lo, s2
.LBB90_28:
	s_delay_alu instid0(SALU_CYCLE_1)
	s_and_not1_b32 vcc_lo, exec_lo, s22
	s_cbranch_vccnz .LBB90_45
; %bb.29:
	s_waitcnt lgkmcnt(0)
	s_lshl_b64 s[0:1], s[50:51], 3
	v_sub_co_u32 v1, s4, v0, s47
	s_add_u32 s0, s36, s0
	s_addc_u32 s1, s37, s1
	v_sub_co_ci_u32_e64 v2, null, 0, 0, s4
	s_load_b128 s[0:3], s[0:1], 0x0
	s_waitcnt lgkmcnt(0)
	v_add_co_u32 v1, vcc_lo, s0, v1
	s_delay_alu instid0(VALU_DEP_2)
	v_add_co_ci_u32_e32 v2, vcc_lo, s1, v2, vcc_lo
	s_sub_u32 s0, s2, s47
	s_subb_u32 s1, s3, 0
	s_mov_b32 s2, 0
	s_mov_b32 s3, exec_lo
	v_cmpx_gt_i64_e64 s[0:1], v[1:2]
	s_cbranch_execz .LBB90_44
; %bb.30:
	s_mov_b32 s4, s47
	s_branch .LBB90_32
.LBB90_31:                              ;   in Loop: Header=BB90_32 Depth=1
	s_or_b32 exec_lo, exec_lo, s5
	v_add_co_u32 v1, vcc_lo, 0x400, v1
	v_add_co_ci_u32_e32 v2, vcc_lo, 0, v2, vcc_lo
	s_delay_alu instid0(VALU_DEP_1) | instskip(SKIP_1) | instid1(SALU_CYCLE_1)
	v_cmp_le_i64_e32 vcc_lo, s[0:1], v[1:2]
	s_or_b32 s2, vcc_lo, s2
	s_and_not1_b32 exec_lo, exec_lo, s2
	s_cbranch_execz .LBB90_44
.LBB90_32:                              ; =>This Loop Header: Depth=1
                                        ;     Child Loop BB90_34 Depth 2
	v_lshlrev_b64 v[3:4], 3, v[1:2]
	v_lshlrev_b64 v[5:6], 2, v[1:2]
	s_mov_b32 s5, 0
	s_delay_alu instid0(VALU_DEP_2) | instskip(NEXT) | instid1(VALU_DEP_3)
	v_add_co_u32 v3, vcc_lo, s38, v3
	v_add_co_ci_u32_e32 v4, vcc_lo, s39, v4, vcc_lo
	s_delay_alu instid0(VALU_DEP_3) | instskip(NEXT) | instid1(VALU_DEP_4)
	v_add_co_u32 v5, vcc_lo, s40, v5
	v_add_co_ci_u32_e32 v6, vcc_lo, s41, v6, vcc_lo
	global_load_b64 v[3:4], v[3:4], off
	global_load_b32 v5, v[5:6], off
	s_waitcnt vmcnt(1)
	v_sub_co_u32 v3, vcc_lo, v3, s4
	v_subrev_co_ci_u32_e32 v4, vcc_lo, 0, v4, vcc_lo
	s_delay_alu instid0(VALU_DEP_2) | instskip(SKIP_1) | instid1(VALU_DEP_1)
	v_mul_lo_u32 v6, 0x89, v3
	s_waitcnt vmcnt(0)
	v_dual_mul_f32 v7, v14, v5 :: v_dual_and_b32 v8, 0xfff, v6
	s_branch .LBB90_34
.LBB90_33:                              ;   in Loop: Header=BB90_34 Depth=2
	s_or_b32 exec_lo, exec_lo, s6
	s_xor_b32 s6, s7, -1
	s_delay_alu instid0(SALU_CYCLE_1) | instskip(NEXT) | instid1(SALU_CYCLE_1)
	s_and_b32 s6, exec_lo, s6
	s_or_b32 s5, s6, s5
	s_delay_alu instid0(SALU_CYCLE_1)
	s_and_not1_b32 exec_lo, exec_lo, s5
	s_cbranch_execz .LBB90_31
.LBB90_34:                              ;   Parent Loop BB90_32 Depth=1
                                        ; =>  This Inner Loop Header: Depth=2
	s_delay_alu instid0(VALU_DEP_1)
	v_lshl_add_u32 v9, v8, 3, 0
	s_mov_b32 s6, exec_lo
                                        ; implicit-def: $sgpr7
	ds_load_b64 v[5:6], v9
	s_waitcnt lgkmcnt(0)
	v_cmpx_ne_u64_e64 v[5:6], v[3:4]
	s_xor_b32 s6, exec_lo, s6
	s_cbranch_execz .LBB90_42
; %bb.35:                               ;   in Loop: Header=BB90_34 Depth=2
	s_mov_b32 s8, exec_lo
                                        ; implicit-def: $sgpr7
	v_cmpx_ne_u64_e64 s[48:49], v[5:6]
	s_xor_b32 s8, exec_lo, s8
; %bb.36:                               ;   in Loop: Header=BB90_34 Depth=2
	v_add_nc_u32_e32 v5, 1, v8
	s_mov_b32 s7, -1
                                        ; implicit-def: $vgpr9
	s_delay_alu instid0(VALU_DEP_1)
	v_and_b32_e32 v8, 0xfff, v5
; %bb.37:                               ;   in Loop: Header=BB90_34 Depth=2
	s_and_not1_saveexec_b32 s8, s8
	s_cbranch_execz .LBB90_41
; %bb.38:                               ;   in Loop: Header=BB90_34 Depth=2
	v_dual_mov_b32 v5, s48 :: v_dual_mov_b32 v6, s49
	s_mov_b32 s9, -1
	s_mov_b32 s10, exec_lo
	ds_cmpstore_rtn_b64 v[5:6], v9, v[3:4], v[5:6]
	s_waitcnt lgkmcnt(0)
	v_cmpx_eq_u64_e64 s[48:49], v[5:6]
	s_cbranch_execz .LBB90_40
; %bb.39:                               ;   in Loop: Header=BB90_34 Depth=2
	v_lshlrev_b32_e32 v5, 2, v8
	s_xor_b32 s9, exec_lo, -1
	s_delay_alu instid0(VALU_DEP_1)
	v_sub_nc_u32_e32 v5, v9, v5
	ds_add_f32 v5, v7 offset:32768
.LBB90_40:                              ;   in Loop: Header=BB90_34 Depth=2
	s_or_b32 exec_lo, exec_lo, s10
	s_delay_alu instid0(SALU_CYCLE_1) | instskip(SKIP_1) | instid1(SALU_CYCLE_1)
	s_and_not1_b32 s7, s7, exec_lo
	s_and_b32 s9, s9, exec_lo
	s_or_b32 s7, s7, s9
.LBB90_41:                              ;   in Loop: Header=BB90_34 Depth=2
	s_or_b32 exec_lo, exec_lo, s8
	s_delay_alu instid0(SALU_CYCLE_1)
	s_and_b32 s7, s7, exec_lo
                                        ; implicit-def: $vgpr9
.LBB90_42:                              ;   in Loop: Header=BB90_34 Depth=2
	s_and_not1_saveexec_b32 s6, s6
	s_cbranch_execz .LBB90_33
; %bb.43:                               ;   in Loop: Header=BB90_34 Depth=2
	v_lshlrev_b32_e32 v5, 2, v8
	s_and_not1_b32 s7, s7, exec_lo
	s_delay_alu instid0(VALU_DEP_1)
	v_sub_nc_u32_e32 v5, v9, v5
	ds_add_f32 v5, v7 offset:32768
	s_branch .LBB90_33
.LBB90_44:
	s_or_b32 exec_lo, exec_lo, s3
.LBB90_45:
	v_mbcnt_lo_u32_b32 v1, -1, 0
	v_lshrrev_b32_e32 v2, 2, v0
	v_cmp_eq_u32_e32 vcc_lo, 0x3ff, v0
	v_cmp_lt_u32_e64 s0, 31, v0
	v_cmp_lt_u32_e64 s1, 63, v0
	v_xor_b32_e32 v1, 63, v1
	v_and_b32_e32 v3, 0xf8, v2
	v_cmp_lt_u32_e64 s2, 0x5f, v0
	v_cmp_lt_u32_e64 s3, 0x7f, v0
	;; [unrolled: 1-line block ×3, first 2 shown]
	v_lshrrev_b64 v[1:2], v1, -1
	v_add_nc_u32_e32 v10, 0, v3
	v_dual_mov_b32 v2, 0 :: v_dual_mov_b32 v5, 0
	v_cmp_lt_u32_e64 s5, 0xbf, v0
	v_cmp_lt_u32_e64 s6, 0xdf, v0
	;; [unrolled: 1-line block ×26, first 2 shown]
	v_mov_b32_e32 v3, 0
	s_mov_b32 s36, 0
	s_waitcnt lgkmcnt(0)
	s_barrier
	buffer_gl0_inv
	s_branch .LBB90_47
.LBB90_46:                              ;   in Loop: Header=BB90_47 Depth=1
	s_or_b32 exec_lo, exec_lo, s31
	s_waitcnt lgkmcnt(0)
	s_barrier
	buffer_gl0_inv
	ds_load_b64 v[6:7], v5 offset:49400
	v_add_nc_u32_e32 v12, 0x400, v12
	v_add_nc_u32_e32 v13, 0x1000, v13
	;; [unrolled: 1-line block ×3, first 2 shown]
	s_delay_alu instid0(VALU_DEP_3) | instskip(NEXT) | instid1(VALU_DEP_1)
	v_cmp_lt_u32_e64 s31, 0xbff, v12
	s_or_b32 s36, s31, s36
	s_waitcnt lgkmcnt(0)
	v_add_co_u32 v2, s33, v6, v2
	s_delay_alu instid0(VALU_DEP_1)
	v_add_co_ci_u32_e64 v3, s33, v7, v3, s33
	s_and_not1_b32 exec_lo, exec_lo, s36
	s_cbranch_execz .LBB90_113
.LBB90_47:                              ; =>This Inner Loop Header: Depth=1
	ds_load_b64 v[6:7], v11
	ds_load_b32 v14, v13
	s_waitcnt lgkmcnt(0)
	s_barrier
	buffer_gl0_inv
	v_cmp_gt_i64_e64 s31, s[48:49], v[6:7]
	s_delay_alu instid0(VALU_DEP_1) | instskip(SKIP_1) | instid1(SALU_CYCLE_1)
	v_and_b32_e32 v8, s31, v1
	s_bcnt1_i32_b32 s33, s31
	v_mov_b32_e32 v4, s33
	s_delay_alu instid0(VALU_DEP_2)
	v_bcnt_u32_b32 v8, v8, 0
	ds_store_b64 v10, v[4:5] offset:49152
	s_waitcnt lgkmcnt(0)
	s_barrier
	buffer_gl0_inv
	s_and_saveexec_b32 s33, s0
	s_cbranch_execnz .LBB90_80
; %bb.48:                               ;   in Loop: Header=BB90_47 Depth=1
	s_or_b32 exec_lo, exec_lo, s33
	s_and_saveexec_b32 s33, s1
	s_cbranch_execnz .LBB90_81
.LBB90_49:                              ;   in Loop: Header=BB90_47 Depth=1
	s_or_b32 exec_lo, exec_lo, s33
	s_and_saveexec_b32 s33, s2
	s_cbranch_execnz .LBB90_82
.LBB90_50:                              ;   in Loop: Header=BB90_47 Depth=1
	s_or_b32 exec_lo, exec_lo, s33
	s_and_saveexec_b32 s33, s3
	s_cbranch_execnz .LBB90_83
.LBB90_51:                              ;   in Loop: Header=BB90_47 Depth=1
	s_or_b32 exec_lo, exec_lo, s33
	s_and_saveexec_b32 s33, s4
	s_cbranch_execnz .LBB90_84
.LBB90_52:                              ;   in Loop: Header=BB90_47 Depth=1
	s_or_b32 exec_lo, exec_lo, s33
	s_and_saveexec_b32 s33, s5
	s_cbranch_execnz .LBB90_85
.LBB90_53:                              ;   in Loop: Header=BB90_47 Depth=1
	s_or_b32 exec_lo, exec_lo, s33
	s_and_saveexec_b32 s33, s6
	s_cbranch_execnz .LBB90_86
.LBB90_54:                              ;   in Loop: Header=BB90_47 Depth=1
	s_or_b32 exec_lo, exec_lo, s33
	s_and_saveexec_b32 s33, s7
	s_cbranch_execnz .LBB90_87
.LBB90_55:                              ;   in Loop: Header=BB90_47 Depth=1
	s_or_b32 exec_lo, exec_lo, s33
	s_and_saveexec_b32 s33, s8
	s_cbranch_execnz .LBB90_88
.LBB90_56:                              ;   in Loop: Header=BB90_47 Depth=1
	s_or_b32 exec_lo, exec_lo, s33
	s_and_saveexec_b32 s33, s9
	s_cbranch_execnz .LBB90_89
.LBB90_57:                              ;   in Loop: Header=BB90_47 Depth=1
	s_or_b32 exec_lo, exec_lo, s33
	s_and_saveexec_b32 s33, s10
	s_cbranch_execnz .LBB90_90
.LBB90_58:                              ;   in Loop: Header=BB90_47 Depth=1
	s_or_b32 exec_lo, exec_lo, s33
	s_and_saveexec_b32 s33, s11
	s_cbranch_execnz .LBB90_91
.LBB90_59:                              ;   in Loop: Header=BB90_47 Depth=1
	s_or_b32 exec_lo, exec_lo, s33
	s_and_saveexec_b32 s33, s12
	s_cbranch_execnz .LBB90_92
.LBB90_60:                              ;   in Loop: Header=BB90_47 Depth=1
	s_or_b32 exec_lo, exec_lo, s33
	s_and_saveexec_b32 s33, s13
	s_cbranch_execnz .LBB90_93
.LBB90_61:                              ;   in Loop: Header=BB90_47 Depth=1
	s_or_b32 exec_lo, exec_lo, s33
	s_and_saveexec_b32 s33, s14
	s_cbranch_execnz .LBB90_94
.LBB90_62:                              ;   in Loop: Header=BB90_47 Depth=1
	s_or_b32 exec_lo, exec_lo, s33
	s_and_saveexec_b32 s33, s15
	s_cbranch_execnz .LBB90_95
.LBB90_63:                              ;   in Loop: Header=BB90_47 Depth=1
	s_or_b32 exec_lo, exec_lo, s33
	s_and_saveexec_b32 s33, s16
	s_cbranch_execnz .LBB90_96
.LBB90_64:                              ;   in Loop: Header=BB90_47 Depth=1
	s_or_b32 exec_lo, exec_lo, s33
	s_and_saveexec_b32 s33, s17
	s_cbranch_execnz .LBB90_97
.LBB90_65:                              ;   in Loop: Header=BB90_47 Depth=1
	s_or_b32 exec_lo, exec_lo, s33
	s_and_saveexec_b32 s33, s18
	s_cbranch_execnz .LBB90_98
.LBB90_66:                              ;   in Loop: Header=BB90_47 Depth=1
	s_or_b32 exec_lo, exec_lo, s33
	s_and_saveexec_b32 s33, s19
	s_cbranch_execnz .LBB90_99
.LBB90_67:                              ;   in Loop: Header=BB90_47 Depth=1
	s_or_b32 exec_lo, exec_lo, s33
	s_and_saveexec_b32 s33, s20
	s_cbranch_execnz .LBB90_100
.LBB90_68:                              ;   in Loop: Header=BB90_47 Depth=1
	s_or_b32 exec_lo, exec_lo, s33
	s_and_saveexec_b32 s33, s21
	s_cbranch_execnz .LBB90_101
.LBB90_69:                              ;   in Loop: Header=BB90_47 Depth=1
	s_or_b32 exec_lo, exec_lo, s33
	s_and_saveexec_b32 s33, s22
	s_cbranch_execnz .LBB90_102
.LBB90_70:                              ;   in Loop: Header=BB90_47 Depth=1
	s_or_b32 exec_lo, exec_lo, s33
	s_and_saveexec_b32 s33, s23
	s_cbranch_execnz .LBB90_103
.LBB90_71:                              ;   in Loop: Header=BB90_47 Depth=1
	s_or_b32 exec_lo, exec_lo, s33
	s_and_saveexec_b32 s33, s24
	s_cbranch_execnz .LBB90_104
.LBB90_72:                              ;   in Loop: Header=BB90_47 Depth=1
	s_or_b32 exec_lo, exec_lo, s33
	s_and_saveexec_b32 s33, s25
	s_cbranch_execnz .LBB90_105
.LBB90_73:                              ;   in Loop: Header=BB90_47 Depth=1
	s_or_b32 exec_lo, exec_lo, s33
	s_and_saveexec_b32 s33, s26
	s_cbranch_execnz .LBB90_106
.LBB90_74:                              ;   in Loop: Header=BB90_47 Depth=1
	s_or_b32 exec_lo, exec_lo, s33
	s_and_saveexec_b32 s33, s27
	s_cbranch_execnz .LBB90_107
.LBB90_75:                              ;   in Loop: Header=BB90_47 Depth=1
	s_or_b32 exec_lo, exec_lo, s33
	s_and_saveexec_b32 s33, s28
	s_cbranch_execnz .LBB90_108
.LBB90_76:                              ;   in Loop: Header=BB90_47 Depth=1
	s_or_b32 exec_lo, exec_lo, s33
	s_and_saveexec_b32 s33, s29
	s_cbranch_execnz .LBB90_109
.LBB90_77:                              ;   in Loop: Header=BB90_47 Depth=1
	s_or_b32 exec_lo, exec_lo, s33
	s_and_saveexec_b32 s33, s30
	s_cbranch_execnz .LBB90_110
.LBB90_78:                              ;   in Loop: Header=BB90_47 Depth=1
	s_or_b32 exec_lo, exec_lo, s33
	v_ashrrev_i32_e32 v9, 31, v8
	s_and_saveexec_b32 s33, s31
	s_cbranch_execnz .LBB90_111
.LBB90_79:                              ;   in Loop: Header=BB90_47 Depth=1
	s_or_b32 exec_lo, exec_lo, s33
	s_and_saveexec_b32 s31, vcc_lo
	s_cbranch_execz .LBB90_46
	s_branch .LBB90_112
.LBB90_80:                              ;   in Loop: Header=BB90_47 Depth=1
	ds_load_b32 v4, v5 offset:49152
	s_waitcnt lgkmcnt(0)
	v_add_nc_u32_e32 v8, v4, v8
	s_or_b32 exec_lo, exec_lo, s33
	s_and_saveexec_b32 s33, s1
	s_cbranch_execz .LBB90_49
.LBB90_81:                              ;   in Loop: Header=BB90_47 Depth=1
	ds_load_b32 v4, v5 offset:49160
	s_waitcnt lgkmcnt(0)
	v_add_nc_u32_e32 v8, v8, v4
	s_or_b32 exec_lo, exec_lo, s33
	s_and_saveexec_b32 s33, s2
	s_cbranch_execz .LBB90_50
.LBB90_82:                              ;   in Loop: Header=BB90_47 Depth=1
	ds_load_b32 v4, v5 offset:49168
	s_waitcnt lgkmcnt(0)
	v_add_nc_u32_e32 v8, v8, v4
	s_or_b32 exec_lo, exec_lo, s33
	s_and_saveexec_b32 s33, s3
	s_cbranch_execz .LBB90_51
.LBB90_83:                              ;   in Loop: Header=BB90_47 Depth=1
	ds_load_b32 v4, v5 offset:49176
	s_waitcnt lgkmcnt(0)
	v_add_nc_u32_e32 v8, v8, v4
	s_or_b32 exec_lo, exec_lo, s33
	s_and_saveexec_b32 s33, s4
	s_cbranch_execz .LBB90_52
.LBB90_84:                              ;   in Loop: Header=BB90_47 Depth=1
	ds_load_b32 v4, v5 offset:49184
	s_waitcnt lgkmcnt(0)
	v_add_nc_u32_e32 v8, v8, v4
	s_or_b32 exec_lo, exec_lo, s33
	s_and_saveexec_b32 s33, s5
	s_cbranch_execz .LBB90_53
.LBB90_85:                              ;   in Loop: Header=BB90_47 Depth=1
	ds_load_b32 v4, v5 offset:49192
	s_waitcnt lgkmcnt(0)
	v_add_nc_u32_e32 v8, v8, v4
	s_or_b32 exec_lo, exec_lo, s33
	s_and_saveexec_b32 s33, s6
	s_cbranch_execz .LBB90_54
.LBB90_86:                              ;   in Loop: Header=BB90_47 Depth=1
	ds_load_b32 v4, v5 offset:49200
	s_waitcnt lgkmcnt(0)
	v_add_nc_u32_e32 v8, v8, v4
	s_or_b32 exec_lo, exec_lo, s33
	s_and_saveexec_b32 s33, s7
	s_cbranch_execz .LBB90_55
.LBB90_87:                              ;   in Loop: Header=BB90_47 Depth=1
	ds_load_b32 v4, v5 offset:49208
	s_waitcnt lgkmcnt(0)
	v_add_nc_u32_e32 v8, v8, v4
	s_or_b32 exec_lo, exec_lo, s33
	s_and_saveexec_b32 s33, s8
	s_cbranch_execz .LBB90_56
.LBB90_88:                              ;   in Loop: Header=BB90_47 Depth=1
	ds_load_b32 v4, v5 offset:49216
	s_waitcnt lgkmcnt(0)
	v_add_nc_u32_e32 v8, v8, v4
	s_or_b32 exec_lo, exec_lo, s33
	s_and_saveexec_b32 s33, s9
	s_cbranch_execz .LBB90_57
.LBB90_89:                              ;   in Loop: Header=BB90_47 Depth=1
	ds_load_b32 v4, v5 offset:49224
	s_waitcnt lgkmcnt(0)
	v_add_nc_u32_e32 v8, v8, v4
	s_or_b32 exec_lo, exec_lo, s33
	s_and_saveexec_b32 s33, s10
	s_cbranch_execz .LBB90_58
.LBB90_90:                              ;   in Loop: Header=BB90_47 Depth=1
	ds_load_b32 v4, v5 offset:49232
	s_waitcnt lgkmcnt(0)
	v_add_nc_u32_e32 v8, v8, v4
	s_or_b32 exec_lo, exec_lo, s33
	s_and_saveexec_b32 s33, s11
	s_cbranch_execz .LBB90_59
.LBB90_91:                              ;   in Loop: Header=BB90_47 Depth=1
	ds_load_b32 v4, v5 offset:49240
	s_waitcnt lgkmcnt(0)
	v_add_nc_u32_e32 v8, v8, v4
	s_or_b32 exec_lo, exec_lo, s33
	s_and_saveexec_b32 s33, s12
	s_cbranch_execz .LBB90_60
.LBB90_92:                              ;   in Loop: Header=BB90_47 Depth=1
	ds_load_b32 v4, v5 offset:49248
	s_waitcnt lgkmcnt(0)
	v_add_nc_u32_e32 v8, v8, v4
	s_or_b32 exec_lo, exec_lo, s33
	s_and_saveexec_b32 s33, s13
	s_cbranch_execz .LBB90_61
.LBB90_93:                              ;   in Loop: Header=BB90_47 Depth=1
	ds_load_b32 v4, v5 offset:49256
	s_waitcnt lgkmcnt(0)
	v_add_nc_u32_e32 v8, v8, v4
	s_or_b32 exec_lo, exec_lo, s33
	s_and_saveexec_b32 s33, s14
	s_cbranch_execz .LBB90_62
.LBB90_94:                              ;   in Loop: Header=BB90_47 Depth=1
	ds_load_b32 v4, v5 offset:49264
	s_waitcnt lgkmcnt(0)
	v_add_nc_u32_e32 v8, v8, v4
	s_or_b32 exec_lo, exec_lo, s33
	s_and_saveexec_b32 s33, s15
	s_cbranch_execz .LBB90_63
.LBB90_95:                              ;   in Loop: Header=BB90_47 Depth=1
	ds_load_b32 v4, v5 offset:49272
	s_waitcnt lgkmcnt(0)
	v_add_nc_u32_e32 v8, v8, v4
	s_or_b32 exec_lo, exec_lo, s33
	s_and_saveexec_b32 s33, s16
	s_cbranch_execz .LBB90_64
.LBB90_96:                              ;   in Loop: Header=BB90_47 Depth=1
	ds_load_b32 v4, v5 offset:49280
	s_waitcnt lgkmcnt(0)
	v_add_nc_u32_e32 v8, v8, v4
	s_or_b32 exec_lo, exec_lo, s33
	s_and_saveexec_b32 s33, s17
	s_cbranch_execz .LBB90_65
.LBB90_97:                              ;   in Loop: Header=BB90_47 Depth=1
	ds_load_b32 v4, v5 offset:49288
	s_waitcnt lgkmcnt(0)
	v_add_nc_u32_e32 v8, v8, v4
	s_or_b32 exec_lo, exec_lo, s33
	s_and_saveexec_b32 s33, s18
	s_cbranch_execz .LBB90_66
.LBB90_98:                              ;   in Loop: Header=BB90_47 Depth=1
	ds_load_b32 v4, v5 offset:49296
	s_waitcnt lgkmcnt(0)
	v_add_nc_u32_e32 v8, v8, v4
	s_or_b32 exec_lo, exec_lo, s33
	s_and_saveexec_b32 s33, s19
	s_cbranch_execz .LBB90_67
.LBB90_99:                              ;   in Loop: Header=BB90_47 Depth=1
	ds_load_b32 v4, v5 offset:49304
	s_waitcnt lgkmcnt(0)
	v_add_nc_u32_e32 v8, v8, v4
	s_or_b32 exec_lo, exec_lo, s33
	s_and_saveexec_b32 s33, s20
	s_cbranch_execz .LBB90_68
.LBB90_100:                             ;   in Loop: Header=BB90_47 Depth=1
	ds_load_b32 v4, v5 offset:49312
	s_waitcnt lgkmcnt(0)
	v_add_nc_u32_e32 v8, v8, v4
	s_or_b32 exec_lo, exec_lo, s33
	s_and_saveexec_b32 s33, s21
	s_cbranch_execz .LBB90_69
.LBB90_101:                             ;   in Loop: Header=BB90_47 Depth=1
	ds_load_b32 v4, v5 offset:49320
	s_waitcnt lgkmcnt(0)
	v_add_nc_u32_e32 v8, v8, v4
	s_or_b32 exec_lo, exec_lo, s33
	s_and_saveexec_b32 s33, s22
	s_cbranch_execz .LBB90_70
.LBB90_102:                             ;   in Loop: Header=BB90_47 Depth=1
	ds_load_b32 v4, v5 offset:49328
	s_waitcnt lgkmcnt(0)
	v_add_nc_u32_e32 v8, v8, v4
	s_or_b32 exec_lo, exec_lo, s33
	s_and_saveexec_b32 s33, s23
	s_cbranch_execz .LBB90_71
.LBB90_103:                             ;   in Loop: Header=BB90_47 Depth=1
	ds_load_b32 v4, v5 offset:49336
	s_waitcnt lgkmcnt(0)
	v_add_nc_u32_e32 v8, v8, v4
	s_or_b32 exec_lo, exec_lo, s33
	s_and_saveexec_b32 s33, s24
	s_cbranch_execz .LBB90_72
.LBB90_104:                             ;   in Loop: Header=BB90_47 Depth=1
	ds_load_b32 v4, v5 offset:49344
	s_waitcnt lgkmcnt(0)
	v_add_nc_u32_e32 v8, v8, v4
	s_or_b32 exec_lo, exec_lo, s33
	s_and_saveexec_b32 s33, s25
	s_cbranch_execz .LBB90_73
.LBB90_105:                             ;   in Loop: Header=BB90_47 Depth=1
	ds_load_b32 v4, v5 offset:49352
	s_waitcnt lgkmcnt(0)
	v_add_nc_u32_e32 v8, v8, v4
	s_or_b32 exec_lo, exec_lo, s33
	s_and_saveexec_b32 s33, s26
	s_cbranch_execz .LBB90_74
.LBB90_106:                             ;   in Loop: Header=BB90_47 Depth=1
	ds_load_b32 v4, v5 offset:49360
	s_waitcnt lgkmcnt(0)
	v_add_nc_u32_e32 v8, v8, v4
	s_or_b32 exec_lo, exec_lo, s33
	s_and_saveexec_b32 s33, s27
	s_cbranch_execz .LBB90_75
.LBB90_107:                             ;   in Loop: Header=BB90_47 Depth=1
	ds_load_b32 v4, v5 offset:49368
	s_waitcnt lgkmcnt(0)
	v_add_nc_u32_e32 v8, v8, v4
	s_or_b32 exec_lo, exec_lo, s33
	s_and_saveexec_b32 s33, s28
	s_cbranch_execz .LBB90_76
.LBB90_108:                             ;   in Loop: Header=BB90_47 Depth=1
	ds_load_b32 v4, v5 offset:49376
	s_waitcnt lgkmcnt(0)
	v_add_nc_u32_e32 v8, v8, v4
	s_or_b32 exec_lo, exec_lo, s33
	s_and_saveexec_b32 s33, s29
	s_cbranch_execz .LBB90_77
.LBB90_109:                             ;   in Loop: Header=BB90_47 Depth=1
	ds_load_b32 v4, v5 offset:49384
	s_waitcnt lgkmcnt(0)
	v_add_nc_u32_e32 v8, v8, v4
	s_or_b32 exec_lo, exec_lo, s33
	s_and_saveexec_b32 s33, s30
	s_cbranch_execz .LBB90_78
.LBB90_110:                             ;   in Loop: Header=BB90_47 Depth=1
	ds_load_b32 v4, v5 offset:49392
	s_waitcnt lgkmcnt(0)
	v_add_nc_u32_e32 v8, v8, v4
	s_or_b32 exec_lo, exec_lo, s33
	s_delay_alu instid0(VALU_DEP_1)
	v_ashrrev_i32_e32 v9, 31, v8
	s_and_saveexec_b32 s33, s31
	s_cbranch_execz .LBB90_79
.LBB90_111:                             ;   in Loop: Header=BB90_47 Depth=1
	v_add3_u32 v4, v2, -1, v8
	s_delay_alu instid0(VALU_DEP_1)
	v_lshl_add_u32 v15, v4, 3, 0
	v_lshl_add_u32 v4, v4, 2, 0
	ds_store_b64 v15, v[6:7]
	ds_store_b32 v4, v14 offset:32768
	s_or_b32 exec_lo, exec_lo, s33
	s_and_saveexec_b32 s31, vcc_lo
	s_cbranch_execz .LBB90_46
.LBB90_112:                             ;   in Loop: Header=BB90_47 Depth=1
	ds_store_b64 v5, v[8:9] offset:49400
	s_branch .LBB90_46
.LBB90_113:
	s_or_b32 exec_lo, exec_lo, s36
	s_lshl_b64 s[0:1], s[50:51], 3
	v_mov_b32_e32 v1, 0
	s_add_u32 s0, s42, s0
	s_addc_u32 s1, s43, s1
	s_mov_b32 s6, exec_lo
	s_load_b128 s[0:3], s[0:1], 0x0
	s_waitcnt lgkmcnt(0)
	s_sub_u32 s4, s2, s0
	s_subb_u32 s5, s3, s1
	s_delay_alu instid0(SALU_CYCLE_1)
	v_cmpx_gt_i64_e64 s[4:5], v[0:1]
	s_cbranch_execz .LBB90_123
; %bb.114:
	s_sub_u32 s8, s0, s46
	s_subb_u32 s9, s1, 0
	s_and_b32 s6, s4, 7
	s_sub_u32 s0, s0, s2
	s_subb_u32 s1, s1, s3
	s_mov_b32 s7, 0
	v_cmp_lt_u64_e64 s12, s[0:1], -7
	s_and_b32 s2, s4, -8
	s_cmp_lg_u64 s[6:7], 0
	s_mov_b32 s3, s5
	s_cselect_b32 s13, -1, 0
	s_mov_b32 s14, s7
	s_branch .LBB90_116
.LBB90_115:                             ;   in Loop: Header=BB90_116 Depth=1
	v_add_co_u32 v0, vcc_lo, 0x400, v0
	v_add_co_ci_u32_e32 v1, vcc_lo, 0, v1, vcc_lo
	s_waitcnt lgkmcnt(1)
	v_lshlrev_b64 v[2:3], 2, v[4:5]
	s_delay_alu instid0(VALU_DEP_2) | instskip(NEXT) | instid1(VALU_DEP_2)
	v_cmp_le_i64_e32 vcc_lo, s[4:5], v[0:1]
	v_add_co_u32 v2, s0, s34, v2
	s_delay_alu instid0(VALU_DEP_1)
	v_add_co_ci_u32_e64 v3, s0, s35, v3, s0
	s_or_b32 s14, vcc_lo, s14
	s_waitcnt lgkmcnt(0)
	global_store_b32 v[2:3], v6, off
	s_and_not1_b32 exec_lo, exec_lo, s14
	s_cbranch_execz .LBB90_123
.LBB90_116:                             ; =>This Loop Header: Depth=1
                                        ;     Child Loop BB90_118 Depth 2
                                        ;     Child Loop BB90_122 Depth 2
	v_lshl_add_u32 v2, v0, 3, 0
	v_lshlrev_b32_e32 v3, 2, v0
	s_and_not1_b32 vcc_lo, exec_lo, s12
	s_mov_b64 s[0:1], 0
	s_delay_alu instid0(VALU_DEP_1)
	v_sub_nc_u32_e32 v4, v2, v3
	ds_load_b64 v[2:3], v2
	ds_load_b32 v6, v4 offset:32768
	v_dual_mov_b32 v4, s8 :: v_dual_mov_b32 v5, s9
	s_cbranch_vccnz .LBB90_120
; %bb.117:                              ;   in Loop: Header=BB90_116 Depth=1
	v_dual_mov_b32 v4, s8 :: v_dual_mov_b32 v5, s9
	s_mov_b64 s[10:11], 0
	s_mov_b32 s1, 0
.LBB90_118:                             ;   Parent Loop BB90_116 Depth=1
                                        ; =>  This Inner Loop Header: Depth=2
	s_delay_alu instid0(SALU_CYCLE_1)
	v_mov_b32_e32 v19, s1
	s_add_u32 s10, s10, 8
	s_addc_u32 s11, s11, 0
	s_add_i32 s1, s1, 64
	s_cmp_eq_u64 s[2:3], s[10:11]
	ds_load_2addr_b64 v[7:10], v19 offset1:1
	ds_load_2addr_b64 v[11:14], v19 offset0:2 offset1:3
	ds_load_2addr_b64 v[15:18], v19 offset0:4 offset1:5
	;; [unrolled: 1-line block ×3, first 2 shown]
	s_waitcnt lgkmcnt(3)
	v_cmp_gt_i64_e32 vcc_lo, v[2:3], v[7:8]
	v_cndmask_b32_e64 v7, 0, 1, vcc_lo
	v_cmp_gt_i64_e32 vcc_lo, v[2:3], v[9:10]
	v_cndmask_b32_e64 v8, 0, 1, vcc_lo
	s_waitcnt lgkmcnt(2)
	v_cmp_gt_i64_e32 vcc_lo, v[2:3], v[11:12]
	v_cndmask_b32_e64 v9, 0, 1, vcc_lo
	v_cmp_gt_i64_e32 vcc_lo, v[2:3], v[13:14]
	v_cndmask_b32_e64 v10, 0, 1, vcc_lo
	s_waitcnt lgkmcnt(1)
	v_cmp_gt_i64_e32 vcc_lo, v[2:3], v[15:16]
	v_cndmask_b32_e64 v11, 0, 1, vcc_lo
	v_add_co_u32 v4, vcc_lo, v4, v7
	v_add_co_ci_u32_e32 v5, vcc_lo, 0, v5, vcc_lo
	v_cmp_gt_i64_e32 vcc_lo, v[2:3], v[17:18]
	s_delay_alu instid0(VALU_DEP_3) | instskip(NEXT) | instid1(VALU_DEP_1)
	v_add_co_u32 v4, s0, v4, v8
	v_add_co_ci_u32_e64 v5, s0, 0, v5, s0
	v_cndmask_b32_e64 v7, 0, 1, vcc_lo
	s_delay_alu instid0(VALU_DEP_3) | instskip(NEXT) | instid1(VALU_DEP_3)
	v_add_co_u32 v4, vcc_lo, v4, v9
	v_add_co_ci_u32_e32 v5, vcc_lo, 0, v5, vcc_lo
	s_waitcnt lgkmcnt(0)
	v_cmp_gt_i64_e32 vcc_lo, v[2:3], v[19:20]
	s_delay_alu instid0(VALU_DEP_3) | instskip(NEXT) | instid1(VALU_DEP_1)
	v_add_co_u32 v4, s0, v4, v10
	v_add_co_ci_u32_e64 v5, s0, 0, v5, s0
	v_cndmask_b32_e64 v8, 0, 1, vcc_lo
	s_delay_alu instid0(VALU_DEP_3) | instskip(NEXT) | instid1(VALU_DEP_3)
	v_add_co_u32 v4, vcc_lo, v4, v11
	v_add_co_ci_u32_e32 v5, vcc_lo, 0, v5, vcc_lo
	v_cmp_gt_i64_e32 vcc_lo, v[2:3], v[21:22]
	s_delay_alu instid0(VALU_DEP_3) | instskip(NEXT) | instid1(VALU_DEP_1)
	v_add_co_u32 v4, s0, v4, v7
	v_add_co_ci_u32_e64 v5, s0, 0, v5, s0
	v_cndmask_b32_e64 v7, 0, 1, vcc_lo
	s_delay_alu instid0(VALU_DEP_3) | instskip(NEXT) | instid1(VALU_DEP_3)
	v_add_co_u32 v4, vcc_lo, v4, v8
	v_add_co_ci_u32_e32 v5, vcc_lo, 0, v5, vcc_lo
	s_delay_alu instid0(VALU_DEP_2) | instskip(NEXT) | instid1(VALU_DEP_2)
	v_add_co_u32 v4, vcc_lo, v4, v7
	v_add_co_ci_u32_e32 v5, vcc_lo, 0, v5, vcc_lo
	s_cbranch_scc0 .LBB90_118
; %bb.119:                              ;   in Loop: Header=BB90_116 Depth=1
	s_mov_b64 s[0:1], s[2:3]
.LBB90_120:                             ;   in Loop: Header=BB90_116 Depth=1
	s_and_not1_b32 vcc_lo, exec_lo, s13
	s_cbranch_vccnz .LBB90_115
; %bb.121:                              ;   in Loop: Header=BB90_116 Depth=1
	s_lshl_b32 s0, s0, 3
	s_delay_alu instid0(SALU_CYCLE_1)
	s_add_i32 s10, s0, 0
	s_mov_b64 s[0:1], s[6:7]
.LBB90_122:                             ;   Parent Loop BB90_116 Depth=1
                                        ; =>  This Inner Loop Header: Depth=2
	v_mov_b32_e32 v7, s10
	s_add_i32 s10, s10, 8
	s_add_u32 s0, s0, -1
	s_addc_u32 s1, s1, -1
	s_delay_alu instid0(SALU_CYCLE_1) | instskip(SKIP_4) | instid1(VALU_DEP_1)
	s_cmp_lg_u64 s[0:1], 0
	ds_load_b64 v[7:8], v7
	s_waitcnt lgkmcnt(0)
	v_cmp_gt_i64_e32 vcc_lo, v[2:3], v[7:8]
	v_cndmask_b32_e64 v7, 0, 1, vcc_lo
	v_add_co_u32 v4, vcc_lo, v4, v7
	v_add_co_ci_u32_e32 v5, vcc_lo, 0, v5, vcc_lo
	s_cbranch_scc1 .LBB90_122
	s_branch .LBB90_115
.LBB90_123:
	s_nop 0
	s_sendmsg sendmsg(MSG_DEALLOC_VGPRS)
	s_endpgm
	.section	.rodata,"a",@progbits
	.p2align	6, 0x0
	.amdhsa_kernel _ZN9rocsparseL41csrgemm_numeric_fill_block_per_row_kernelILj1024ELj64ELj4096ELj137ELj32EllfEEvT5_PKS1_S3_NS_24const_host_device_scalarIT6_EEPKT4_S3_PKS5_S9_S3_SB_S6_S9_S3_SB_S9_S3_PS5_21rocsparse_index_base_SD_SD_SD_bbb
		.amdhsa_group_segment_fixed_size 0
		.amdhsa_private_segment_fixed_size 0
		.amdhsa_kernarg_size 156
		.amdhsa_user_sgpr_count 15
		.amdhsa_user_sgpr_dispatch_ptr 0
		.amdhsa_user_sgpr_queue_ptr 0
		.amdhsa_user_sgpr_kernarg_segment_ptr 1
		.amdhsa_user_sgpr_dispatch_id 0
		.amdhsa_user_sgpr_private_segment_size 0
		.amdhsa_wavefront_size32 1
		.amdhsa_uses_dynamic_stack 0
		.amdhsa_enable_private_segment 0
		.amdhsa_system_sgpr_workgroup_id_x 1
		.amdhsa_system_sgpr_workgroup_id_y 0
		.amdhsa_system_sgpr_workgroup_id_z 0
		.amdhsa_system_sgpr_workgroup_info 0
		.amdhsa_system_vgpr_workitem_id 0
		.amdhsa_next_free_vgpr 23
		.amdhsa_next_free_sgpr 52
		.amdhsa_reserve_vcc 1
		.amdhsa_float_round_mode_32 0
		.amdhsa_float_round_mode_16_64 0
		.amdhsa_float_denorm_mode_32 3
		.amdhsa_float_denorm_mode_16_64 3
		.amdhsa_dx10_clamp 1
		.amdhsa_ieee_mode 1
		.amdhsa_fp16_overflow 0
		.amdhsa_workgroup_processor_mode 1
		.amdhsa_memory_ordered 1
		.amdhsa_forward_progress 0
		.amdhsa_shared_vgpr_count 0
		.amdhsa_exception_fp_ieee_invalid_op 0
		.amdhsa_exception_fp_denorm_src 0
		.amdhsa_exception_fp_ieee_div_zero 0
		.amdhsa_exception_fp_ieee_overflow 0
		.amdhsa_exception_fp_ieee_underflow 0
		.amdhsa_exception_fp_ieee_inexact 0
		.amdhsa_exception_int_div_zero 0
	.end_amdhsa_kernel
	.section	.text._ZN9rocsparseL41csrgemm_numeric_fill_block_per_row_kernelILj1024ELj64ELj4096ELj137ELj32EllfEEvT5_PKS1_S3_NS_24const_host_device_scalarIT6_EEPKT4_S3_PKS5_S9_S3_SB_S6_S9_S3_SB_S9_S3_PS5_21rocsparse_index_base_SD_SD_SD_bbb,"axG",@progbits,_ZN9rocsparseL41csrgemm_numeric_fill_block_per_row_kernelILj1024ELj64ELj4096ELj137ELj32EllfEEvT5_PKS1_S3_NS_24const_host_device_scalarIT6_EEPKT4_S3_PKS5_S9_S3_SB_S6_S9_S3_SB_S9_S3_PS5_21rocsparse_index_base_SD_SD_SD_bbb,comdat
.Lfunc_end90:
	.size	_ZN9rocsparseL41csrgemm_numeric_fill_block_per_row_kernelILj1024ELj64ELj4096ELj137ELj32EllfEEvT5_PKS1_S3_NS_24const_host_device_scalarIT6_EEPKT4_S3_PKS5_S9_S3_SB_S6_S9_S3_SB_S9_S3_PS5_21rocsparse_index_base_SD_SD_SD_bbb, .Lfunc_end90-_ZN9rocsparseL41csrgemm_numeric_fill_block_per_row_kernelILj1024ELj64ELj4096ELj137ELj32EllfEEvT5_PKS1_S3_NS_24const_host_device_scalarIT6_EEPKT4_S3_PKS5_S9_S3_SB_S6_S9_S3_SB_S9_S3_PS5_21rocsparse_index_base_SD_SD_SD_bbb
                                        ; -- End function
	.section	.AMDGPU.csdata,"",@progbits
; Kernel info:
; codeLenInByte = 4388
; NumSgprs: 54
; NumVgprs: 23
; ScratchSize: 0
; MemoryBound: 0
; FloatMode: 240
; IeeeMode: 1
; LDSByteSize: 0 bytes/workgroup (compile time only)
; SGPRBlocks: 6
; VGPRBlocks: 2
; NumSGPRsForWavesPerEU: 54
; NumVGPRsForWavesPerEU: 23
; Occupancy: 16
; WaveLimiterHint : 1
; COMPUTE_PGM_RSRC2:SCRATCH_EN: 0
; COMPUTE_PGM_RSRC2:USER_SGPR: 15
; COMPUTE_PGM_RSRC2:TRAP_HANDLER: 0
; COMPUTE_PGM_RSRC2:TGID_X_EN: 1
; COMPUTE_PGM_RSRC2:TGID_Y_EN: 0
; COMPUTE_PGM_RSRC2:TGID_Z_EN: 0
; COMPUTE_PGM_RSRC2:TIDIG_COMP_CNT: 0
	.section	.text._ZN9rocsparseL41csrgemm_numeric_fill_block_per_row_kernelILj1024ELj64ELj4096ELj137ELj64EllfEEvT5_PKS1_S3_NS_24const_host_device_scalarIT6_EEPKT4_S3_PKS5_S9_S3_SB_S6_S9_S3_SB_S9_S3_PS5_21rocsparse_index_base_SD_SD_SD_bbb,"axG",@progbits,_ZN9rocsparseL41csrgemm_numeric_fill_block_per_row_kernelILj1024ELj64ELj4096ELj137ELj64EllfEEvT5_PKS1_S3_NS_24const_host_device_scalarIT6_EEPKT4_S3_PKS5_S9_S3_SB_S6_S9_S3_SB_S9_S3_PS5_21rocsparse_index_base_SD_SD_SD_bbb,comdat
	.globl	_ZN9rocsparseL41csrgemm_numeric_fill_block_per_row_kernelILj1024ELj64ELj4096ELj137ELj64EllfEEvT5_PKS1_S3_NS_24const_host_device_scalarIT6_EEPKT4_S3_PKS5_S9_S3_SB_S6_S9_S3_SB_S9_S3_PS5_21rocsparse_index_base_SD_SD_SD_bbb ; -- Begin function _ZN9rocsparseL41csrgemm_numeric_fill_block_per_row_kernelILj1024ELj64ELj4096ELj137ELj64EllfEEvT5_PKS1_S3_NS_24const_host_device_scalarIT6_EEPKT4_S3_PKS5_S9_S3_SB_S6_S9_S3_SB_S9_S3_PS5_21rocsparse_index_base_SD_SD_SD_bbb
	.p2align	8
	.type	_ZN9rocsparseL41csrgemm_numeric_fill_block_per_row_kernelILj1024ELj64ELj4096ELj137ELj64EllfEEvT5_PKS1_S3_NS_24const_host_device_scalarIT6_EEPKT4_S3_PKS5_S9_S3_SB_S6_S9_S3_SB_S9_S3_PS5_21rocsparse_index_base_SD_SD_SD_bbb,@function
_ZN9rocsparseL41csrgemm_numeric_fill_block_per_row_kernelILj1024ELj64ELj4096ELj137ELj64EllfEEvT5_PKS1_S3_NS_24const_host_device_scalarIT6_EEPKT4_S3_PKS5_S9_S3_SB_S6_S9_S3_SB_S9_S3_PS5_21rocsparse_index_base_SD_SD_SD_bbb: ; @_ZN9rocsparseL41csrgemm_numeric_fill_block_per_row_kernelILj1024ELj64ELj4096ELj137ELj64EllfEEvT5_PKS1_S3_NS_24const_host_device_scalarIT6_EEPKT4_S3_PKS5_S9_S3_SB_S6_S9_S3_SB_S9_S3_PS5_21rocsparse_index_base_SD_SD_SD_bbb
; %bb.0:
	s_clause 0x3
	s_load_b32 s3, s[0:1], 0x98
	s_load_b128 s[20:23], s[0:1], 0x88
	s_load_b64 s[4:5], s[0:1], 0x18
	s_load_b64 s[36:37], s[0:1], 0x50
	s_mov_b32 s2, s15
	s_waitcnt lgkmcnt(0)
	s_bitcmp1_b32 s3, 0
	s_cselect_b32 s38, -1, 0
	s_bitcmp1_b32 s3, 16
	s_cselect_b32 s39, -1, 0
	s_xor_b32 s6, s38, -1
	s_delay_alu instid0(SALU_CYCLE_1) | instskip(NEXT) | instid1(SALU_CYCLE_1)
	s_or_b32 s6, s6, s39
	s_and_b32 vcc_lo, exec_lo, s6
	s_cbranch_vccnz .LBB91_2
; %bb.1:
	s_load_b32 s4, s[4:5], 0x0
	s_waitcnt lgkmcnt(0)
	v_mov_b32_e32 v16, s4
	s_branch .LBB91_3
.LBB91_2:
	v_cndmask_b32_e64 v16, 0, s4, s38
.LBB91_3:
	s_clause 0x4
	s_load_b64 s[34:35], s[0:1], 0x80
	s_load_b256 s[12:19], s[0:1], 0x58
	s_load_b128 s[24:27], s[0:1], 0x40
	s_load_b128 s[28:31], s[0:1], 0x8
	s_load_b256 s[4:11], s[0:1], 0x20
	s_bitcmp1_b32 s3, 8
	s_cselect_b32 s33, -1, 0
	s_delay_alu instid0(SALU_CYCLE_1) | instskip(NEXT) | instid1(SALU_CYCLE_1)
	s_xor_b32 s3, s33, -1
	s_or_b32 s3, s3, s39
	s_delay_alu instid0(SALU_CYCLE_1)
	s_and_b32 vcc_lo, exec_lo, s3
	s_cbranch_vccnz .LBB91_5
; %bb.4:
	s_load_b32 s3, s[36:37], 0x0
	s_waitcnt lgkmcnt(0)
	v_mov_b32_e32 v14, s3
	s_branch .LBB91_6
.LBB91_5:
	v_cndmask_b32_e64 v14, 0, s36, s33
.LBB91_6:
	s_load_b64 s[36:37], s[0:1], 0x0
	v_lshl_add_u32 v11, v0, 3, 0
	v_lshlrev_b32_e32 v1, 2, v0
	v_or_b32_e32 v12, 0xfffffc00, v0
	v_mov_b32_e32 v3, 0
	s_mov_b32 s0, 0
	v_mov_b32_e32 v4, v11
	v_add3_u32 v13, v1, 0, 0x8000
	s_delay_alu instid0(VALU_DEP_1)
	v_dual_mov_b32 v5, v12 :: v_dual_mov_b32 v6, v13
	s_waitcnt lgkmcnt(0)
	v_dual_mov_b32 v1, s36 :: v_dual_mov_b32 v2, s37
.LBB91_7:                               ; =>This Inner Loop Header: Depth=1
	s_delay_alu instid0(VALU_DEP_2)
	v_add_nc_u32_e32 v5, 0x400, v5
	ds_store_b64 v4, v[1:2]
	ds_store_b32 v6, v3
	v_add_nc_u32_e32 v6, 0x1000, v6
	v_add_nc_u32_e32 v4, 0x2000, v4
	v_cmp_lt_u32_e32 vcc_lo, 0xbff, v5
	s_or_b32 s0, vcc_lo, s0
	s_delay_alu instid0(SALU_CYCLE_1)
	s_and_not1_b32 exec_lo, exec_lo, s0
	s_cbranch_execnz .LBB91_7
; %bb.8:
	s_or_b32 exec_lo, exec_lo, s0
	s_waitcnt lgkmcnt(0)
	s_barrier
	buffer_gl0_inv
	s_load_b64 s[0:1], s[28:29], 0x0
	s_mov_b32 s3, 0
	v_lshrrev_b32_e32 v15, 6, v0
	s_waitcnt lgkmcnt(0)
	s_lshl_b64 s[0:1], s[0:1], 3
	s_delay_alu instid0(SALU_CYCLE_1) | instskip(SKIP_2) | instid1(SALU_CYCLE_1)
	s_add_u32 s28, s30, s0
	s_addc_u32 s29, s31, s1
	s_lshl_b64 s[0:1], s[2:3], 3
	s_add_u32 s0, s28, s0
	s_addc_u32 s1, s29, s1
	s_and_b32 vcc_lo, exec_lo, s38
	s_load_b64 s[28:29], s[0:1], 0x0
	s_cbranch_vccz .LBB91_28
; %bb.9:
	s_waitcnt lgkmcnt(0)
	s_lshl_b64 s[0:1], s[28:29], 3
	s_delay_alu instid0(SALU_CYCLE_1)
	s_add_u32 s0, s4, s0
	s_addc_u32 s1, s5, s1
	v_sub_co_u32 v1, s4, v15, s20
	s_load_b128 s[0:3], s[0:1], 0x0
	v_sub_co_ci_u32_e64 v2, null, 0, 0, s4
	s_waitcnt lgkmcnt(0)
	s_delay_alu instid0(VALU_DEP_2) | instskip(NEXT) | instid1(VALU_DEP_2)
	v_add_co_u32 v1, vcc_lo, s0, v1
	v_add_co_ci_u32_e32 v2, vcc_lo, s1, v2, vcc_lo
	s_sub_u32 s0, s2, s20
	s_subb_u32 s1, s3, 0
	s_mov_b32 s2, exec_lo
	s_delay_alu instid0(VALU_DEP_1)
	v_cmpx_gt_i64_e64 s[0:1], v[1:2]
	s_cbranch_execz .LBB91_27
; %bb.10:
	v_and_b32_e32 v3, 63, v0
	s_mov_b32 s4, s21
	s_delay_alu instid0(VALU_DEP_1) | instskip(NEXT) | instid1(VALU_DEP_1)
	v_sub_co_u32 v17, s3, v3, s21
	v_sub_co_ci_u32_e64 v18, null, 0, 0, s3
	s_mov_b32 s3, 0
	s_branch .LBB91_12
.LBB91_11:                              ;   in Loop: Header=BB91_12 Depth=1
	s_or_b32 exec_lo, exec_lo, s5
	v_add_co_u32 v1, vcc_lo, v1, 16
	v_add_co_ci_u32_e32 v2, vcc_lo, 0, v2, vcc_lo
	s_delay_alu instid0(VALU_DEP_1) | instskip(SKIP_1) | instid1(SALU_CYCLE_1)
	v_cmp_le_i64_e32 vcc_lo, s[0:1], v[1:2]
	s_or_b32 s3, vcc_lo, s3
	s_and_not1_b32 exec_lo, exec_lo, s3
	s_cbranch_execz .LBB91_27
.LBB91_12:                              ; =>This Loop Header: Depth=1
                                        ;     Child Loop BB91_15 Depth 2
                                        ;       Child Loop BB91_17 Depth 3
	v_lshlrev_b64 v[3:4], 3, v[1:2]
	s_mov_b32 s5, exec_lo
	s_delay_alu instid0(VALU_DEP_1) | instskip(NEXT) | instid1(VALU_DEP_2)
	v_add_co_u32 v3, vcc_lo, s6, v3
	v_add_co_ci_u32_e32 v4, vcc_lo, s7, v4, vcc_lo
	global_load_b64 v[3:4], v[3:4], off
	s_waitcnt vmcnt(0)
	v_sub_co_u32 v3, vcc_lo, v3, s20
	v_subrev_co_ci_u32_e32 v4, vcc_lo, 0, v4, vcc_lo
	s_delay_alu instid0(VALU_DEP_1) | instskip(NEXT) | instid1(VALU_DEP_1)
	v_lshlrev_b64 v[3:4], 3, v[3:4]
	v_add_co_u32 v3, vcc_lo, s10, v3
	s_delay_alu instid0(VALU_DEP_2)
	v_add_co_ci_u32_e32 v4, vcc_lo, s11, v4, vcc_lo
	global_load_b128 v[5:8], v[3:4], off
	s_waitcnt vmcnt(0)
	v_sub_co_u32 v3, vcc_lo, v7, s4
	v_subrev_co_ci_u32_e32 v4, vcc_lo, 0, v8, vcc_lo
	v_add_co_u32 v5, vcc_lo, v5, v17
	v_add_co_ci_u32_e32 v6, vcc_lo, v6, v18, vcc_lo
	s_delay_alu instid0(VALU_DEP_1)
	v_cmpx_lt_i64_e64 v[5:6], v[3:4]
	s_cbranch_execz .LBB91_11
; %bb.13:                               ;   in Loop: Header=BB91_12 Depth=1
	v_lshlrev_b64 v[7:8], 2, v[1:2]
	s_mov_b32 s21, 0
	s_delay_alu instid0(VALU_DEP_1) | instskip(NEXT) | instid1(VALU_DEP_2)
	v_add_co_u32 v7, vcc_lo, s8, v7
	v_add_co_ci_u32_e32 v8, vcc_lo, s9, v8, vcc_lo
	global_load_b32 v7, v[7:8], off
	s_waitcnt vmcnt(0)
	v_mul_f32_e32 v19, v16, v7
	s_branch .LBB91_15
.LBB91_14:                              ;   in Loop: Header=BB91_15 Depth=2
	s_or_b32 exec_lo, exec_lo, s30
	v_add_co_u32 v5, vcc_lo, v5, 64
	v_add_co_ci_u32_e32 v6, vcc_lo, 0, v6, vcc_lo
	s_delay_alu instid0(VALU_DEP_1) | instskip(SKIP_1) | instid1(SALU_CYCLE_1)
	v_cmp_ge_i64_e32 vcc_lo, v[5:6], v[3:4]
	s_or_b32 s21, vcc_lo, s21
	s_and_not1_b32 exec_lo, exec_lo, s21
	s_cbranch_execz .LBB91_11
.LBB91_15:                              ;   Parent Loop BB91_12 Depth=1
                                        ; =>  This Loop Header: Depth=2
                                        ;       Child Loop BB91_17 Depth 3
	v_lshlrev_b64 v[7:8], 3, v[5:6]
	v_lshlrev_b64 v[9:10], 2, v[5:6]
	s_mov_b32 s30, 0
	s_delay_alu instid0(VALU_DEP_2) | instskip(NEXT) | instid1(VALU_DEP_3)
	v_add_co_u32 v7, vcc_lo, s24, v7
	v_add_co_ci_u32_e32 v8, vcc_lo, s25, v8, vcc_lo
	s_delay_alu instid0(VALU_DEP_3) | instskip(NEXT) | instid1(VALU_DEP_4)
	v_add_co_u32 v9, vcc_lo, s26, v9
	v_add_co_ci_u32_e32 v10, vcc_lo, s27, v10, vcc_lo
	global_load_b64 v[7:8], v[7:8], off
	global_load_b32 v9, v[9:10], off
	s_waitcnt vmcnt(1)
	v_sub_co_u32 v7, vcc_lo, v7, s4
	v_subrev_co_ci_u32_e32 v8, vcc_lo, 0, v8, vcc_lo
	s_delay_alu instid0(VALU_DEP_2) | instskip(SKIP_1) | instid1(VALU_DEP_1)
	v_mul_lo_u32 v10, 0x89, v7
	s_waitcnt vmcnt(0)
	v_dual_mul_f32 v20, v19, v9 :: v_dual_and_b32 v21, 0xfff, v10
	s_branch .LBB91_17
.LBB91_16:                              ;   in Loop: Header=BB91_17 Depth=3
	s_or_b32 exec_lo, exec_lo, s31
	s_xor_b32 s31, s38, -1
	s_delay_alu instid0(SALU_CYCLE_1) | instskip(NEXT) | instid1(SALU_CYCLE_1)
	s_and_b32 s31, exec_lo, s31
	s_or_b32 s30, s31, s30
	s_delay_alu instid0(SALU_CYCLE_1)
	s_and_not1_b32 exec_lo, exec_lo, s30
	s_cbranch_execz .LBB91_14
.LBB91_17:                              ;   Parent Loop BB91_12 Depth=1
                                        ;     Parent Loop BB91_15 Depth=2
                                        ; =>    This Inner Loop Header: Depth=3
	s_delay_alu instid0(VALU_DEP_1)
	v_lshl_add_u32 v22, v21, 3, 0
	s_mov_b32 s31, exec_lo
                                        ; implicit-def: $sgpr38
	ds_load_b64 v[9:10], v22
	s_waitcnt lgkmcnt(0)
	v_cmpx_ne_u64_e64 v[9:10], v[7:8]
	s_xor_b32 s31, exec_lo, s31
	s_cbranch_execz .LBB91_25
; %bb.18:                               ;   in Loop: Header=BB91_17 Depth=3
	s_mov_b32 s39, exec_lo
                                        ; implicit-def: $sgpr38
	v_cmpx_ne_u64_e64 s[36:37], v[9:10]
	s_xor_b32 s39, exec_lo, s39
; %bb.19:                               ;   in Loop: Header=BB91_17 Depth=3
	v_add_nc_u32_e32 v9, 1, v21
	s_mov_b32 s38, -1
                                        ; implicit-def: $vgpr22
	s_delay_alu instid0(VALU_DEP_1)
	v_and_b32_e32 v21, 0xfff, v9
; %bb.20:                               ;   in Loop: Header=BB91_17 Depth=3
	s_and_not1_saveexec_b32 s39, s39
	s_cbranch_execz .LBB91_24
; %bb.21:                               ;   in Loop: Header=BB91_17 Depth=3
	v_dual_mov_b32 v9, s36 :: v_dual_mov_b32 v10, s37
	s_mov_b32 s40, -1
	s_mov_b32 s41, exec_lo
	ds_cmpstore_rtn_b64 v[9:10], v22, v[7:8], v[9:10]
	s_waitcnt lgkmcnt(0)
	v_cmpx_eq_u64_e64 s[36:37], v[9:10]
	s_cbranch_execz .LBB91_23
; %bb.22:                               ;   in Loop: Header=BB91_17 Depth=3
	v_lshlrev_b32_e32 v9, 2, v21
	s_xor_b32 s40, exec_lo, -1
	s_delay_alu instid0(VALU_DEP_1)
	v_sub_nc_u32_e32 v9, v22, v9
	ds_add_f32 v9, v20 offset:32768
.LBB91_23:                              ;   in Loop: Header=BB91_17 Depth=3
	s_or_b32 exec_lo, exec_lo, s41
	s_delay_alu instid0(SALU_CYCLE_1) | instskip(SKIP_1) | instid1(SALU_CYCLE_1)
	s_and_not1_b32 s38, s38, exec_lo
	s_and_b32 s40, s40, exec_lo
	s_or_b32 s38, s38, s40
.LBB91_24:                              ;   in Loop: Header=BB91_17 Depth=3
	s_or_b32 exec_lo, exec_lo, s39
	s_delay_alu instid0(SALU_CYCLE_1)
	s_and_b32 s38, s38, exec_lo
                                        ; implicit-def: $vgpr22
.LBB91_25:                              ;   in Loop: Header=BB91_17 Depth=3
	s_and_not1_saveexec_b32 s31, s31
	s_cbranch_execz .LBB91_16
; %bb.26:                               ;   in Loop: Header=BB91_17 Depth=3
	v_lshlrev_b32_e32 v9, 2, v21
	s_and_not1_b32 s38, s38, exec_lo
	s_delay_alu instid0(VALU_DEP_1)
	v_sub_nc_u32_e32 v9, v22, v9
	ds_add_f32 v9, v20 offset:32768
	s_branch .LBB91_16
.LBB91_27:
	s_or_b32 exec_lo, exec_lo, s2
.LBB91_28:
	s_delay_alu instid0(SALU_CYCLE_1)
	s_and_not1_b32 vcc_lo, exec_lo, s33
	s_cbranch_vccnz .LBB91_45
; %bb.29:
	s_waitcnt lgkmcnt(0)
	s_lshl_b64 s[0:1], s[28:29], 3
	v_sub_co_u32 v1, s4, v0, s23
	s_add_u32 s0, s12, s0
	s_addc_u32 s1, s13, s1
	v_sub_co_ci_u32_e64 v2, null, 0, 0, s4
	s_load_b128 s[0:3], s[0:1], 0x0
	s_waitcnt lgkmcnt(0)
	v_add_co_u32 v1, vcc_lo, s0, v1
	s_delay_alu instid0(VALU_DEP_2)
	v_add_co_ci_u32_e32 v2, vcc_lo, s1, v2, vcc_lo
	s_sub_u32 s0, s2, s23
	s_subb_u32 s1, s3, 0
	s_mov_b32 s2, 0
	s_mov_b32 s3, exec_lo
	v_cmpx_gt_i64_e64 s[0:1], v[1:2]
	s_cbranch_execz .LBB91_44
; %bb.30:
	s_mov_b32 s4, s23
	s_branch .LBB91_32
.LBB91_31:                              ;   in Loop: Header=BB91_32 Depth=1
	s_or_b32 exec_lo, exec_lo, s5
	v_add_co_u32 v1, vcc_lo, 0x400, v1
	v_add_co_ci_u32_e32 v2, vcc_lo, 0, v2, vcc_lo
	s_delay_alu instid0(VALU_DEP_1) | instskip(SKIP_1) | instid1(SALU_CYCLE_1)
	v_cmp_le_i64_e32 vcc_lo, s[0:1], v[1:2]
	s_or_b32 s2, vcc_lo, s2
	s_and_not1_b32 exec_lo, exec_lo, s2
	s_cbranch_execz .LBB91_44
.LBB91_32:                              ; =>This Loop Header: Depth=1
                                        ;     Child Loop BB91_34 Depth 2
	v_lshlrev_b64 v[3:4], 3, v[1:2]
	v_lshlrev_b64 v[5:6], 2, v[1:2]
	s_mov_b32 s5, 0
	s_delay_alu instid0(VALU_DEP_2) | instskip(NEXT) | instid1(VALU_DEP_3)
	v_add_co_u32 v3, vcc_lo, s14, v3
	v_add_co_ci_u32_e32 v4, vcc_lo, s15, v4, vcc_lo
	s_delay_alu instid0(VALU_DEP_3) | instskip(NEXT) | instid1(VALU_DEP_4)
	v_add_co_u32 v5, vcc_lo, s16, v5
	v_add_co_ci_u32_e32 v6, vcc_lo, s17, v6, vcc_lo
	global_load_b64 v[3:4], v[3:4], off
	global_load_b32 v5, v[5:6], off
	s_waitcnt vmcnt(1)
	v_sub_co_u32 v3, vcc_lo, v3, s4
	v_subrev_co_ci_u32_e32 v4, vcc_lo, 0, v4, vcc_lo
	s_delay_alu instid0(VALU_DEP_2) | instskip(SKIP_1) | instid1(VALU_DEP_1)
	v_mul_lo_u32 v6, 0x89, v3
	s_waitcnt vmcnt(0)
	v_dual_mul_f32 v7, v14, v5 :: v_dual_and_b32 v8, 0xfff, v6
	s_branch .LBB91_34
.LBB91_33:                              ;   in Loop: Header=BB91_34 Depth=2
	s_or_b32 exec_lo, exec_lo, s6
	s_xor_b32 s6, s7, -1
	s_delay_alu instid0(SALU_CYCLE_1) | instskip(NEXT) | instid1(SALU_CYCLE_1)
	s_and_b32 s6, exec_lo, s6
	s_or_b32 s5, s6, s5
	s_delay_alu instid0(SALU_CYCLE_1)
	s_and_not1_b32 exec_lo, exec_lo, s5
	s_cbranch_execz .LBB91_31
.LBB91_34:                              ;   Parent Loop BB91_32 Depth=1
                                        ; =>  This Inner Loop Header: Depth=2
	s_delay_alu instid0(VALU_DEP_1)
	v_lshl_add_u32 v9, v8, 3, 0
	s_mov_b32 s6, exec_lo
                                        ; implicit-def: $sgpr7
	ds_load_b64 v[5:6], v9
	s_waitcnt lgkmcnt(0)
	v_cmpx_ne_u64_e64 v[5:6], v[3:4]
	s_xor_b32 s6, exec_lo, s6
	s_cbranch_execz .LBB91_42
; %bb.35:                               ;   in Loop: Header=BB91_34 Depth=2
	s_mov_b32 s8, exec_lo
                                        ; implicit-def: $sgpr7
	v_cmpx_ne_u64_e64 s[36:37], v[5:6]
	s_xor_b32 s8, exec_lo, s8
; %bb.36:                               ;   in Loop: Header=BB91_34 Depth=2
	v_add_nc_u32_e32 v5, 1, v8
	s_mov_b32 s7, -1
                                        ; implicit-def: $vgpr9
	s_delay_alu instid0(VALU_DEP_1)
	v_and_b32_e32 v8, 0xfff, v5
; %bb.37:                               ;   in Loop: Header=BB91_34 Depth=2
	s_and_not1_saveexec_b32 s8, s8
	s_cbranch_execz .LBB91_41
; %bb.38:                               ;   in Loop: Header=BB91_34 Depth=2
	v_dual_mov_b32 v5, s36 :: v_dual_mov_b32 v6, s37
	s_mov_b32 s9, -1
	s_mov_b32 s10, exec_lo
	ds_cmpstore_rtn_b64 v[5:6], v9, v[3:4], v[5:6]
	s_waitcnt lgkmcnt(0)
	v_cmpx_eq_u64_e64 s[36:37], v[5:6]
	s_cbranch_execz .LBB91_40
; %bb.39:                               ;   in Loop: Header=BB91_34 Depth=2
	v_lshlrev_b32_e32 v5, 2, v8
	s_xor_b32 s9, exec_lo, -1
	s_delay_alu instid0(VALU_DEP_1)
	v_sub_nc_u32_e32 v5, v9, v5
	ds_add_f32 v5, v7 offset:32768
.LBB91_40:                              ;   in Loop: Header=BB91_34 Depth=2
	s_or_b32 exec_lo, exec_lo, s10
	s_delay_alu instid0(SALU_CYCLE_1) | instskip(SKIP_1) | instid1(SALU_CYCLE_1)
	s_and_not1_b32 s7, s7, exec_lo
	s_and_b32 s9, s9, exec_lo
	s_or_b32 s7, s7, s9
.LBB91_41:                              ;   in Loop: Header=BB91_34 Depth=2
	s_or_b32 exec_lo, exec_lo, s8
	s_delay_alu instid0(SALU_CYCLE_1)
	s_and_b32 s7, s7, exec_lo
                                        ; implicit-def: $vgpr9
.LBB91_42:                              ;   in Loop: Header=BB91_34 Depth=2
	s_and_not1_saveexec_b32 s6, s6
	s_cbranch_execz .LBB91_33
; %bb.43:                               ;   in Loop: Header=BB91_34 Depth=2
	v_lshlrev_b32_e32 v5, 2, v8
	s_and_not1_b32 s7, s7, exec_lo
	s_delay_alu instid0(VALU_DEP_1)
	v_sub_nc_u32_e32 v5, v9, v5
	ds_add_f32 v5, v7 offset:32768
	s_branch .LBB91_33
.LBB91_44:
	s_or_b32 exec_lo, exec_lo, s3
.LBB91_45:
	v_mbcnt_lo_u32_b32 v1, -1, 0
	v_lshl_add_u32 v10, v15, 3, 0
	v_cmp_eq_u32_e32 vcc_lo, 0x3ff, v0
	v_cmp_lt_u32_e64 s0, 63, v0
	v_cmp_lt_u32_e64 s1, 0x7f, v0
	v_xor_b32_e32 v1, 63, v1
	v_cmp_lt_u32_e64 s2, 0xbf, v0
	v_cmp_lt_u32_e64 s3, 0xff, v0
	;; [unrolled: 1-line block ×4, first 2 shown]
	v_lshrrev_b64 v[1:2], v1, -1
	v_dual_mov_b32 v2, 0 :: v_dual_mov_b32 v5, 0
	v_cmp_lt_u32_e64 s6, 0x1bf, v0
	v_cmp_lt_u32_e64 s7, 0x1ff, v0
	;; [unrolled: 1-line block ×9, first 2 shown]
	v_mov_b32_e32 v3, 0
	s_mov_b32 s17, 0
	s_waitcnt lgkmcnt(0)
	s_barrier
	buffer_gl0_inv
	s_branch .LBB91_47
.LBB91_46:                              ;   in Loop: Header=BB91_47 Depth=1
	s_or_b32 exec_lo, exec_lo, s15
	s_waitcnt lgkmcnt(0)
	s_barrier
	buffer_gl0_inv
	ds_load_b64 v[6:7], v5 offset:49272
	v_add_nc_u32_e32 v12, 0x400, v12
	v_add_nc_u32_e32 v13, 0x1000, v13
	;; [unrolled: 1-line block ×3, first 2 shown]
	s_delay_alu instid0(VALU_DEP_3) | instskip(NEXT) | instid1(VALU_DEP_1)
	v_cmp_lt_u32_e64 s15, 0xbff, v12
	s_or_b32 s17, s15, s17
	s_waitcnt lgkmcnt(0)
	v_add_co_u32 v2, s16, v6, v2
	s_delay_alu instid0(VALU_DEP_1)
	v_add_co_ci_u32_e64 v3, s16, v7, v3, s16
	s_and_not1_b32 exec_lo, exec_lo, s17
	s_cbranch_execz .LBB91_81
.LBB91_47:                              ; =>This Inner Loop Header: Depth=1
	ds_load_b64 v[6:7], v11
	ds_load_b32 v14, v13
	s_waitcnt lgkmcnt(0)
	s_barrier
	buffer_gl0_inv
	v_cmp_gt_i64_e64 s15, s[36:37], v[6:7]
	s_delay_alu instid0(VALU_DEP_1) | instskip(SKIP_1) | instid1(SALU_CYCLE_1)
	v_and_b32_e32 v8, s15, v1
	s_bcnt1_i32_b32 s16, s15
	v_mov_b32_e32 v4, s16
	s_delay_alu instid0(VALU_DEP_2)
	v_bcnt_u32_b32 v8, v8, 0
	ds_store_b64 v10, v[4:5] offset:49152
	s_waitcnt lgkmcnt(0)
	s_barrier
	buffer_gl0_inv
	s_and_saveexec_b32 s16, s0
	s_cbranch_execnz .LBB91_64
; %bb.48:                               ;   in Loop: Header=BB91_47 Depth=1
	s_or_b32 exec_lo, exec_lo, s16
	s_and_saveexec_b32 s16, s1
	s_cbranch_execnz .LBB91_65
.LBB91_49:                              ;   in Loop: Header=BB91_47 Depth=1
	s_or_b32 exec_lo, exec_lo, s16
	s_and_saveexec_b32 s16, s2
	s_cbranch_execnz .LBB91_66
.LBB91_50:                              ;   in Loop: Header=BB91_47 Depth=1
	s_or_b32 exec_lo, exec_lo, s16
	s_and_saveexec_b32 s16, s3
	s_cbranch_execnz .LBB91_67
.LBB91_51:                              ;   in Loop: Header=BB91_47 Depth=1
	s_or_b32 exec_lo, exec_lo, s16
	s_and_saveexec_b32 s16, s4
	s_cbranch_execnz .LBB91_68
.LBB91_52:                              ;   in Loop: Header=BB91_47 Depth=1
	s_or_b32 exec_lo, exec_lo, s16
	s_and_saveexec_b32 s16, s5
	s_cbranch_execnz .LBB91_69
.LBB91_53:                              ;   in Loop: Header=BB91_47 Depth=1
	s_or_b32 exec_lo, exec_lo, s16
	s_and_saveexec_b32 s16, s6
	s_cbranch_execnz .LBB91_70
.LBB91_54:                              ;   in Loop: Header=BB91_47 Depth=1
	s_or_b32 exec_lo, exec_lo, s16
	s_and_saveexec_b32 s16, s7
	s_cbranch_execnz .LBB91_71
.LBB91_55:                              ;   in Loop: Header=BB91_47 Depth=1
	s_or_b32 exec_lo, exec_lo, s16
	s_and_saveexec_b32 s16, s8
	s_cbranch_execnz .LBB91_72
.LBB91_56:                              ;   in Loop: Header=BB91_47 Depth=1
	s_or_b32 exec_lo, exec_lo, s16
	s_and_saveexec_b32 s16, s9
	s_cbranch_execnz .LBB91_73
.LBB91_57:                              ;   in Loop: Header=BB91_47 Depth=1
	s_or_b32 exec_lo, exec_lo, s16
	s_and_saveexec_b32 s16, s10
	s_cbranch_execnz .LBB91_74
.LBB91_58:                              ;   in Loop: Header=BB91_47 Depth=1
	s_or_b32 exec_lo, exec_lo, s16
	s_and_saveexec_b32 s16, s11
	s_cbranch_execnz .LBB91_75
.LBB91_59:                              ;   in Loop: Header=BB91_47 Depth=1
	s_or_b32 exec_lo, exec_lo, s16
	s_and_saveexec_b32 s16, s12
	s_cbranch_execnz .LBB91_76
.LBB91_60:                              ;   in Loop: Header=BB91_47 Depth=1
	s_or_b32 exec_lo, exec_lo, s16
	s_and_saveexec_b32 s16, s13
	s_cbranch_execnz .LBB91_77
.LBB91_61:                              ;   in Loop: Header=BB91_47 Depth=1
	s_or_b32 exec_lo, exec_lo, s16
	s_and_saveexec_b32 s16, s14
	s_cbranch_execnz .LBB91_78
.LBB91_62:                              ;   in Loop: Header=BB91_47 Depth=1
	s_or_b32 exec_lo, exec_lo, s16
	v_ashrrev_i32_e32 v9, 31, v8
	s_and_saveexec_b32 s16, s15
	s_cbranch_execnz .LBB91_79
.LBB91_63:                              ;   in Loop: Header=BB91_47 Depth=1
	s_or_b32 exec_lo, exec_lo, s16
	s_and_saveexec_b32 s15, vcc_lo
	s_cbranch_execz .LBB91_46
	s_branch .LBB91_80
.LBB91_64:                              ;   in Loop: Header=BB91_47 Depth=1
	ds_load_b32 v4, v5 offset:49152
	s_waitcnt lgkmcnt(0)
	v_add_nc_u32_e32 v8, v4, v8
	s_or_b32 exec_lo, exec_lo, s16
	s_and_saveexec_b32 s16, s1
	s_cbranch_execz .LBB91_49
.LBB91_65:                              ;   in Loop: Header=BB91_47 Depth=1
	ds_load_b32 v4, v5 offset:49160
	s_waitcnt lgkmcnt(0)
	v_add_nc_u32_e32 v8, v8, v4
	s_or_b32 exec_lo, exec_lo, s16
	s_and_saveexec_b32 s16, s2
	s_cbranch_execz .LBB91_50
.LBB91_66:                              ;   in Loop: Header=BB91_47 Depth=1
	ds_load_b32 v4, v5 offset:49168
	s_waitcnt lgkmcnt(0)
	v_add_nc_u32_e32 v8, v8, v4
	s_or_b32 exec_lo, exec_lo, s16
	s_and_saveexec_b32 s16, s3
	s_cbranch_execz .LBB91_51
.LBB91_67:                              ;   in Loop: Header=BB91_47 Depth=1
	ds_load_b32 v4, v5 offset:49176
	s_waitcnt lgkmcnt(0)
	v_add_nc_u32_e32 v8, v8, v4
	s_or_b32 exec_lo, exec_lo, s16
	s_and_saveexec_b32 s16, s4
	s_cbranch_execz .LBB91_52
.LBB91_68:                              ;   in Loop: Header=BB91_47 Depth=1
	ds_load_b32 v4, v5 offset:49184
	s_waitcnt lgkmcnt(0)
	v_add_nc_u32_e32 v8, v8, v4
	s_or_b32 exec_lo, exec_lo, s16
	s_and_saveexec_b32 s16, s5
	s_cbranch_execz .LBB91_53
.LBB91_69:                              ;   in Loop: Header=BB91_47 Depth=1
	ds_load_b32 v4, v5 offset:49192
	s_waitcnt lgkmcnt(0)
	v_add_nc_u32_e32 v8, v8, v4
	s_or_b32 exec_lo, exec_lo, s16
	s_and_saveexec_b32 s16, s6
	s_cbranch_execz .LBB91_54
.LBB91_70:                              ;   in Loop: Header=BB91_47 Depth=1
	ds_load_b32 v4, v5 offset:49200
	s_waitcnt lgkmcnt(0)
	v_add_nc_u32_e32 v8, v8, v4
	s_or_b32 exec_lo, exec_lo, s16
	s_and_saveexec_b32 s16, s7
	s_cbranch_execz .LBB91_55
.LBB91_71:                              ;   in Loop: Header=BB91_47 Depth=1
	ds_load_b32 v4, v5 offset:49208
	s_waitcnt lgkmcnt(0)
	v_add_nc_u32_e32 v8, v8, v4
	s_or_b32 exec_lo, exec_lo, s16
	s_and_saveexec_b32 s16, s8
	s_cbranch_execz .LBB91_56
.LBB91_72:                              ;   in Loop: Header=BB91_47 Depth=1
	ds_load_b32 v4, v5 offset:49216
	s_waitcnt lgkmcnt(0)
	v_add_nc_u32_e32 v8, v8, v4
	s_or_b32 exec_lo, exec_lo, s16
	s_and_saveexec_b32 s16, s9
	s_cbranch_execz .LBB91_57
.LBB91_73:                              ;   in Loop: Header=BB91_47 Depth=1
	ds_load_b32 v4, v5 offset:49224
	s_waitcnt lgkmcnt(0)
	v_add_nc_u32_e32 v8, v8, v4
	s_or_b32 exec_lo, exec_lo, s16
	s_and_saveexec_b32 s16, s10
	s_cbranch_execz .LBB91_58
.LBB91_74:                              ;   in Loop: Header=BB91_47 Depth=1
	ds_load_b32 v4, v5 offset:49232
	s_waitcnt lgkmcnt(0)
	v_add_nc_u32_e32 v8, v8, v4
	s_or_b32 exec_lo, exec_lo, s16
	s_and_saveexec_b32 s16, s11
	s_cbranch_execz .LBB91_59
.LBB91_75:                              ;   in Loop: Header=BB91_47 Depth=1
	ds_load_b32 v4, v5 offset:49240
	s_waitcnt lgkmcnt(0)
	v_add_nc_u32_e32 v8, v8, v4
	s_or_b32 exec_lo, exec_lo, s16
	s_and_saveexec_b32 s16, s12
	s_cbranch_execz .LBB91_60
.LBB91_76:                              ;   in Loop: Header=BB91_47 Depth=1
	ds_load_b32 v4, v5 offset:49248
	s_waitcnt lgkmcnt(0)
	v_add_nc_u32_e32 v8, v8, v4
	s_or_b32 exec_lo, exec_lo, s16
	s_and_saveexec_b32 s16, s13
	s_cbranch_execz .LBB91_61
.LBB91_77:                              ;   in Loop: Header=BB91_47 Depth=1
	ds_load_b32 v4, v5 offset:49256
	s_waitcnt lgkmcnt(0)
	v_add_nc_u32_e32 v8, v8, v4
	s_or_b32 exec_lo, exec_lo, s16
	s_and_saveexec_b32 s16, s14
	s_cbranch_execz .LBB91_62
.LBB91_78:                              ;   in Loop: Header=BB91_47 Depth=1
	ds_load_b32 v4, v5 offset:49264
	s_waitcnt lgkmcnt(0)
	v_add_nc_u32_e32 v8, v8, v4
	s_or_b32 exec_lo, exec_lo, s16
	s_delay_alu instid0(VALU_DEP_1)
	v_ashrrev_i32_e32 v9, 31, v8
	s_and_saveexec_b32 s16, s15
	s_cbranch_execz .LBB91_63
.LBB91_79:                              ;   in Loop: Header=BB91_47 Depth=1
	v_add3_u32 v4, v2, -1, v8
	s_delay_alu instid0(VALU_DEP_1)
	v_lshl_add_u32 v15, v4, 3, 0
	v_lshl_add_u32 v4, v4, 2, 0
	ds_store_b64 v15, v[6:7]
	ds_store_b32 v4, v14 offset:32768
	s_or_b32 exec_lo, exec_lo, s16
	s_and_saveexec_b32 s15, vcc_lo
	s_cbranch_execz .LBB91_46
.LBB91_80:                              ;   in Loop: Header=BB91_47 Depth=1
	ds_store_b64 v5, v[8:9] offset:49272
	s_branch .LBB91_46
.LBB91_81:
	s_or_b32 exec_lo, exec_lo, s17
	s_lshl_b64 s[0:1], s[28:29], 3
	v_mov_b32_e32 v1, 0
	s_add_u32 s0, s18, s0
	s_addc_u32 s1, s19, s1
	s_mov_b32 s6, exec_lo
	s_load_b128 s[0:3], s[0:1], 0x0
	s_waitcnt lgkmcnt(0)
	s_sub_u32 s4, s2, s0
	s_subb_u32 s5, s3, s1
	s_delay_alu instid0(SALU_CYCLE_1)
	v_cmpx_gt_i64_e64 s[4:5], v[0:1]
	s_cbranch_execz .LBB91_91
; %bb.82:
	s_sub_u32 s8, s0, s22
	s_subb_u32 s9, s1, 0
	s_and_b32 s6, s4, 7
	s_sub_u32 s0, s0, s2
	s_subb_u32 s1, s1, s3
	s_mov_b32 s7, 0
	v_cmp_lt_u64_e64 s12, s[0:1], -7
	s_and_b32 s2, s4, -8
	s_cmp_lg_u64 s[6:7], 0
	s_mov_b32 s3, s5
	s_cselect_b32 s13, -1, 0
	s_mov_b32 s14, s7
	s_branch .LBB91_84
.LBB91_83:                              ;   in Loop: Header=BB91_84 Depth=1
	v_add_co_u32 v0, vcc_lo, 0x400, v0
	v_add_co_ci_u32_e32 v1, vcc_lo, 0, v1, vcc_lo
	s_waitcnt lgkmcnt(1)
	v_lshlrev_b64 v[2:3], 2, v[4:5]
	s_delay_alu instid0(VALU_DEP_2) | instskip(NEXT) | instid1(VALU_DEP_2)
	v_cmp_le_i64_e32 vcc_lo, s[4:5], v[0:1]
	v_add_co_u32 v2, s0, s34, v2
	s_delay_alu instid0(VALU_DEP_1)
	v_add_co_ci_u32_e64 v3, s0, s35, v3, s0
	s_or_b32 s14, vcc_lo, s14
	s_waitcnt lgkmcnt(0)
	global_store_b32 v[2:3], v6, off
	s_and_not1_b32 exec_lo, exec_lo, s14
	s_cbranch_execz .LBB91_91
.LBB91_84:                              ; =>This Loop Header: Depth=1
                                        ;     Child Loop BB91_86 Depth 2
                                        ;     Child Loop BB91_90 Depth 2
	v_lshl_add_u32 v2, v0, 3, 0
	v_lshlrev_b32_e32 v3, 2, v0
	s_and_not1_b32 vcc_lo, exec_lo, s12
	s_mov_b64 s[0:1], 0
	s_delay_alu instid0(VALU_DEP_1)
	v_sub_nc_u32_e32 v4, v2, v3
	ds_load_b64 v[2:3], v2
	ds_load_b32 v6, v4 offset:32768
	v_dual_mov_b32 v4, s8 :: v_dual_mov_b32 v5, s9
	s_cbranch_vccnz .LBB91_88
; %bb.85:                               ;   in Loop: Header=BB91_84 Depth=1
	v_dual_mov_b32 v4, s8 :: v_dual_mov_b32 v5, s9
	s_mov_b64 s[10:11], 0
	s_mov_b32 s1, 0
.LBB91_86:                              ;   Parent Loop BB91_84 Depth=1
                                        ; =>  This Inner Loop Header: Depth=2
	s_delay_alu instid0(SALU_CYCLE_1)
	v_mov_b32_e32 v19, s1
	s_add_u32 s10, s10, 8
	s_addc_u32 s11, s11, 0
	s_add_i32 s1, s1, 64
	s_cmp_eq_u64 s[2:3], s[10:11]
	ds_load_2addr_b64 v[7:10], v19 offset1:1
	ds_load_2addr_b64 v[11:14], v19 offset0:2 offset1:3
	ds_load_2addr_b64 v[15:18], v19 offset0:4 offset1:5
	;; [unrolled: 1-line block ×3, first 2 shown]
	s_waitcnt lgkmcnt(3)
	v_cmp_gt_i64_e32 vcc_lo, v[2:3], v[7:8]
	v_cndmask_b32_e64 v7, 0, 1, vcc_lo
	v_cmp_gt_i64_e32 vcc_lo, v[2:3], v[9:10]
	v_cndmask_b32_e64 v8, 0, 1, vcc_lo
	s_waitcnt lgkmcnt(2)
	v_cmp_gt_i64_e32 vcc_lo, v[2:3], v[11:12]
	v_cndmask_b32_e64 v9, 0, 1, vcc_lo
	v_cmp_gt_i64_e32 vcc_lo, v[2:3], v[13:14]
	v_cndmask_b32_e64 v10, 0, 1, vcc_lo
	s_waitcnt lgkmcnt(1)
	v_cmp_gt_i64_e32 vcc_lo, v[2:3], v[15:16]
	v_cndmask_b32_e64 v11, 0, 1, vcc_lo
	v_add_co_u32 v4, vcc_lo, v4, v7
	v_add_co_ci_u32_e32 v5, vcc_lo, 0, v5, vcc_lo
	v_cmp_gt_i64_e32 vcc_lo, v[2:3], v[17:18]
	s_delay_alu instid0(VALU_DEP_3) | instskip(NEXT) | instid1(VALU_DEP_1)
	v_add_co_u32 v4, s0, v4, v8
	v_add_co_ci_u32_e64 v5, s0, 0, v5, s0
	v_cndmask_b32_e64 v7, 0, 1, vcc_lo
	s_delay_alu instid0(VALU_DEP_3) | instskip(NEXT) | instid1(VALU_DEP_3)
	v_add_co_u32 v4, vcc_lo, v4, v9
	v_add_co_ci_u32_e32 v5, vcc_lo, 0, v5, vcc_lo
	s_waitcnt lgkmcnt(0)
	v_cmp_gt_i64_e32 vcc_lo, v[2:3], v[19:20]
	s_delay_alu instid0(VALU_DEP_3) | instskip(NEXT) | instid1(VALU_DEP_1)
	v_add_co_u32 v4, s0, v4, v10
	v_add_co_ci_u32_e64 v5, s0, 0, v5, s0
	v_cndmask_b32_e64 v8, 0, 1, vcc_lo
	s_delay_alu instid0(VALU_DEP_3) | instskip(NEXT) | instid1(VALU_DEP_3)
	v_add_co_u32 v4, vcc_lo, v4, v11
	v_add_co_ci_u32_e32 v5, vcc_lo, 0, v5, vcc_lo
	v_cmp_gt_i64_e32 vcc_lo, v[2:3], v[21:22]
	s_delay_alu instid0(VALU_DEP_3) | instskip(NEXT) | instid1(VALU_DEP_1)
	v_add_co_u32 v4, s0, v4, v7
	v_add_co_ci_u32_e64 v5, s0, 0, v5, s0
	v_cndmask_b32_e64 v7, 0, 1, vcc_lo
	s_delay_alu instid0(VALU_DEP_3) | instskip(NEXT) | instid1(VALU_DEP_3)
	v_add_co_u32 v4, vcc_lo, v4, v8
	v_add_co_ci_u32_e32 v5, vcc_lo, 0, v5, vcc_lo
	s_delay_alu instid0(VALU_DEP_2) | instskip(NEXT) | instid1(VALU_DEP_2)
	v_add_co_u32 v4, vcc_lo, v4, v7
	v_add_co_ci_u32_e32 v5, vcc_lo, 0, v5, vcc_lo
	s_cbranch_scc0 .LBB91_86
; %bb.87:                               ;   in Loop: Header=BB91_84 Depth=1
	s_mov_b64 s[0:1], s[2:3]
.LBB91_88:                              ;   in Loop: Header=BB91_84 Depth=1
	s_and_not1_b32 vcc_lo, exec_lo, s13
	s_cbranch_vccnz .LBB91_83
; %bb.89:                               ;   in Loop: Header=BB91_84 Depth=1
	s_lshl_b32 s0, s0, 3
	s_delay_alu instid0(SALU_CYCLE_1)
	s_add_i32 s10, s0, 0
	s_mov_b64 s[0:1], s[6:7]
.LBB91_90:                              ;   Parent Loop BB91_84 Depth=1
                                        ; =>  This Inner Loop Header: Depth=2
	v_mov_b32_e32 v7, s10
	s_add_i32 s10, s10, 8
	s_add_u32 s0, s0, -1
	s_addc_u32 s1, s1, -1
	s_delay_alu instid0(SALU_CYCLE_1) | instskip(SKIP_4) | instid1(VALU_DEP_1)
	s_cmp_lg_u64 s[0:1], 0
	ds_load_b64 v[7:8], v7
	s_waitcnt lgkmcnt(0)
	v_cmp_gt_i64_e32 vcc_lo, v[2:3], v[7:8]
	v_cndmask_b32_e64 v7, 0, 1, vcc_lo
	v_add_co_u32 v4, vcc_lo, v4, v7
	v_add_co_ci_u32_e32 v5, vcc_lo, 0, v5, vcc_lo
	s_cbranch_scc1 .LBB91_90
	s_branch .LBB91_83
.LBB91_91:
	s_nop 0
	s_sendmsg sendmsg(MSG_DEALLOC_VGPRS)
	s_endpgm
	.section	.rodata,"a",@progbits
	.p2align	6, 0x0
	.amdhsa_kernel _ZN9rocsparseL41csrgemm_numeric_fill_block_per_row_kernelILj1024ELj64ELj4096ELj137ELj64EllfEEvT5_PKS1_S3_NS_24const_host_device_scalarIT6_EEPKT4_S3_PKS5_S9_S3_SB_S6_S9_S3_SB_S9_S3_PS5_21rocsparse_index_base_SD_SD_SD_bbb
		.amdhsa_group_segment_fixed_size 0
		.amdhsa_private_segment_fixed_size 0
		.amdhsa_kernarg_size 156
		.amdhsa_user_sgpr_count 15
		.amdhsa_user_sgpr_dispatch_ptr 0
		.amdhsa_user_sgpr_queue_ptr 0
		.amdhsa_user_sgpr_kernarg_segment_ptr 1
		.amdhsa_user_sgpr_dispatch_id 0
		.amdhsa_user_sgpr_private_segment_size 0
		.amdhsa_wavefront_size32 1
		.amdhsa_uses_dynamic_stack 0
		.amdhsa_enable_private_segment 0
		.amdhsa_system_sgpr_workgroup_id_x 1
		.amdhsa_system_sgpr_workgroup_id_y 0
		.amdhsa_system_sgpr_workgroup_id_z 0
		.amdhsa_system_sgpr_workgroup_info 0
		.amdhsa_system_vgpr_workitem_id 0
		.amdhsa_next_free_vgpr 23
		.amdhsa_next_free_sgpr 42
		.amdhsa_reserve_vcc 1
		.amdhsa_float_round_mode_32 0
		.amdhsa_float_round_mode_16_64 0
		.amdhsa_float_denorm_mode_32 3
		.amdhsa_float_denorm_mode_16_64 3
		.amdhsa_dx10_clamp 1
		.amdhsa_ieee_mode 1
		.amdhsa_fp16_overflow 0
		.amdhsa_workgroup_processor_mode 1
		.amdhsa_memory_ordered 1
		.amdhsa_forward_progress 0
		.amdhsa_shared_vgpr_count 0
		.amdhsa_exception_fp_ieee_invalid_op 0
		.amdhsa_exception_fp_denorm_src 0
		.amdhsa_exception_fp_ieee_div_zero 0
		.amdhsa_exception_fp_ieee_overflow 0
		.amdhsa_exception_fp_ieee_underflow 0
		.amdhsa_exception_fp_ieee_inexact 0
		.amdhsa_exception_int_div_zero 0
	.end_amdhsa_kernel
	.section	.text._ZN9rocsparseL41csrgemm_numeric_fill_block_per_row_kernelILj1024ELj64ELj4096ELj137ELj64EllfEEvT5_PKS1_S3_NS_24const_host_device_scalarIT6_EEPKT4_S3_PKS5_S9_S3_SB_S6_S9_S3_SB_S9_S3_PS5_21rocsparse_index_base_SD_SD_SD_bbb,"axG",@progbits,_ZN9rocsparseL41csrgemm_numeric_fill_block_per_row_kernelILj1024ELj64ELj4096ELj137ELj64EllfEEvT5_PKS1_S3_NS_24const_host_device_scalarIT6_EEPKT4_S3_PKS5_S9_S3_SB_S6_S9_S3_SB_S9_S3_PS5_21rocsparse_index_base_SD_SD_SD_bbb,comdat
.Lfunc_end91:
	.size	_ZN9rocsparseL41csrgemm_numeric_fill_block_per_row_kernelILj1024ELj64ELj4096ELj137ELj64EllfEEvT5_PKS1_S3_NS_24const_host_device_scalarIT6_EEPKT4_S3_PKS5_S9_S3_SB_S6_S9_S3_SB_S9_S3_PS5_21rocsparse_index_base_SD_SD_SD_bbb, .Lfunc_end91-_ZN9rocsparseL41csrgemm_numeric_fill_block_per_row_kernelILj1024ELj64ELj4096ELj137ELj64EllfEEvT5_PKS1_S3_NS_24const_host_device_scalarIT6_EEPKT4_S3_PKS5_S9_S3_SB_S6_S9_S3_SB_S9_S3_PS5_21rocsparse_index_base_SD_SD_SD_bbb
                                        ; -- End function
	.section	.AMDGPU.csdata,"",@progbits
; Kernel info:
; codeLenInByte = 3552
; NumSgprs: 44
; NumVgprs: 23
; ScratchSize: 0
; MemoryBound: 0
; FloatMode: 240
; IeeeMode: 1
; LDSByteSize: 0 bytes/workgroup (compile time only)
; SGPRBlocks: 5
; VGPRBlocks: 2
; NumSGPRsForWavesPerEU: 44
; NumVGPRsForWavesPerEU: 23
; Occupancy: 16
; WaveLimiterHint : 1
; COMPUTE_PGM_RSRC2:SCRATCH_EN: 0
; COMPUTE_PGM_RSRC2:USER_SGPR: 15
; COMPUTE_PGM_RSRC2:TRAP_HANDLER: 0
; COMPUTE_PGM_RSRC2:TGID_X_EN: 1
; COMPUTE_PGM_RSRC2:TGID_Y_EN: 0
; COMPUTE_PGM_RSRC2:TGID_Z_EN: 0
; COMPUTE_PGM_RSRC2:TIDIG_COMP_CNT: 0
	.section	.text._ZN9rocsparseL41csrgemm_numeric_fill_block_per_row_kernelILj1024ELj64ELj8192ELj137ELj32EllfEEvT5_PKS1_S3_NS_24const_host_device_scalarIT6_EEPKT4_S3_PKS5_S9_S3_SB_S6_S9_S3_SB_S9_S3_PS5_21rocsparse_index_base_SD_SD_SD_bbb,"axG",@progbits,_ZN9rocsparseL41csrgemm_numeric_fill_block_per_row_kernelILj1024ELj64ELj8192ELj137ELj32EllfEEvT5_PKS1_S3_NS_24const_host_device_scalarIT6_EEPKT4_S3_PKS5_S9_S3_SB_S6_S9_S3_SB_S9_S3_PS5_21rocsparse_index_base_SD_SD_SD_bbb,comdat
	.globl	_ZN9rocsparseL41csrgemm_numeric_fill_block_per_row_kernelILj1024ELj64ELj8192ELj137ELj32EllfEEvT5_PKS1_S3_NS_24const_host_device_scalarIT6_EEPKT4_S3_PKS5_S9_S3_SB_S6_S9_S3_SB_S9_S3_PS5_21rocsparse_index_base_SD_SD_SD_bbb ; -- Begin function _ZN9rocsparseL41csrgemm_numeric_fill_block_per_row_kernelILj1024ELj64ELj8192ELj137ELj32EllfEEvT5_PKS1_S3_NS_24const_host_device_scalarIT6_EEPKT4_S3_PKS5_S9_S3_SB_S6_S9_S3_SB_S9_S3_PS5_21rocsparse_index_base_SD_SD_SD_bbb
	.p2align	8
	.type	_ZN9rocsparseL41csrgemm_numeric_fill_block_per_row_kernelILj1024ELj64ELj8192ELj137ELj32EllfEEvT5_PKS1_S3_NS_24const_host_device_scalarIT6_EEPKT4_S3_PKS5_S9_S3_SB_S6_S9_S3_SB_S9_S3_PS5_21rocsparse_index_base_SD_SD_SD_bbb,@function
_ZN9rocsparseL41csrgemm_numeric_fill_block_per_row_kernelILj1024ELj64ELj8192ELj137ELj32EllfEEvT5_PKS1_S3_NS_24const_host_device_scalarIT6_EEPKT4_S3_PKS5_S9_S3_SB_S6_S9_S3_SB_S9_S3_PS5_21rocsparse_index_base_SD_SD_SD_bbb: ; @_ZN9rocsparseL41csrgemm_numeric_fill_block_per_row_kernelILj1024ELj64ELj8192ELj137ELj32EllfEEvT5_PKS1_S3_NS_24const_host_device_scalarIT6_EEPKT4_S3_PKS5_S9_S3_SB_S6_S9_S3_SB_S9_S3_PS5_21rocsparse_index_base_SD_SD_SD_bbb
; %bb.0:
	s_clause 0x4
	s_load_b32 s3, s[0:1], 0x98
	s_load_b128 s[4:7], s[0:1], 0x8
	s_load_b64 s[10:11], s[0:1], 0x18
	s_load_b128 s[36:39], s[0:1], 0x88
	s_load_b64 s[8:9], s[0:1], 0x50
	s_mov_b32 s2, s15
	s_waitcnt lgkmcnt(0)
	s_bitcmp1_b32 s3, 0
	s_cselect_b32 s12, -1, 0
	s_bitcmp1_b32 s3, 16
	s_cselect_b32 s13, -1, 0
	s_xor_b32 s14, s12, -1
	s_delay_alu instid0(SALU_CYCLE_1) | instskip(NEXT) | instid1(SALU_CYCLE_1)
	s_or_b32 s14, s14, s13
	s_and_b32 vcc_lo, exec_lo, s14
	s_cbranch_vccnz .LBB92_2
; %bb.1:
	s_load_b32 s10, s[10:11], 0x0
	s_waitcnt lgkmcnt(0)
	v_mov_b32_e32 v14, s10
	s_branch .LBB92_3
.LBB92_2:
	v_cndmask_b32_e64 v14, 0, s10, s12
.LBB92_3:
	s_bitcmp1_b32 s3, 8
	s_cselect_b32 s14, -1, 0
	s_delay_alu instid0(SALU_CYCLE_1) | instskip(NEXT) | instid1(SALU_CYCLE_1)
	s_xor_b32 s3, s14, -1
	s_or_b32 s3, s3, s13
	s_delay_alu instid0(SALU_CYCLE_1)
	s_and_b32 vcc_lo, exec_lo, s3
	s_cbranch_vccnz .LBB92_5
; %bb.4:
	s_load_b32 s3, s[8:9], 0x0
	s_waitcnt lgkmcnt(0)
	v_mov_b32_e32 v13, s3
	s_branch .LBB92_6
.LBB92_5:
	v_cndmask_b32_e64 v13, 0, s8, s14
.LBB92_6:
	s_load_b64 s[34:35], s[0:1], 0x0
	v_lshlrev_b32_e32 v1, 2, v0
	v_mov_b32_e32 v21, 0
	v_lshl_add_u32 v12, v0, 3, 0
	s_mov_b32 s3, 0
	s_delay_alu instid0(VALU_DEP_3)
	v_add3_u32 v11, 0, v1, 0x10000
	s_waitcnt lgkmcnt(0)
	v_mov_b32_e32 v1, s34
	v_dual_mov_b32 v3, s34 :: v_dual_mov_b32 v2, s35
	v_dual_mov_b32 v4, s35 :: v_dual_mov_b32 v5, s34
	;; [unrolled: 1-line block ×7, first 2 shown]
	v_mov_b32_e32 v18, s35
	ds_store_2addr_stride64_b32 v11, v21, v21 offset1:16
	ds_store_2addr_stride64_b32 v11, v21, v21 offset0:32 offset1:48
	ds_store_2addr_stride64_b32 v11, v21, v21 offset0:64 offset1:80
	;; [unrolled: 1-line block ×3, first 2 shown]
	ds_store_2addr_stride64_b64 v12, v[1:2], v[3:4] offset1:16
	ds_store_2addr_stride64_b64 v12, v[5:6], v[7:8] offset0:32 offset1:48
	ds_store_2addr_stride64_b64 v12, v[9:10], v[15:16] offset0:64 offset1:80
	;; [unrolled: 1-line block ×3, first 2 shown]
	s_waitcnt lgkmcnt(0)
	s_barrier
	buffer_gl0_inv
	s_load_b64 s[4:5], s[4:5], 0x0
	s_waitcnt lgkmcnt(0)
	s_lshl_b64 s[4:5], s[4:5], 3
	s_delay_alu instid0(SALU_CYCLE_1) | instskip(SKIP_2) | instid1(SALU_CYCLE_1)
	s_add_u32 s4, s6, s4
	s_addc_u32 s5, s7, s5
	s_lshl_b64 s[2:3], s[2:3], 3
	s_add_u32 s2, s4, s2
	s_addc_u32 s3, s5, s3
	s_and_not1_b32 vcc_lo, exec_lo, s12
	s_load_b64 s[40:41], s[2:3], 0x0
	s_cbranch_vccnz .LBB92_26
; %bb.7:
	s_load_b64 s[2:3], s[0:1], 0x20
	s_waitcnt lgkmcnt(0)
	s_lshl_b64 s[4:5], s[40:41], 3
	v_lshrrev_b32_e32 v1, 6, v0
	s_mov_b32 s15, exec_lo
	s_add_u32 s2, s2, s4
	s_addc_u32 s3, s3, s5
	s_load_b128 s[4:7], s[2:3], 0x0
	v_sub_co_u32 v1, s2, v1, s36
	s_delay_alu instid0(VALU_DEP_1) | instskip(SKIP_1) | instid1(VALU_DEP_2)
	v_sub_co_ci_u32_e64 v2, null, 0, 0, s2
	s_waitcnt lgkmcnt(0)
	v_add_co_u32 v1, vcc_lo, s4, v1
	s_delay_alu instid0(VALU_DEP_2)
	v_add_co_ci_u32_e32 v2, vcc_lo, s5, v2, vcc_lo
	s_sub_u32 s2, s6, s36
	s_subb_u32 s3, s7, 0
	s_delay_alu instid0(VALU_DEP_1) | instid1(SALU_CYCLE_1)
	v_cmpx_gt_i64_e64 s[2:3], v[1:2]
	s_cbranch_execz .LBB92_25
; %bb.8:
	s_clause 0x1
	s_load_b64 s[12:13], s[0:1], 0x48
	s_load_b256 s[4:11], s[0:1], 0x28
	v_and_b32_e32 v3, 63, v0
	s_mov_b32 s17, s37
	s_delay_alu instid0(VALU_DEP_1) | instskip(NEXT) | instid1(VALU_DEP_1)
	v_sub_co_u32 v15, s16, v3, s37
	v_sub_co_ci_u32_e64 v16, null, 0, 0, s16
	s_mov_b32 s16, 0
	s_branch .LBB92_10
.LBB92_9:                               ;   in Loop: Header=BB92_10 Depth=1
	s_or_b32 exec_lo, exec_lo, s18
	v_add_co_u32 v1, vcc_lo, v1, 16
	v_add_co_ci_u32_e32 v2, vcc_lo, 0, v2, vcc_lo
	s_delay_alu instid0(VALU_DEP_1) | instskip(SKIP_1) | instid1(SALU_CYCLE_1)
	v_cmp_le_i64_e32 vcc_lo, s[2:3], v[1:2]
	s_or_b32 s16, vcc_lo, s16
	s_and_not1_b32 exec_lo, exec_lo, s16
	s_cbranch_execz .LBB92_25
.LBB92_10:                              ; =>This Loop Header: Depth=1
                                        ;     Child Loop BB92_13 Depth 2
                                        ;       Child Loop BB92_15 Depth 3
	v_lshlrev_b64 v[3:4], 3, v[1:2]
	s_mov_b32 s18, exec_lo
	s_waitcnt lgkmcnt(0)
	s_delay_alu instid0(VALU_DEP_1) | instskip(NEXT) | instid1(VALU_DEP_2)
	v_add_co_u32 v3, vcc_lo, s4, v3
	v_add_co_ci_u32_e32 v4, vcc_lo, s5, v4, vcc_lo
	global_load_b64 v[3:4], v[3:4], off
	s_waitcnt vmcnt(0)
	v_sub_co_u32 v3, vcc_lo, v3, s36
	v_subrev_co_ci_u32_e32 v4, vcc_lo, 0, v4, vcc_lo
	s_delay_alu instid0(VALU_DEP_1) | instskip(NEXT) | instid1(VALU_DEP_1)
	v_lshlrev_b64 v[3:4], 3, v[3:4]
	v_add_co_u32 v3, vcc_lo, s8, v3
	s_delay_alu instid0(VALU_DEP_2)
	v_add_co_ci_u32_e32 v4, vcc_lo, s9, v4, vcc_lo
	global_load_b128 v[5:8], v[3:4], off
	s_waitcnt vmcnt(0)
	v_sub_co_u32 v3, vcc_lo, v7, s17
	v_subrev_co_ci_u32_e32 v4, vcc_lo, 0, v8, vcc_lo
	v_add_co_u32 v5, vcc_lo, v5, v15
	v_add_co_ci_u32_e32 v6, vcc_lo, v6, v16, vcc_lo
	s_delay_alu instid0(VALU_DEP_1)
	v_cmpx_lt_i64_e64 v[5:6], v[3:4]
	s_cbranch_execz .LBB92_9
; %bb.11:                               ;   in Loop: Header=BB92_10 Depth=1
	v_lshlrev_b64 v[7:8], 2, v[1:2]
	s_mov_b32 s19, 0
	s_delay_alu instid0(VALU_DEP_1) | instskip(NEXT) | instid1(VALU_DEP_2)
	v_add_co_u32 v7, vcc_lo, s6, v7
	v_add_co_ci_u32_e32 v8, vcc_lo, s7, v8, vcc_lo
	global_load_b32 v7, v[7:8], off
	s_waitcnt vmcnt(0)
	v_mul_f32_e32 v17, v14, v7
	s_branch .LBB92_13
.LBB92_12:                              ;   in Loop: Header=BB92_13 Depth=2
	s_or_b32 exec_lo, exec_lo, s20
	v_add_co_u32 v5, vcc_lo, v5, 64
	v_add_co_ci_u32_e32 v6, vcc_lo, 0, v6, vcc_lo
	s_delay_alu instid0(VALU_DEP_1) | instskip(SKIP_1) | instid1(SALU_CYCLE_1)
	v_cmp_ge_i64_e32 vcc_lo, v[5:6], v[3:4]
	s_or_b32 s19, vcc_lo, s19
	s_and_not1_b32 exec_lo, exec_lo, s19
	s_cbranch_execz .LBB92_9
.LBB92_13:                              ;   Parent Loop BB92_10 Depth=1
                                        ; =>  This Loop Header: Depth=2
                                        ;       Child Loop BB92_15 Depth 3
	v_lshlrev_b64 v[7:8], 3, v[5:6]
	v_lshlrev_b64 v[9:10], 2, v[5:6]
	s_mov_b32 s20, 0
	s_delay_alu instid0(VALU_DEP_2) | instskip(NEXT) | instid1(VALU_DEP_3)
	v_add_co_u32 v7, vcc_lo, s10, v7
	v_add_co_ci_u32_e32 v8, vcc_lo, s11, v8, vcc_lo
	s_delay_alu instid0(VALU_DEP_3) | instskip(NEXT) | instid1(VALU_DEP_4)
	v_add_co_u32 v9, vcc_lo, s12, v9
	v_add_co_ci_u32_e32 v10, vcc_lo, s13, v10, vcc_lo
	global_load_b64 v[7:8], v[7:8], off
	global_load_b32 v9, v[9:10], off
	s_waitcnt vmcnt(1)
	v_sub_co_u32 v7, vcc_lo, v7, s17
	v_subrev_co_ci_u32_e32 v8, vcc_lo, 0, v8, vcc_lo
	s_delay_alu instid0(VALU_DEP_2) | instskip(SKIP_1) | instid1(VALU_DEP_1)
	v_mul_lo_u32 v10, 0x89, v7
	s_waitcnt vmcnt(0)
	v_dual_mul_f32 v18, v17, v9 :: v_dual_and_b32 v19, 0x1fff, v10
	s_branch .LBB92_15
.LBB92_14:                              ;   in Loop: Header=BB92_15 Depth=3
	s_or_b32 exec_lo, exec_lo, s21
	s_xor_b32 s21, s22, -1
	s_delay_alu instid0(SALU_CYCLE_1) | instskip(NEXT) | instid1(SALU_CYCLE_1)
	s_and_b32 s21, exec_lo, s21
	s_or_b32 s20, s21, s20
	s_delay_alu instid0(SALU_CYCLE_1)
	s_and_not1_b32 exec_lo, exec_lo, s20
	s_cbranch_execz .LBB92_12
.LBB92_15:                              ;   Parent Loop BB92_10 Depth=1
                                        ;     Parent Loop BB92_13 Depth=2
                                        ; =>    This Inner Loop Header: Depth=3
	s_delay_alu instid0(VALU_DEP_1)
	v_lshl_add_u32 v20, v19, 3, 0
	s_mov_b32 s21, exec_lo
                                        ; implicit-def: $sgpr22
	ds_load_b64 v[9:10], v20
	s_waitcnt lgkmcnt(0)
	v_cmpx_ne_u64_e64 v[9:10], v[7:8]
	s_xor_b32 s21, exec_lo, s21
	s_cbranch_execz .LBB92_23
; %bb.16:                               ;   in Loop: Header=BB92_15 Depth=3
	s_mov_b32 s23, exec_lo
                                        ; implicit-def: $sgpr22
	v_cmpx_ne_u64_e64 s[34:35], v[9:10]
	s_xor_b32 s23, exec_lo, s23
; %bb.17:                               ;   in Loop: Header=BB92_15 Depth=3
	v_add_nc_u32_e32 v9, 1, v19
	s_mov_b32 s22, -1
                                        ; implicit-def: $vgpr20
	s_delay_alu instid0(VALU_DEP_1)
	v_and_b32_e32 v19, 0x1fff, v9
; %bb.18:                               ;   in Loop: Header=BB92_15 Depth=3
	s_and_not1_saveexec_b32 s23, s23
	s_cbranch_execz .LBB92_22
; %bb.19:                               ;   in Loop: Header=BB92_15 Depth=3
	v_dual_mov_b32 v9, s34 :: v_dual_mov_b32 v10, s35
	s_mov_b32 s24, -1
	s_mov_b32 s25, exec_lo
	ds_cmpstore_rtn_b64 v[9:10], v20, v[7:8], v[9:10]
	s_waitcnt lgkmcnt(0)
	v_cmpx_eq_u64_e64 s[34:35], v[9:10]
	s_cbranch_execz .LBB92_21
; %bb.20:                               ;   in Loop: Header=BB92_15 Depth=3
	v_lshlrev_b32_e32 v9, 2, v19
	s_xor_b32 s24, exec_lo, -1
	s_delay_alu instid0(VALU_DEP_1)
	v_add3_u32 v9, 0, v9, 0x10000
	ds_add_f32 v9, v18
.LBB92_21:                              ;   in Loop: Header=BB92_15 Depth=3
	s_or_b32 exec_lo, exec_lo, s25
	s_delay_alu instid0(SALU_CYCLE_1) | instskip(SKIP_1) | instid1(SALU_CYCLE_1)
	s_and_not1_b32 s22, s22, exec_lo
	s_and_b32 s24, s24, exec_lo
	s_or_b32 s22, s22, s24
.LBB92_22:                              ;   in Loop: Header=BB92_15 Depth=3
	s_or_b32 exec_lo, exec_lo, s23
	s_delay_alu instid0(SALU_CYCLE_1)
	s_and_b32 s22, s22, exec_lo
.LBB92_23:                              ;   in Loop: Header=BB92_15 Depth=3
	s_and_not1_saveexec_b32 s21, s21
	s_cbranch_execz .LBB92_14
; %bb.24:                               ;   in Loop: Header=BB92_15 Depth=3
	v_lshlrev_b32_e32 v9, 2, v19
	s_and_not1_b32 s22, s22, exec_lo
	s_delay_alu instid0(VALU_DEP_1)
	v_add3_u32 v9, 0, v9, 0x10000
	ds_add_f32 v9, v18
	s_branch .LBB92_14
.LBB92_25:
	s_or_b32 exec_lo, exec_lo, s15
.LBB92_26:
	s_clause 0x1
	s_load_b64 s[36:37], s[0:1], 0x80
	s_load_b64 s[42:43], s[0:1], 0x70
	s_and_not1_b32 vcc_lo, exec_lo, s14
	s_cbranch_vccnz .LBB92_43
; %bb.27:
	s_load_b64 s[2:3], s[0:1], 0x58
	s_waitcnt lgkmcnt(0)
	s_lshl_b64 s[4:5], s[40:41], 3
	s_delay_alu instid0(SALU_CYCLE_1) | instskip(SKIP_3) | instid1(VALU_DEP_1)
	s_add_u32 s2, s2, s4
	s_addc_u32 s3, s3, s5
	s_load_b128 s[4:7], s[2:3], 0x0
	v_sub_co_u32 v1, s2, v0, s39
	v_sub_co_ci_u32_e64 v2, null, 0, 0, s2
	s_waitcnt lgkmcnt(0)
	s_delay_alu instid0(VALU_DEP_2) | instskip(NEXT) | instid1(VALU_DEP_2)
	v_add_co_u32 v1, vcc_lo, s4, v1
	v_add_co_ci_u32_e32 v2, vcc_lo, s5, v2, vcc_lo
	s_sub_u32 s4, s6, s39
	s_subb_u32 s5, s7, 0
	s_mov_b32 s6, 0
	s_mov_b32 s7, exec_lo
	v_cmpx_gt_i64_e64 s[4:5], v[1:2]
	s_cbranch_execz .LBB92_42
; %bb.28:
	s_load_b128 s[0:3], s[0:1], 0x60
	s_mov_b32 s8, s39
	s_branch .LBB92_30
.LBB92_29:                              ;   in Loop: Header=BB92_30 Depth=1
	s_or_b32 exec_lo, exec_lo, s9
	v_add_co_u32 v1, vcc_lo, 0x400, v1
	v_add_co_ci_u32_e32 v2, vcc_lo, 0, v2, vcc_lo
	s_delay_alu instid0(VALU_DEP_1) | instskip(SKIP_1) | instid1(SALU_CYCLE_1)
	v_cmp_le_i64_e32 vcc_lo, s[4:5], v[1:2]
	s_or_b32 s6, vcc_lo, s6
	s_and_not1_b32 exec_lo, exec_lo, s6
	s_cbranch_execz .LBB92_42
.LBB92_30:                              ; =>This Loop Header: Depth=1
                                        ;     Child Loop BB92_32 Depth 2
	v_lshlrev_b64 v[3:4], 3, v[1:2]
	v_lshlrev_b64 v[5:6], 2, v[1:2]
	s_mov_b32 s9, 0
	s_waitcnt lgkmcnt(0)
	s_delay_alu instid0(VALU_DEP_2) | instskip(NEXT) | instid1(VALU_DEP_3)
	v_add_co_u32 v3, vcc_lo, s0, v3
	v_add_co_ci_u32_e32 v4, vcc_lo, s1, v4, vcc_lo
	s_delay_alu instid0(VALU_DEP_3)
	v_add_co_u32 v5, vcc_lo, s2, v5
	v_add_co_ci_u32_e32 v6, vcc_lo, s3, v6, vcc_lo
	global_load_b64 v[3:4], v[3:4], off
	global_load_b32 v5, v[5:6], off
	s_waitcnt vmcnt(1)
	v_sub_co_u32 v3, vcc_lo, v3, s8
	v_subrev_co_ci_u32_e32 v4, vcc_lo, 0, v4, vcc_lo
	s_delay_alu instid0(VALU_DEP_2) | instskip(SKIP_1) | instid1(VALU_DEP_1)
	v_mul_lo_u32 v6, 0x89, v3
	s_waitcnt vmcnt(0)
	v_dual_mul_f32 v7, v13, v5 :: v_dual_and_b32 v8, 0x1fff, v6
	s_branch .LBB92_32
.LBB92_31:                              ;   in Loop: Header=BB92_32 Depth=2
	s_or_b32 exec_lo, exec_lo, s10
	s_xor_b32 s10, s11, -1
	s_delay_alu instid0(SALU_CYCLE_1) | instskip(NEXT) | instid1(SALU_CYCLE_1)
	s_and_b32 s10, exec_lo, s10
	s_or_b32 s9, s10, s9
	s_delay_alu instid0(SALU_CYCLE_1)
	s_and_not1_b32 exec_lo, exec_lo, s9
	s_cbranch_execz .LBB92_29
.LBB92_32:                              ;   Parent Loop BB92_30 Depth=1
                                        ; =>  This Inner Loop Header: Depth=2
	s_delay_alu instid0(VALU_DEP_1)
	v_lshl_add_u32 v9, v8, 3, 0
	s_mov_b32 s10, exec_lo
                                        ; implicit-def: $sgpr11
	ds_load_b64 v[5:6], v9
	s_waitcnt lgkmcnt(0)
	v_cmpx_ne_u64_e64 v[5:6], v[3:4]
	s_xor_b32 s10, exec_lo, s10
	s_cbranch_execz .LBB92_40
; %bb.33:                               ;   in Loop: Header=BB92_32 Depth=2
	s_mov_b32 s12, exec_lo
                                        ; implicit-def: $sgpr11
	v_cmpx_ne_u64_e64 s[34:35], v[5:6]
	s_xor_b32 s12, exec_lo, s12
; %bb.34:                               ;   in Loop: Header=BB92_32 Depth=2
	v_add_nc_u32_e32 v5, 1, v8
	s_mov_b32 s11, -1
                                        ; implicit-def: $vgpr9
	s_delay_alu instid0(VALU_DEP_1)
	v_and_b32_e32 v8, 0x1fff, v5
; %bb.35:                               ;   in Loop: Header=BB92_32 Depth=2
	s_and_not1_saveexec_b32 s12, s12
	s_cbranch_execz .LBB92_39
; %bb.36:                               ;   in Loop: Header=BB92_32 Depth=2
	v_dual_mov_b32 v5, s34 :: v_dual_mov_b32 v6, s35
	s_mov_b32 s13, -1
	s_mov_b32 s14, exec_lo
	ds_cmpstore_rtn_b64 v[5:6], v9, v[3:4], v[5:6]
	s_waitcnt lgkmcnt(0)
	v_cmpx_eq_u64_e64 s[34:35], v[5:6]
	s_cbranch_execz .LBB92_38
; %bb.37:                               ;   in Loop: Header=BB92_32 Depth=2
	v_lshlrev_b32_e32 v5, 2, v8
	s_xor_b32 s13, exec_lo, -1
	s_delay_alu instid0(VALU_DEP_1)
	v_add3_u32 v5, 0, v5, 0x10000
	ds_add_f32 v5, v7
.LBB92_38:                              ;   in Loop: Header=BB92_32 Depth=2
	s_or_b32 exec_lo, exec_lo, s14
	s_delay_alu instid0(SALU_CYCLE_1) | instskip(SKIP_1) | instid1(SALU_CYCLE_1)
	s_and_not1_b32 s11, s11, exec_lo
	s_and_b32 s13, s13, exec_lo
	s_or_b32 s11, s11, s13
.LBB92_39:                              ;   in Loop: Header=BB92_32 Depth=2
	s_or_b32 exec_lo, exec_lo, s12
	s_delay_alu instid0(SALU_CYCLE_1)
	s_and_b32 s11, s11, exec_lo
.LBB92_40:                              ;   in Loop: Header=BB92_32 Depth=2
	s_and_not1_saveexec_b32 s10, s10
	s_cbranch_execz .LBB92_31
; %bb.41:                               ;   in Loop: Header=BB92_32 Depth=2
	v_lshlrev_b32_e32 v5, 2, v8
	s_and_not1_b32 s11, s11, exec_lo
	s_delay_alu instid0(VALU_DEP_1)
	v_add3_u32 v5, 0, v5, 0x10000
	ds_add_f32 v5, v7
	s_branch .LBB92_31
.LBB92_42:
	s_or_b32 exec_lo, exec_lo, s7
.LBB92_43:
	v_mbcnt_lo_u32_b32 v1, -1, 0
	v_lshrrev_b32_e32 v2, 2, v0
	s_add_i32 s71, 0, 0x180f8
	v_cmp_eq_u32_e32 vcc_lo, 0x3ff, v0
	v_cmp_lt_u32_e64 s0, 31, v0
	v_xor_b32_e32 v1, 63, v1
	v_dual_mov_b32 v14, s71 :: v_dual_and_b32 v3, 0xf8, v2
	v_cmp_lt_u32_e64 s1, 63, v0
	v_cmp_lt_u32_e64 s2, 0x5f, v0
	s_delay_alu instid0(VALU_DEP_4) | instskip(NEXT) | instid1(VALU_DEP_4)
	v_lshrrev_b64 v[1:2], v1, -1
	v_add3_u32 v10, 0, 0x18000, v3
	v_dual_mov_b32 v2, 0 :: v_dual_mov_b32 v5, 0
	v_cmp_lt_u32_e64 s3, 0x7f, v0
	v_cmp_lt_u32_e64 s4, 0x9f, v0
	;; [unrolled: 1-line block ×28, first 2 shown]
	v_or_b32_e32 v13, 0xfffffc00, v0
	v_mov_b32_e32 v3, 0
	s_mov_b32 s39, 0
	s_add_i32 s44, 0, 0x18000
	s_add_i32 s45, 0, 0x18008
	;; [unrolled: 1-line block ×31, first 2 shown]
	s_waitcnt lgkmcnt(0)
	s_barrier
	buffer_gl0_inv
	s_branch .LBB92_45
.LBB92_44:                              ;   in Loop: Header=BB92_45 Depth=1
	s_or_b32 exec_lo, exec_lo, s31
	s_waitcnt lgkmcnt(0)
	s_barrier
	buffer_gl0_inv
	ds_load_b64 v[6:7], v14
	v_add_nc_u32_e32 v13, 0x400, v13
	v_add_nc_u32_e32 v11, 0x1000, v11
	;; [unrolled: 1-line block ×3, first 2 shown]
	s_delay_alu instid0(VALU_DEP_3) | instskip(NEXT) | instid1(VALU_DEP_1)
	v_cmp_lt_u32_e64 s31, 0x1bff, v13
	s_or_b32 s39, s31, s39
	s_waitcnt lgkmcnt(0)
	v_add_co_u32 v2, s33, v6, v2
	s_delay_alu instid0(VALU_DEP_1)
	v_add_co_ci_u32_e64 v3, s33, v7, v3, s33
	s_and_not1_b32 exec_lo, exec_lo, s39
	s_cbranch_execz .LBB92_111
.LBB92_45:                              ; =>This Inner Loop Header: Depth=1
	ds_load_b64 v[6:7], v12
	ds_load_b32 v15, v11
	s_waitcnt lgkmcnt(0)
	s_barrier
	buffer_gl0_inv
	v_cmp_gt_i64_e64 s31, s[34:35], v[6:7]
	s_delay_alu instid0(VALU_DEP_1) | instskip(SKIP_1) | instid1(SALU_CYCLE_1)
	v_and_b32_e32 v8, s31, v1
	s_bcnt1_i32_b32 s33, s31
	v_mov_b32_e32 v4, s33
	s_delay_alu instid0(VALU_DEP_2)
	v_bcnt_u32_b32 v8, v8, 0
	ds_store_b64 v10, v[4:5]
	s_waitcnt lgkmcnt(0)
	s_barrier
	buffer_gl0_inv
	s_and_saveexec_b32 s33, s0
	s_cbranch_execnz .LBB92_78
; %bb.46:                               ;   in Loop: Header=BB92_45 Depth=1
	s_or_b32 exec_lo, exec_lo, s33
	s_and_saveexec_b32 s33, s1
	s_cbranch_execnz .LBB92_79
.LBB92_47:                              ;   in Loop: Header=BB92_45 Depth=1
	s_or_b32 exec_lo, exec_lo, s33
	s_and_saveexec_b32 s33, s2
	s_cbranch_execnz .LBB92_80
.LBB92_48:                              ;   in Loop: Header=BB92_45 Depth=1
	s_or_b32 exec_lo, exec_lo, s33
	s_and_saveexec_b32 s33, s3
	s_cbranch_execnz .LBB92_81
.LBB92_49:                              ;   in Loop: Header=BB92_45 Depth=1
	s_or_b32 exec_lo, exec_lo, s33
	s_and_saveexec_b32 s33, s4
	s_cbranch_execnz .LBB92_82
.LBB92_50:                              ;   in Loop: Header=BB92_45 Depth=1
	s_or_b32 exec_lo, exec_lo, s33
	s_and_saveexec_b32 s33, s5
	s_cbranch_execnz .LBB92_83
.LBB92_51:                              ;   in Loop: Header=BB92_45 Depth=1
	s_or_b32 exec_lo, exec_lo, s33
	s_and_saveexec_b32 s33, s6
	s_cbranch_execnz .LBB92_84
.LBB92_52:                              ;   in Loop: Header=BB92_45 Depth=1
	s_or_b32 exec_lo, exec_lo, s33
	s_and_saveexec_b32 s33, s7
	s_cbranch_execnz .LBB92_85
.LBB92_53:                              ;   in Loop: Header=BB92_45 Depth=1
	s_or_b32 exec_lo, exec_lo, s33
	s_and_saveexec_b32 s33, s8
	s_cbranch_execnz .LBB92_86
.LBB92_54:                              ;   in Loop: Header=BB92_45 Depth=1
	s_or_b32 exec_lo, exec_lo, s33
	s_and_saveexec_b32 s33, s9
	s_cbranch_execnz .LBB92_87
.LBB92_55:                              ;   in Loop: Header=BB92_45 Depth=1
	s_or_b32 exec_lo, exec_lo, s33
	s_and_saveexec_b32 s33, s10
	s_cbranch_execnz .LBB92_88
.LBB92_56:                              ;   in Loop: Header=BB92_45 Depth=1
	s_or_b32 exec_lo, exec_lo, s33
	s_and_saveexec_b32 s33, s11
	s_cbranch_execnz .LBB92_89
.LBB92_57:                              ;   in Loop: Header=BB92_45 Depth=1
	s_or_b32 exec_lo, exec_lo, s33
	s_and_saveexec_b32 s33, s12
	s_cbranch_execnz .LBB92_90
.LBB92_58:                              ;   in Loop: Header=BB92_45 Depth=1
	s_or_b32 exec_lo, exec_lo, s33
	s_and_saveexec_b32 s33, s13
	s_cbranch_execnz .LBB92_91
.LBB92_59:                              ;   in Loop: Header=BB92_45 Depth=1
	s_or_b32 exec_lo, exec_lo, s33
	s_and_saveexec_b32 s33, s14
	s_cbranch_execnz .LBB92_92
.LBB92_60:                              ;   in Loop: Header=BB92_45 Depth=1
	s_or_b32 exec_lo, exec_lo, s33
	s_and_saveexec_b32 s33, s15
	s_cbranch_execnz .LBB92_93
.LBB92_61:                              ;   in Loop: Header=BB92_45 Depth=1
	s_or_b32 exec_lo, exec_lo, s33
	s_and_saveexec_b32 s33, s16
	s_cbranch_execnz .LBB92_94
.LBB92_62:                              ;   in Loop: Header=BB92_45 Depth=1
	s_or_b32 exec_lo, exec_lo, s33
	s_and_saveexec_b32 s33, s17
	s_cbranch_execnz .LBB92_95
.LBB92_63:                              ;   in Loop: Header=BB92_45 Depth=1
	s_or_b32 exec_lo, exec_lo, s33
	s_and_saveexec_b32 s33, s18
	s_cbranch_execnz .LBB92_96
.LBB92_64:                              ;   in Loop: Header=BB92_45 Depth=1
	s_or_b32 exec_lo, exec_lo, s33
	s_and_saveexec_b32 s33, s19
	s_cbranch_execnz .LBB92_97
.LBB92_65:                              ;   in Loop: Header=BB92_45 Depth=1
	s_or_b32 exec_lo, exec_lo, s33
	s_and_saveexec_b32 s33, s20
	s_cbranch_execnz .LBB92_98
.LBB92_66:                              ;   in Loop: Header=BB92_45 Depth=1
	s_or_b32 exec_lo, exec_lo, s33
	s_and_saveexec_b32 s33, s21
	s_cbranch_execnz .LBB92_99
.LBB92_67:                              ;   in Loop: Header=BB92_45 Depth=1
	s_or_b32 exec_lo, exec_lo, s33
	s_and_saveexec_b32 s33, s22
	s_cbranch_execnz .LBB92_100
.LBB92_68:                              ;   in Loop: Header=BB92_45 Depth=1
	s_or_b32 exec_lo, exec_lo, s33
	s_and_saveexec_b32 s33, s23
	s_cbranch_execnz .LBB92_101
.LBB92_69:                              ;   in Loop: Header=BB92_45 Depth=1
	s_or_b32 exec_lo, exec_lo, s33
	s_and_saveexec_b32 s33, s24
	s_cbranch_execnz .LBB92_102
.LBB92_70:                              ;   in Loop: Header=BB92_45 Depth=1
	s_or_b32 exec_lo, exec_lo, s33
	s_and_saveexec_b32 s33, s25
	s_cbranch_execnz .LBB92_103
.LBB92_71:                              ;   in Loop: Header=BB92_45 Depth=1
	s_or_b32 exec_lo, exec_lo, s33
	s_and_saveexec_b32 s33, s26
	s_cbranch_execnz .LBB92_104
.LBB92_72:                              ;   in Loop: Header=BB92_45 Depth=1
	s_or_b32 exec_lo, exec_lo, s33
	s_and_saveexec_b32 s33, s27
	s_cbranch_execnz .LBB92_105
.LBB92_73:                              ;   in Loop: Header=BB92_45 Depth=1
	s_or_b32 exec_lo, exec_lo, s33
	s_and_saveexec_b32 s33, s28
	s_cbranch_execnz .LBB92_106
.LBB92_74:                              ;   in Loop: Header=BB92_45 Depth=1
	s_or_b32 exec_lo, exec_lo, s33
	s_and_saveexec_b32 s33, s29
	s_cbranch_execnz .LBB92_107
.LBB92_75:                              ;   in Loop: Header=BB92_45 Depth=1
	s_or_b32 exec_lo, exec_lo, s33
	s_and_saveexec_b32 s33, s30
	s_cbranch_execnz .LBB92_108
.LBB92_76:                              ;   in Loop: Header=BB92_45 Depth=1
	s_or_b32 exec_lo, exec_lo, s33
	v_ashrrev_i32_e32 v9, 31, v8
	s_and_saveexec_b32 s33, s31
	s_cbranch_execnz .LBB92_109
.LBB92_77:                              ;   in Loop: Header=BB92_45 Depth=1
	s_or_b32 exec_lo, exec_lo, s33
	s_and_saveexec_b32 s31, vcc_lo
	s_cbranch_execz .LBB92_44
	s_branch .LBB92_110
.LBB92_78:                              ;   in Loop: Header=BB92_45 Depth=1
	v_mov_b32_e32 v4, s44
	ds_load_b32 v4, v4
	s_waitcnt lgkmcnt(0)
	v_add_nc_u32_e32 v8, v4, v8
	s_or_b32 exec_lo, exec_lo, s33
	s_and_saveexec_b32 s33, s1
	s_cbranch_execz .LBB92_47
.LBB92_79:                              ;   in Loop: Header=BB92_45 Depth=1
	v_mov_b32_e32 v4, s45
	ds_load_b32 v4, v4
	s_waitcnt lgkmcnt(0)
	v_add_nc_u32_e32 v8, v8, v4
	s_or_b32 exec_lo, exec_lo, s33
	s_and_saveexec_b32 s33, s2
	s_cbranch_execz .LBB92_48
.LBB92_80:                              ;   in Loop: Header=BB92_45 Depth=1
	v_mov_b32_e32 v4, s46
	ds_load_b32 v4, v4
	s_waitcnt lgkmcnt(0)
	v_add_nc_u32_e32 v8, v8, v4
	s_or_b32 exec_lo, exec_lo, s33
	s_and_saveexec_b32 s33, s3
	s_cbranch_execz .LBB92_49
.LBB92_81:                              ;   in Loop: Header=BB92_45 Depth=1
	v_mov_b32_e32 v4, s47
	ds_load_b32 v4, v4
	s_waitcnt lgkmcnt(0)
	v_add_nc_u32_e32 v8, v8, v4
	s_or_b32 exec_lo, exec_lo, s33
	s_and_saveexec_b32 s33, s4
	s_cbranch_execz .LBB92_50
.LBB92_82:                              ;   in Loop: Header=BB92_45 Depth=1
	v_mov_b32_e32 v4, s48
	ds_load_b32 v4, v4
	s_waitcnt lgkmcnt(0)
	v_add_nc_u32_e32 v8, v8, v4
	s_or_b32 exec_lo, exec_lo, s33
	s_and_saveexec_b32 s33, s5
	s_cbranch_execz .LBB92_51
.LBB92_83:                              ;   in Loop: Header=BB92_45 Depth=1
	v_mov_b32_e32 v4, s49
	ds_load_b32 v4, v4
	s_waitcnt lgkmcnt(0)
	v_add_nc_u32_e32 v8, v8, v4
	s_or_b32 exec_lo, exec_lo, s33
	s_and_saveexec_b32 s33, s6
	s_cbranch_execz .LBB92_52
.LBB92_84:                              ;   in Loop: Header=BB92_45 Depth=1
	v_mov_b32_e32 v4, s50
	ds_load_b32 v4, v4
	s_waitcnt lgkmcnt(0)
	v_add_nc_u32_e32 v8, v8, v4
	s_or_b32 exec_lo, exec_lo, s33
	s_and_saveexec_b32 s33, s7
	s_cbranch_execz .LBB92_53
.LBB92_85:                              ;   in Loop: Header=BB92_45 Depth=1
	v_mov_b32_e32 v4, s51
	ds_load_b32 v4, v4
	s_waitcnt lgkmcnt(0)
	v_add_nc_u32_e32 v8, v8, v4
	s_or_b32 exec_lo, exec_lo, s33
	s_and_saveexec_b32 s33, s8
	s_cbranch_execz .LBB92_54
.LBB92_86:                              ;   in Loop: Header=BB92_45 Depth=1
	v_mov_b32_e32 v4, s52
	ds_load_b32 v4, v4
	s_waitcnt lgkmcnt(0)
	v_add_nc_u32_e32 v8, v8, v4
	s_or_b32 exec_lo, exec_lo, s33
	s_and_saveexec_b32 s33, s9
	s_cbranch_execz .LBB92_55
.LBB92_87:                              ;   in Loop: Header=BB92_45 Depth=1
	v_mov_b32_e32 v4, s53
	ds_load_b32 v4, v4
	s_waitcnt lgkmcnt(0)
	v_add_nc_u32_e32 v8, v8, v4
	s_or_b32 exec_lo, exec_lo, s33
	s_and_saveexec_b32 s33, s10
	s_cbranch_execz .LBB92_56
.LBB92_88:                              ;   in Loop: Header=BB92_45 Depth=1
	v_mov_b32_e32 v4, s54
	ds_load_b32 v4, v4
	s_waitcnt lgkmcnt(0)
	v_add_nc_u32_e32 v8, v8, v4
	s_or_b32 exec_lo, exec_lo, s33
	s_and_saveexec_b32 s33, s11
	s_cbranch_execz .LBB92_57
.LBB92_89:                              ;   in Loop: Header=BB92_45 Depth=1
	v_mov_b32_e32 v4, s55
	ds_load_b32 v4, v4
	s_waitcnt lgkmcnt(0)
	v_add_nc_u32_e32 v8, v8, v4
	s_or_b32 exec_lo, exec_lo, s33
	s_and_saveexec_b32 s33, s12
	s_cbranch_execz .LBB92_58
.LBB92_90:                              ;   in Loop: Header=BB92_45 Depth=1
	v_mov_b32_e32 v4, s56
	ds_load_b32 v4, v4
	s_waitcnt lgkmcnt(0)
	v_add_nc_u32_e32 v8, v8, v4
	s_or_b32 exec_lo, exec_lo, s33
	s_and_saveexec_b32 s33, s13
	s_cbranch_execz .LBB92_59
.LBB92_91:                              ;   in Loop: Header=BB92_45 Depth=1
	v_mov_b32_e32 v4, s57
	ds_load_b32 v4, v4
	s_waitcnt lgkmcnt(0)
	v_add_nc_u32_e32 v8, v8, v4
	s_or_b32 exec_lo, exec_lo, s33
	s_and_saveexec_b32 s33, s14
	s_cbranch_execz .LBB92_60
.LBB92_92:                              ;   in Loop: Header=BB92_45 Depth=1
	v_mov_b32_e32 v4, s58
	ds_load_b32 v4, v4
	s_waitcnt lgkmcnt(0)
	v_add_nc_u32_e32 v8, v8, v4
	s_or_b32 exec_lo, exec_lo, s33
	s_and_saveexec_b32 s33, s15
	s_cbranch_execz .LBB92_61
.LBB92_93:                              ;   in Loop: Header=BB92_45 Depth=1
	v_mov_b32_e32 v4, s59
	ds_load_b32 v4, v4
	s_waitcnt lgkmcnt(0)
	v_add_nc_u32_e32 v8, v8, v4
	s_or_b32 exec_lo, exec_lo, s33
	s_and_saveexec_b32 s33, s16
	s_cbranch_execz .LBB92_62
.LBB92_94:                              ;   in Loop: Header=BB92_45 Depth=1
	v_mov_b32_e32 v4, s60
	ds_load_b32 v4, v4
	s_waitcnt lgkmcnt(0)
	v_add_nc_u32_e32 v8, v8, v4
	s_or_b32 exec_lo, exec_lo, s33
	s_and_saveexec_b32 s33, s17
	s_cbranch_execz .LBB92_63
.LBB92_95:                              ;   in Loop: Header=BB92_45 Depth=1
	v_mov_b32_e32 v4, s61
	ds_load_b32 v4, v4
	s_waitcnt lgkmcnt(0)
	v_add_nc_u32_e32 v8, v8, v4
	s_or_b32 exec_lo, exec_lo, s33
	s_and_saveexec_b32 s33, s18
	s_cbranch_execz .LBB92_64
.LBB92_96:                              ;   in Loop: Header=BB92_45 Depth=1
	v_mov_b32_e32 v4, s62
	ds_load_b32 v4, v4
	s_waitcnt lgkmcnt(0)
	v_add_nc_u32_e32 v8, v8, v4
	s_or_b32 exec_lo, exec_lo, s33
	s_and_saveexec_b32 s33, s19
	s_cbranch_execz .LBB92_65
.LBB92_97:                              ;   in Loop: Header=BB92_45 Depth=1
	v_mov_b32_e32 v4, s63
	ds_load_b32 v4, v4
	s_waitcnt lgkmcnt(0)
	v_add_nc_u32_e32 v8, v8, v4
	s_or_b32 exec_lo, exec_lo, s33
	s_and_saveexec_b32 s33, s20
	s_cbranch_execz .LBB92_66
.LBB92_98:                              ;   in Loop: Header=BB92_45 Depth=1
	v_mov_b32_e32 v4, s64
	ds_load_b32 v4, v4
	s_waitcnt lgkmcnt(0)
	v_add_nc_u32_e32 v8, v8, v4
	s_or_b32 exec_lo, exec_lo, s33
	s_and_saveexec_b32 s33, s21
	s_cbranch_execz .LBB92_67
.LBB92_99:                              ;   in Loop: Header=BB92_45 Depth=1
	v_mov_b32_e32 v4, s65
	ds_load_b32 v4, v4
	s_waitcnt lgkmcnt(0)
	v_add_nc_u32_e32 v8, v8, v4
	s_or_b32 exec_lo, exec_lo, s33
	s_and_saveexec_b32 s33, s22
	s_cbranch_execz .LBB92_68
.LBB92_100:                             ;   in Loop: Header=BB92_45 Depth=1
	v_mov_b32_e32 v4, s66
	ds_load_b32 v4, v4
	s_waitcnt lgkmcnt(0)
	v_add_nc_u32_e32 v8, v8, v4
	s_or_b32 exec_lo, exec_lo, s33
	s_and_saveexec_b32 s33, s23
	s_cbranch_execz .LBB92_69
.LBB92_101:                             ;   in Loop: Header=BB92_45 Depth=1
	v_mov_b32_e32 v4, s67
	ds_load_b32 v4, v4
	s_waitcnt lgkmcnt(0)
	v_add_nc_u32_e32 v8, v8, v4
	s_or_b32 exec_lo, exec_lo, s33
	s_and_saveexec_b32 s33, s24
	s_cbranch_execz .LBB92_70
.LBB92_102:                             ;   in Loop: Header=BB92_45 Depth=1
	v_mov_b32_e32 v4, s68
	ds_load_b32 v4, v4
	s_waitcnt lgkmcnt(0)
	v_add_nc_u32_e32 v8, v8, v4
	s_or_b32 exec_lo, exec_lo, s33
	s_and_saveexec_b32 s33, s25
	s_cbranch_execz .LBB92_71
.LBB92_103:                             ;   in Loop: Header=BB92_45 Depth=1
	v_mov_b32_e32 v4, s69
	ds_load_b32 v4, v4
	s_waitcnt lgkmcnt(0)
	v_add_nc_u32_e32 v8, v8, v4
	s_or_b32 exec_lo, exec_lo, s33
	s_and_saveexec_b32 s33, s26
	s_cbranch_execz .LBB92_72
.LBB92_104:                             ;   in Loop: Header=BB92_45 Depth=1
	v_mov_b32_e32 v4, s70
	ds_load_b32 v4, v4
	s_waitcnt lgkmcnt(0)
	v_add_nc_u32_e32 v8, v8, v4
	s_or_b32 exec_lo, exec_lo, s33
	s_and_saveexec_b32 s33, s27
	s_cbranch_execz .LBB92_73
.LBB92_105:                             ;   in Loop: Header=BB92_45 Depth=1
	v_mov_b32_e32 v4, s72
	ds_load_b32 v4, v4
	s_waitcnt lgkmcnt(0)
	v_add_nc_u32_e32 v8, v8, v4
	s_or_b32 exec_lo, exec_lo, s33
	s_and_saveexec_b32 s33, s28
	s_cbranch_execz .LBB92_74
.LBB92_106:                             ;   in Loop: Header=BB92_45 Depth=1
	v_mov_b32_e32 v4, s73
	ds_load_b32 v4, v4
	s_waitcnt lgkmcnt(0)
	v_add_nc_u32_e32 v8, v8, v4
	s_or_b32 exec_lo, exec_lo, s33
	s_and_saveexec_b32 s33, s29
	s_cbranch_execz .LBB92_75
.LBB92_107:                             ;   in Loop: Header=BB92_45 Depth=1
	v_mov_b32_e32 v4, s74
	ds_load_b32 v4, v4
	s_waitcnt lgkmcnt(0)
	v_add_nc_u32_e32 v8, v8, v4
	s_or_b32 exec_lo, exec_lo, s33
	s_and_saveexec_b32 s33, s30
	s_cbranch_execz .LBB92_76
.LBB92_108:                             ;   in Loop: Header=BB92_45 Depth=1
	v_mov_b32_e32 v4, s75
	ds_load_b32 v4, v4
	s_waitcnt lgkmcnt(0)
	v_add_nc_u32_e32 v8, v8, v4
	s_or_b32 exec_lo, exec_lo, s33
	s_delay_alu instid0(VALU_DEP_1)
	v_ashrrev_i32_e32 v9, 31, v8
	s_and_saveexec_b32 s33, s31
	s_cbranch_execz .LBB92_77
.LBB92_109:                             ;   in Loop: Header=BB92_45 Depth=1
	v_add3_u32 v4, v2, -1, v8
	s_delay_alu instid0(VALU_DEP_1) | instskip(SKIP_1) | instid1(VALU_DEP_2)
	v_lshlrev_b32_e32 v16, 2, v4
	v_lshl_add_u32 v4, v4, 3, 0
	v_add3_u32 v16, 0, v16, 0x10000
	ds_store_b64 v4, v[6:7]
	ds_store_b32 v16, v15
	s_or_b32 exec_lo, exec_lo, s33
	s_and_saveexec_b32 s31, vcc_lo
	s_cbranch_execz .LBB92_44
.LBB92_110:                             ;   in Loop: Header=BB92_45 Depth=1
	v_mov_b32_e32 v4, s71
	ds_store_b64 v4, v[8:9]
	s_branch .LBB92_44
.LBB92_111:
	s_or_b32 exec_lo, exec_lo, s39
	s_lshl_b64 s[0:1], s[40:41], 3
	v_mov_b32_e32 v1, 0
	s_add_u32 s0, s42, s0
	s_addc_u32 s1, s43, s1
	s_mov_b32 s6, exec_lo
	s_load_b128 s[0:3], s[0:1], 0x0
	s_waitcnt lgkmcnt(0)
	s_sub_u32 s4, s2, s0
	s_subb_u32 s5, s3, s1
	s_delay_alu instid0(SALU_CYCLE_1)
	v_cmpx_gt_i64_e64 s[4:5], v[0:1]
	s_cbranch_execz .LBB92_121
; %bb.112:
	s_sub_u32 s8, s0, s38
	s_subb_u32 s9, s1, 0
	s_and_b32 s6, s4, 7
	s_sub_u32 s0, s0, s2
	s_subb_u32 s1, s1, s3
	s_mov_b32 s7, 0
	v_cmp_lt_u64_e64 s12, s[0:1], -7
	s_and_b32 s2, s4, -8
	s_cmp_lg_u64 s[6:7], 0
	s_mov_b32 s3, s5
	s_cselect_b32 s13, -1, 0
	s_mov_b32 s14, s7
	s_branch .LBB92_114
.LBB92_113:                             ;   in Loop: Header=BB92_114 Depth=1
	v_add_co_u32 v0, vcc_lo, 0x400, v0
	v_add_co_ci_u32_e32 v1, vcc_lo, 0, v1, vcc_lo
	s_waitcnt lgkmcnt(1)
	v_lshlrev_b64 v[2:3], 2, v[4:5]
	s_delay_alu instid0(VALU_DEP_2) | instskip(NEXT) | instid1(VALU_DEP_2)
	v_cmp_le_i64_e32 vcc_lo, s[4:5], v[0:1]
	v_add_co_u32 v2, s0, s36, v2
	s_delay_alu instid0(VALU_DEP_1)
	v_add_co_ci_u32_e64 v3, s0, s37, v3, s0
	s_or_b32 s14, vcc_lo, s14
	s_waitcnt lgkmcnt(0)
	global_store_b32 v[2:3], v6, off
	s_and_not1_b32 exec_lo, exec_lo, s14
	s_cbranch_execz .LBB92_121
.LBB92_114:                             ; =>This Loop Header: Depth=1
                                        ;     Child Loop BB92_116 Depth 2
                                        ;     Child Loop BB92_120 Depth 2
	v_lshlrev_b32_e32 v2, 2, v0
	v_lshl_add_u32 v3, v0, 3, 0
	s_and_not1_b32 vcc_lo, exec_lo, s12
	s_mov_b64 s[0:1], 0
	s_delay_alu instid0(VALU_DEP_2)
	v_add3_u32 v4, 0, v2, 0x10000
	ds_load_b64 v[2:3], v3
	ds_load_b32 v6, v4
	v_dual_mov_b32 v4, s8 :: v_dual_mov_b32 v5, s9
	s_cbranch_vccnz .LBB92_118
; %bb.115:                              ;   in Loop: Header=BB92_114 Depth=1
	v_dual_mov_b32 v4, s8 :: v_dual_mov_b32 v5, s9
	s_mov_b64 s[10:11], 0
	s_mov_b32 s1, 0
.LBB92_116:                             ;   Parent Loop BB92_114 Depth=1
                                        ; =>  This Inner Loop Header: Depth=2
	s_delay_alu instid0(SALU_CYCLE_1)
	v_mov_b32_e32 v19, s1
	s_add_u32 s10, s10, 8
	s_addc_u32 s11, s11, 0
	s_add_i32 s1, s1, 64
	s_cmp_eq_u64 s[2:3], s[10:11]
	ds_load_2addr_b64 v[7:10], v19 offset1:1
	ds_load_2addr_b64 v[11:14], v19 offset0:2 offset1:3
	ds_load_2addr_b64 v[15:18], v19 offset0:4 offset1:5
	;; [unrolled: 1-line block ×3, first 2 shown]
	s_waitcnt lgkmcnt(3)
	v_cmp_gt_i64_e32 vcc_lo, v[2:3], v[7:8]
	v_cndmask_b32_e64 v7, 0, 1, vcc_lo
	v_cmp_gt_i64_e32 vcc_lo, v[2:3], v[9:10]
	v_cndmask_b32_e64 v8, 0, 1, vcc_lo
	s_waitcnt lgkmcnt(2)
	v_cmp_gt_i64_e32 vcc_lo, v[2:3], v[11:12]
	v_cndmask_b32_e64 v9, 0, 1, vcc_lo
	v_cmp_gt_i64_e32 vcc_lo, v[2:3], v[13:14]
	v_cndmask_b32_e64 v10, 0, 1, vcc_lo
	s_waitcnt lgkmcnt(1)
	v_cmp_gt_i64_e32 vcc_lo, v[2:3], v[15:16]
	v_cndmask_b32_e64 v11, 0, 1, vcc_lo
	v_add_co_u32 v4, vcc_lo, v4, v7
	v_add_co_ci_u32_e32 v5, vcc_lo, 0, v5, vcc_lo
	v_cmp_gt_i64_e32 vcc_lo, v[2:3], v[17:18]
	s_delay_alu instid0(VALU_DEP_3) | instskip(NEXT) | instid1(VALU_DEP_1)
	v_add_co_u32 v4, s0, v4, v8
	v_add_co_ci_u32_e64 v5, s0, 0, v5, s0
	v_cndmask_b32_e64 v7, 0, 1, vcc_lo
	s_delay_alu instid0(VALU_DEP_3) | instskip(NEXT) | instid1(VALU_DEP_3)
	v_add_co_u32 v4, vcc_lo, v4, v9
	v_add_co_ci_u32_e32 v5, vcc_lo, 0, v5, vcc_lo
	s_waitcnt lgkmcnt(0)
	v_cmp_gt_i64_e32 vcc_lo, v[2:3], v[19:20]
	s_delay_alu instid0(VALU_DEP_3) | instskip(NEXT) | instid1(VALU_DEP_1)
	v_add_co_u32 v4, s0, v4, v10
	v_add_co_ci_u32_e64 v5, s0, 0, v5, s0
	v_cndmask_b32_e64 v8, 0, 1, vcc_lo
	s_delay_alu instid0(VALU_DEP_3) | instskip(NEXT) | instid1(VALU_DEP_3)
	v_add_co_u32 v4, vcc_lo, v4, v11
	v_add_co_ci_u32_e32 v5, vcc_lo, 0, v5, vcc_lo
	v_cmp_gt_i64_e32 vcc_lo, v[2:3], v[21:22]
	s_delay_alu instid0(VALU_DEP_3) | instskip(NEXT) | instid1(VALU_DEP_1)
	v_add_co_u32 v4, s0, v4, v7
	v_add_co_ci_u32_e64 v5, s0, 0, v5, s0
	v_cndmask_b32_e64 v7, 0, 1, vcc_lo
	s_delay_alu instid0(VALU_DEP_3) | instskip(NEXT) | instid1(VALU_DEP_3)
	v_add_co_u32 v4, vcc_lo, v4, v8
	v_add_co_ci_u32_e32 v5, vcc_lo, 0, v5, vcc_lo
	s_delay_alu instid0(VALU_DEP_2) | instskip(NEXT) | instid1(VALU_DEP_2)
	v_add_co_u32 v4, vcc_lo, v4, v7
	v_add_co_ci_u32_e32 v5, vcc_lo, 0, v5, vcc_lo
	s_cbranch_scc0 .LBB92_116
; %bb.117:                              ;   in Loop: Header=BB92_114 Depth=1
	s_mov_b64 s[0:1], s[2:3]
.LBB92_118:                             ;   in Loop: Header=BB92_114 Depth=1
	s_and_not1_b32 vcc_lo, exec_lo, s13
	s_cbranch_vccnz .LBB92_113
; %bb.119:                              ;   in Loop: Header=BB92_114 Depth=1
	s_lshl_b32 s0, s0, 3
	s_delay_alu instid0(SALU_CYCLE_1)
	s_add_i32 s10, s0, 0
	s_mov_b64 s[0:1], s[6:7]
.LBB92_120:                             ;   Parent Loop BB92_114 Depth=1
                                        ; =>  This Inner Loop Header: Depth=2
	v_mov_b32_e32 v7, s10
	s_add_i32 s10, s10, 8
	s_add_u32 s0, s0, -1
	s_addc_u32 s1, s1, -1
	s_delay_alu instid0(SALU_CYCLE_1) | instskip(SKIP_4) | instid1(VALU_DEP_1)
	s_cmp_lg_u64 s[0:1], 0
	ds_load_b64 v[7:8], v7
	s_waitcnt lgkmcnt(0)
	v_cmp_gt_i64_e32 vcc_lo, v[2:3], v[7:8]
	v_cndmask_b32_e64 v7, 0, 1, vcc_lo
	v_add_co_u32 v4, vcc_lo, v4, v7
	v_add_co_ci_u32_e32 v5, vcc_lo, 0, v5, vcc_lo
	s_cbranch_scc1 .LBB92_120
	s_branch .LBB92_113
.LBB92_121:
	s_nop 0
	s_sendmsg sendmsg(MSG_DEALLOC_VGPRS)
	s_endpgm
	.section	.rodata,"a",@progbits
	.p2align	6, 0x0
	.amdhsa_kernel _ZN9rocsparseL41csrgemm_numeric_fill_block_per_row_kernelILj1024ELj64ELj8192ELj137ELj32EllfEEvT5_PKS1_S3_NS_24const_host_device_scalarIT6_EEPKT4_S3_PKS5_S9_S3_SB_S6_S9_S3_SB_S9_S3_PS5_21rocsparse_index_base_SD_SD_SD_bbb
		.amdhsa_group_segment_fixed_size 0
		.amdhsa_private_segment_fixed_size 0
		.amdhsa_kernarg_size 156
		.amdhsa_user_sgpr_count 15
		.amdhsa_user_sgpr_dispatch_ptr 0
		.amdhsa_user_sgpr_queue_ptr 0
		.amdhsa_user_sgpr_kernarg_segment_ptr 1
		.amdhsa_user_sgpr_dispatch_id 0
		.amdhsa_user_sgpr_private_segment_size 0
		.amdhsa_wavefront_size32 1
		.amdhsa_uses_dynamic_stack 0
		.amdhsa_enable_private_segment 0
		.amdhsa_system_sgpr_workgroup_id_x 1
		.amdhsa_system_sgpr_workgroup_id_y 0
		.amdhsa_system_sgpr_workgroup_id_z 0
		.amdhsa_system_sgpr_workgroup_info 0
		.amdhsa_system_vgpr_workitem_id 0
		.amdhsa_next_free_vgpr 23
		.amdhsa_next_free_sgpr 76
		.amdhsa_reserve_vcc 1
		.amdhsa_float_round_mode_32 0
		.amdhsa_float_round_mode_16_64 0
		.amdhsa_float_denorm_mode_32 3
		.amdhsa_float_denorm_mode_16_64 3
		.amdhsa_dx10_clamp 1
		.amdhsa_ieee_mode 1
		.amdhsa_fp16_overflow 0
		.amdhsa_workgroup_processor_mode 1
		.amdhsa_memory_ordered 1
		.amdhsa_forward_progress 0
		.amdhsa_shared_vgpr_count 0
		.amdhsa_exception_fp_ieee_invalid_op 0
		.amdhsa_exception_fp_denorm_src 0
		.amdhsa_exception_fp_ieee_div_zero 0
		.amdhsa_exception_fp_ieee_overflow 0
		.amdhsa_exception_fp_ieee_underflow 0
		.amdhsa_exception_fp_ieee_inexact 0
		.amdhsa_exception_int_div_zero 0
	.end_amdhsa_kernel
	.section	.text._ZN9rocsparseL41csrgemm_numeric_fill_block_per_row_kernelILj1024ELj64ELj8192ELj137ELj32EllfEEvT5_PKS1_S3_NS_24const_host_device_scalarIT6_EEPKT4_S3_PKS5_S9_S3_SB_S6_S9_S3_SB_S9_S3_PS5_21rocsparse_index_base_SD_SD_SD_bbb,"axG",@progbits,_ZN9rocsparseL41csrgemm_numeric_fill_block_per_row_kernelILj1024ELj64ELj8192ELj137ELj32EllfEEvT5_PKS1_S3_NS_24const_host_device_scalarIT6_EEPKT4_S3_PKS5_S9_S3_SB_S6_S9_S3_SB_S9_S3_PS5_21rocsparse_index_base_SD_SD_SD_bbb,comdat
.Lfunc_end92:
	.size	_ZN9rocsparseL41csrgemm_numeric_fill_block_per_row_kernelILj1024ELj64ELj8192ELj137ELj32EllfEEvT5_PKS1_S3_NS_24const_host_device_scalarIT6_EEPKT4_S3_PKS5_S9_S3_SB_S6_S9_S3_SB_S9_S3_PS5_21rocsparse_index_base_SD_SD_SD_bbb, .Lfunc_end92-_ZN9rocsparseL41csrgemm_numeric_fill_block_per_row_kernelILj1024ELj64ELj8192ELj137ELj32EllfEEvT5_PKS1_S3_NS_24const_host_device_scalarIT6_EEPKT4_S3_PKS5_S9_S3_SB_S6_S9_S3_SB_S9_S3_PS5_21rocsparse_index_base_SD_SD_SD_bbb
                                        ; -- End function
	.section	.AMDGPU.csdata,"",@progbits
; Kernel info:
; codeLenInByte = 4904
; NumSgprs: 78
; NumVgprs: 23
; ScratchSize: 0
; MemoryBound: 0
; FloatMode: 240
; IeeeMode: 1
; LDSByteSize: 0 bytes/workgroup (compile time only)
; SGPRBlocks: 9
; VGPRBlocks: 2
; NumSGPRsForWavesPerEU: 78
; NumVGPRsForWavesPerEU: 23
; Occupancy: 16
; WaveLimiterHint : 1
; COMPUTE_PGM_RSRC2:SCRATCH_EN: 0
; COMPUTE_PGM_RSRC2:USER_SGPR: 15
; COMPUTE_PGM_RSRC2:TRAP_HANDLER: 0
; COMPUTE_PGM_RSRC2:TGID_X_EN: 1
; COMPUTE_PGM_RSRC2:TGID_Y_EN: 0
; COMPUTE_PGM_RSRC2:TGID_Z_EN: 0
; COMPUTE_PGM_RSRC2:TIDIG_COMP_CNT: 0
	.section	.text._ZN9rocsparseL41csrgemm_numeric_fill_block_per_row_kernelILj1024ELj64ELj8192ELj137ELj64EllfEEvT5_PKS1_S3_NS_24const_host_device_scalarIT6_EEPKT4_S3_PKS5_S9_S3_SB_S6_S9_S3_SB_S9_S3_PS5_21rocsparse_index_base_SD_SD_SD_bbb,"axG",@progbits,_ZN9rocsparseL41csrgemm_numeric_fill_block_per_row_kernelILj1024ELj64ELj8192ELj137ELj64EllfEEvT5_PKS1_S3_NS_24const_host_device_scalarIT6_EEPKT4_S3_PKS5_S9_S3_SB_S6_S9_S3_SB_S9_S3_PS5_21rocsparse_index_base_SD_SD_SD_bbb,comdat
	.globl	_ZN9rocsparseL41csrgemm_numeric_fill_block_per_row_kernelILj1024ELj64ELj8192ELj137ELj64EllfEEvT5_PKS1_S3_NS_24const_host_device_scalarIT6_EEPKT4_S3_PKS5_S9_S3_SB_S6_S9_S3_SB_S9_S3_PS5_21rocsparse_index_base_SD_SD_SD_bbb ; -- Begin function _ZN9rocsparseL41csrgemm_numeric_fill_block_per_row_kernelILj1024ELj64ELj8192ELj137ELj64EllfEEvT5_PKS1_S3_NS_24const_host_device_scalarIT6_EEPKT4_S3_PKS5_S9_S3_SB_S6_S9_S3_SB_S9_S3_PS5_21rocsparse_index_base_SD_SD_SD_bbb
	.p2align	8
	.type	_ZN9rocsparseL41csrgemm_numeric_fill_block_per_row_kernelILj1024ELj64ELj8192ELj137ELj64EllfEEvT5_PKS1_S3_NS_24const_host_device_scalarIT6_EEPKT4_S3_PKS5_S9_S3_SB_S6_S9_S3_SB_S9_S3_PS5_21rocsparse_index_base_SD_SD_SD_bbb,@function
_ZN9rocsparseL41csrgemm_numeric_fill_block_per_row_kernelILj1024ELj64ELj8192ELj137ELj64EllfEEvT5_PKS1_S3_NS_24const_host_device_scalarIT6_EEPKT4_S3_PKS5_S9_S3_SB_S6_S9_S3_SB_S9_S3_PS5_21rocsparse_index_base_SD_SD_SD_bbb: ; @_ZN9rocsparseL41csrgemm_numeric_fill_block_per_row_kernelILj1024ELj64ELj8192ELj137ELj64EllfEEvT5_PKS1_S3_NS_24const_host_device_scalarIT6_EEPKT4_S3_PKS5_S9_S3_SB_S6_S9_S3_SB_S9_S3_PS5_21rocsparse_index_base_SD_SD_SD_bbb
; %bb.0:
	s_clause 0x4
	s_load_b32 s3, s[0:1], 0x98
	s_load_b128 s[4:7], s[0:1], 0x8
	s_load_b64 s[10:11], s[0:1], 0x18
	s_load_b128 s[16:19], s[0:1], 0x88
	s_load_b64 s[8:9], s[0:1], 0x50
	s_mov_b32 s2, s15
	s_waitcnt lgkmcnt(0)
	s_bitcmp1_b32 s3, 0
	s_cselect_b32 s12, -1, 0
	s_bitcmp1_b32 s3, 16
	s_cselect_b32 s13, -1, 0
	s_xor_b32 s14, s12, -1
	s_delay_alu instid0(SALU_CYCLE_1) | instskip(NEXT) | instid1(SALU_CYCLE_1)
	s_or_b32 s14, s14, s13
	s_and_b32 vcc_lo, exec_lo, s14
	s_cbranch_vccnz .LBB93_2
; %bb.1:
	s_load_b32 s10, s[10:11], 0x0
	s_waitcnt lgkmcnt(0)
	v_mov_b32_e32 v15, s10
	s_branch .LBB93_3
.LBB93_2:
	v_cndmask_b32_e64 v15, 0, s10, s12
.LBB93_3:
	s_bitcmp1_b32 s3, 8
	s_cselect_b32 s14, -1, 0
	s_delay_alu instid0(SALU_CYCLE_1) | instskip(NEXT) | instid1(SALU_CYCLE_1)
	s_xor_b32 s3, s14, -1
	s_or_b32 s3, s3, s13
	s_delay_alu instid0(SALU_CYCLE_1)
	s_and_b32 vcc_lo, exec_lo, s3
	s_cbranch_vccnz .LBB93_5
; %bb.4:
	s_load_b32 s3, s[8:9], 0x0
	s_waitcnt lgkmcnt(0)
	v_mov_b32_e32 v13, s3
	s_branch .LBB93_6
.LBB93_5:
	v_cndmask_b32_e64 v13, 0, s8, s14
.LBB93_6:
	s_load_b64 s[20:21], s[0:1], 0x0
	v_dual_mov_b32 v14, 0 :: v_dual_lshlrev_b32 v1, 2, v0
	v_lshl_add_u32 v12, v0, 3, 0
	s_mov_b32 s3, 0
	s_delay_alu instid0(VALU_DEP_2)
	v_add3_u32 v11, 0, v1, 0x10000
	ds_store_2addr_stride64_b32 v11, v14, v14 offset1:16
	ds_store_2addr_stride64_b32 v11, v14, v14 offset0:32 offset1:48
	ds_store_2addr_stride64_b32 v11, v14, v14 offset0:64 offset1:80
	s_waitcnt lgkmcnt(0)
	v_dual_mov_b32 v1, s20 :: v_dual_mov_b32 v2, s21
	v_dual_mov_b32 v3, s20 :: v_dual_mov_b32 v4, s21
	;; [unrolled: 1-line block ×8, first 2 shown]
	ds_store_2addr_stride64_b32 v11, v14, v14 offset0:96 offset1:112
	ds_store_2addr_stride64_b64 v12, v[1:2], v[3:4] offset1:16
	ds_store_2addr_stride64_b64 v12, v[5:6], v[7:8] offset0:32 offset1:48
	ds_store_2addr_stride64_b64 v12, v[9:10], v[16:17] offset0:64 offset1:80
	;; [unrolled: 1-line block ×3, first 2 shown]
	s_waitcnt lgkmcnt(0)
	s_barrier
	buffer_gl0_inv
	s_load_b64 s[4:5], s[4:5], 0x0
	v_lshrrev_b32_e32 v14, 6, v0
	s_waitcnt lgkmcnt(0)
	s_lshl_b64 s[4:5], s[4:5], 3
	s_delay_alu instid0(SALU_CYCLE_1) | instskip(SKIP_2) | instid1(SALU_CYCLE_1)
	s_add_u32 s4, s6, s4
	s_addc_u32 s5, s7, s5
	s_lshl_b64 s[2:3], s[2:3], 3
	s_add_u32 s2, s4, s2
	s_addc_u32 s3, s5, s3
	s_and_not1_b32 vcc_lo, exec_lo, s12
	s_load_b64 s[24:25], s[2:3], 0x0
	s_cbranch_vccnz .LBB93_26
; %bb.7:
	s_load_b64 s[2:3], s[0:1], 0x20
	s_waitcnt lgkmcnt(0)
	s_lshl_b64 s[4:5], s[24:25], 3
	s_mov_b32 s15, exec_lo
	s_add_u32 s2, s2, s4
	s_addc_u32 s3, s3, s5
	s_load_b128 s[4:7], s[2:3], 0x0
	v_sub_co_u32 v1, s2, v14, s16
	s_delay_alu instid0(VALU_DEP_1) | instskip(SKIP_1) | instid1(VALU_DEP_2)
	v_sub_co_ci_u32_e64 v2, null, 0, 0, s2
	s_waitcnt lgkmcnt(0)
	v_add_co_u32 v1, vcc_lo, s4, v1
	s_delay_alu instid0(VALU_DEP_2)
	v_add_co_ci_u32_e32 v2, vcc_lo, s5, v2, vcc_lo
	s_sub_u32 s2, s6, s16
	s_subb_u32 s3, s7, 0
	s_delay_alu instid0(VALU_DEP_1) | instid1(SALU_CYCLE_1)
	v_cmpx_gt_i64_e64 s[2:3], v[1:2]
	s_cbranch_execz .LBB93_25
; %bb.8:
	s_clause 0x1
	s_load_b64 s[12:13], s[0:1], 0x48
	s_load_b256 s[4:11], s[0:1], 0x28
	v_and_b32_e32 v3, 63, v0
	s_delay_alu instid0(VALU_DEP_1) | instskip(NEXT) | instid1(VALU_DEP_1)
	v_sub_co_u32 v16, s22, v3, s17
	v_sub_co_ci_u32_e64 v17, null, 0, 0, s22
	s_mov_b32 s22, 0
	s_branch .LBB93_10
.LBB93_9:                               ;   in Loop: Header=BB93_10 Depth=1
	s_or_b32 exec_lo, exec_lo, s23
	v_add_co_u32 v1, vcc_lo, v1, 16
	v_add_co_ci_u32_e32 v2, vcc_lo, 0, v2, vcc_lo
	s_delay_alu instid0(VALU_DEP_1) | instskip(SKIP_1) | instid1(SALU_CYCLE_1)
	v_cmp_le_i64_e32 vcc_lo, s[2:3], v[1:2]
	s_or_b32 s22, vcc_lo, s22
	s_and_not1_b32 exec_lo, exec_lo, s22
	s_cbranch_execz .LBB93_25
.LBB93_10:                              ; =>This Loop Header: Depth=1
                                        ;     Child Loop BB93_13 Depth 2
                                        ;       Child Loop BB93_15 Depth 3
	v_lshlrev_b64 v[3:4], 3, v[1:2]
	s_mov_b32 s23, exec_lo
	s_waitcnt lgkmcnt(0)
	s_delay_alu instid0(VALU_DEP_1) | instskip(NEXT) | instid1(VALU_DEP_2)
	v_add_co_u32 v3, vcc_lo, s4, v3
	v_add_co_ci_u32_e32 v4, vcc_lo, s5, v4, vcc_lo
	global_load_b64 v[3:4], v[3:4], off
	s_waitcnt vmcnt(0)
	v_sub_co_u32 v3, vcc_lo, v3, s16
	v_subrev_co_ci_u32_e32 v4, vcc_lo, 0, v4, vcc_lo
	s_delay_alu instid0(VALU_DEP_1) | instskip(NEXT) | instid1(VALU_DEP_1)
	v_lshlrev_b64 v[3:4], 3, v[3:4]
	v_add_co_u32 v3, vcc_lo, s8, v3
	s_delay_alu instid0(VALU_DEP_2)
	v_add_co_ci_u32_e32 v4, vcc_lo, s9, v4, vcc_lo
	global_load_b128 v[5:8], v[3:4], off
	s_waitcnt vmcnt(0)
	v_sub_co_u32 v3, vcc_lo, v7, s17
	v_subrev_co_ci_u32_e32 v4, vcc_lo, 0, v8, vcc_lo
	v_add_co_u32 v5, vcc_lo, v5, v16
	v_add_co_ci_u32_e32 v6, vcc_lo, v6, v17, vcc_lo
	s_delay_alu instid0(VALU_DEP_1)
	v_cmpx_lt_i64_e64 v[5:6], v[3:4]
	s_cbranch_execz .LBB93_9
; %bb.11:                               ;   in Loop: Header=BB93_10 Depth=1
	v_lshlrev_b64 v[7:8], 2, v[1:2]
	s_mov_b32 s26, 0
	s_delay_alu instid0(VALU_DEP_1) | instskip(NEXT) | instid1(VALU_DEP_2)
	v_add_co_u32 v7, vcc_lo, s6, v7
	v_add_co_ci_u32_e32 v8, vcc_lo, s7, v8, vcc_lo
	global_load_b32 v7, v[7:8], off
	s_waitcnt vmcnt(0)
	v_mul_f32_e32 v18, v15, v7
	s_branch .LBB93_13
.LBB93_12:                              ;   in Loop: Header=BB93_13 Depth=2
	s_or_b32 exec_lo, exec_lo, s27
	v_add_co_u32 v5, vcc_lo, v5, 64
	v_add_co_ci_u32_e32 v6, vcc_lo, 0, v6, vcc_lo
	s_delay_alu instid0(VALU_DEP_1) | instskip(SKIP_1) | instid1(SALU_CYCLE_1)
	v_cmp_ge_i64_e32 vcc_lo, v[5:6], v[3:4]
	s_or_b32 s26, vcc_lo, s26
	s_and_not1_b32 exec_lo, exec_lo, s26
	s_cbranch_execz .LBB93_9
.LBB93_13:                              ;   Parent Loop BB93_10 Depth=1
                                        ; =>  This Loop Header: Depth=2
                                        ;       Child Loop BB93_15 Depth 3
	v_lshlrev_b64 v[7:8], 3, v[5:6]
	v_lshlrev_b64 v[9:10], 2, v[5:6]
	s_mov_b32 s27, 0
	s_delay_alu instid0(VALU_DEP_2) | instskip(NEXT) | instid1(VALU_DEP_3)
	v_add_co_u32 v7, vcc_lo, s10, v7
	v_add_co_ci_u32_e32 v8, vcc_lo, s11, v8, vcc_lo
	s_delay_alu instid0(VALU_DEP_3) | instskip(NEXT) | instid1(VALU_DEP_4)
	v_add_co_u32 v9, vcc_lo, s12, v9
	v_add_co_ci_u32_e32 v10, vcc_lo, s13, v10, vcc_lo
	global_load_b64 v[7:8], v[7:8], off
	global_load_b32 v9, v[9:10], off
	s_waitcnt vmcnt(1)
	v_sub_co_u32 v7, vcc_lo, v7, s17
	v_subrev_co_ci_u32_e32 v8, vcc_lo, 0, v8, vcc_lo
	s_delay_alu instid0(VALU_DEP_2) | instskip(SKIP_1) | instid1(VALU_DEP_1)
	v_mul_lo_u32 v10, 0x89, v7
	s_waitcnt vmcnt(0)
	v_dual_mul_f32 v19, v18, v9 :: v_dual_and_b32 v20, 0x1fff, v10
	s_branch .LBB93_15
.LBB93_14:                              ;   in Loop: Header=BB93_15 Depth=3
	s_or_b32 exec_lo, exec_lo, s28
	s_xor_b32 s28, s29, -1
	s_delay_alu instid0(SALU_CYCLE_1) | instskip(NEXT) | instid1(SALU_CYCLE_1)
	s_and_b32 s28, exec_lo, s28
	s_or_b32 s27, s28, s27
	s_delay_alu instid0(SALU_CYCLE_1)
	s_and_not1_b32 exec_lo, exec_lo, s27
	s_cbranch_execz .LBB93_12
.LBB93_15:                              ;   Parent Loop BB93_10 Depth=1
                                        ;     Parent Loop BB93_13 Depth=2
                                        ; =>    This Inner Loop Header: Depth=3
	s_delay_alu instid0(VALU_DEP_1)
	v_lshl_add_u32 v21, v20, 3, 0
	s_mov_b32 s28, exec_lo
                                        ; implicit-def: $sgpr29
	ds_load_b64 v[9:10], v21
	s_waitcnt lgkmcnt(0)
	v_cmpx_ne_u64_e64 v[9:10], v[7:8]
	s_xor_b32 s28, exec_lo, s28
	s_cbranch_execz .LBB93_23
; %bb.16:                               ;   in Loop: Header=BB93_15 Depth=3
	s_mov_b32 s30, exec_lo
                                        ; implicit-def: $sgpr29
	v_cmpx_ne_u64_e64 s[20:21], v[9:10]
	s_xor_b32 s30, exec_lo, s30
; %bb.17:                               ;   in Loop: Header=BB93_15 Depth=3
	v_add_nc_u32_e32 v9, 1, v20
	s_mov_b32 s29, -1
                                        ; implicit-def: $vgpr21
	s_delay_alu instid0(VALU_DEP_1)
	v_and_b32_e32 v20, 0x1fff, v9
; %bb.18:                               ;   in Loop: Header=BB93_15 Depth=3
	s_and_not1_saveexec_b32 s30, s30
	s_cbranch_execz .LBB93_22
; %bb.19:                               ;   in Loop: Header=BB93_15 Depth=3
	v_dual_mov_b32 v9, s20 :: v_dual_mov_b32 v10, s21
	s_mov_b32 s31, -1
	s_mov_b32 s33, exec_lo
	ds_cmpstore_rtn_b64 v[9:10], v21, v[7:8], v[9:10]
	s_waitcnt lgkmcnt(0)
	v_cmpx_eq_u64_e64 s[20:21], v[9:10]
	s_cbranch_execz .LBB93_21
; %bb.20:                               ;   in Loop: Header=BB93_15 Depth=3
	v_lshlrev_b32_e32 v9, 2, v20
	s_xor_b32 s31, exec_lo, -1
	s_delay_alu instid0(VALU_DEP_1)
	v_add3_u32 v9, 0, v9, 0x10000
	ds_add_f32 v9, v19
.LBB93_21:                              ;   in Loop: Header=BB93_15 Depth=3
	s_or_b32 exec_lo, exec_lo, s33
	s_delay_alu instid0(SALU_CYCLE_1) | instskip(SKIP_1) | instid1(SALU_CYCLE_1)
	s_and_not1_b32 s29, s29, exec_lo
	s_and_b32 s31, s31, exec_lo
	s_or_b32 s29, s29, s31
.LBB93_22:                              ;   in Loop: Header=BB93_15 Depth=3
	s_or_b32 exec_lo, exec_lo, s30
	s_delay_alu instid0(SALU_CYCLE_1)
	s_and_b32 s29, s29, exec_lo
.LBB93_23:                              ;   in Loop: Header=BB93_15 Depth=3
	s_and_not1_saveexec_b32 s28, s28
	s_cbranch_execz .LBB93_14
; %bb.24:                               ;   in Loop: Header=BB93_15 Depth=3
	v_lshlrev_b32_e32 v9, 2, v20
	s_and_not1_b32 s29, s29, exec_lo
	s_delay_alu instid0(VALU_DEP_1)
	v_add3_u32 v9, 0, v9, 0x10000
	ds_add_f32 v9, v19
	s_branch .LBB93_14
.LBB93_25:
	s_or_b32 exec_lo, exec_lo, s15
.LBB93_26:
	s_clause 0x1
	s_load_b64 s[22:23], s[0:1], 0x80
	s_load_b64 s[26:27], s[0:1], 0x70
	s_and_not1_b32 vcc_lo, exec_lo, s14
	s_cbranch_vccnz .LBB93_43
; %bb.27:
	s_load_b64 s[2:3], s[0:1], 0x58
	s_waitcnt lgkmcnt(0)
	s_lshl_b64 s[4:5], s[24:25], 3
	s_delay_alu instid0(SALU_CYCLE_1) | instskip(SKIP_3) | instid1(VALU_DEP_1)
	s_add_u32 s2, s2, s4
	s_addc_u32 s3, s3, s5
	s_load_b128 s[4:7], s[2:3], 0x0
	v_sub_co_u32 v1, s2, v0, s19
	v_sub_co_ci_u32_e64 v2, null, 0, 0, s2
	s_waitcnt lgkmcnt(0)
	s_delay_alu instid0(VALU_DEP_2) | instskip(NEXT) | instid1(VALU_DEP_2)
	v_add_co_u32 v1, vcc_lo, s4, v1
	v_add_co_ci_u32_e32 v2, vcc_lo, s5, v2, vcc_lo
	s_sub_u32 s4, s6, s19
	s_subb_u32 s5, s7, 0
	s_mov_b32 s6, 0
	s_mov_b32 s7, exec_lo
	v_cmpx_gt_i64_e64 s[4:5], v[1:2]
	s_cbranch_execz .LBB93_42
; %bb.28:
	s_load_b128 s[0:3], s[0:1], 0x60
	s_mov_b32 s8, s19
	s_branch .LBB93_30
.LBB93_29:                              ;   in Loop: Header=BB93_30 Depth=1
	s_or_b32 exec_lo, exec_lo, s9
	v_add_co_u32 v1, vcc_lo, 0x400, v1
	v_add_co_ci_u32_e32 v2, vcc_lo, 0, v2, vcc_lo
	s_delay_alu instid0(VALU_DEP_1) | instskip(SKIP_1) | instid1(SALU_CYCLE_1)
	v_cmp_le_i64_e32 vcc_lo, s[4:5], v[1:2]
	s_or_b32 s6, vcc_lo, s6
	s_and_not1_b32 exec_lo, exec_lo, s6
	s_cbranch_execz .LBB93_42
.LBB93_30:                              ; =>This Loop Header: Depth=1
                                        ;     Child Loop BB93_32 Depth 2
	v_lshlrev_b64 v[3:4], 3, v[1:2]
	v_lshlrev_b64 v[5:6], 2, v[1:2]
	s_mov_b32 s9, 0
	s_waitcnt lgkmcnt(0)
	s_delay_alu instid0(VALU_DEP_2) | instskip(NEXT) | instid1(VALU_DEP_3)
	v_add_co_u32 v3, vcc_lo, s0, v3
	v_add_co_ci_u32_e32 v4, vcc_lo, s1, v4, vcc_lo
	s_delay_alu instid0(VALU_DEP_3)
	v_add_co_u32 v5, vcc_lo, s2, v5
	v_add_co_ci_u32_e32 v6, vcc_lo, s3, v6, vcc_lo
	global_load_b64 v[3:4], v[3:4], off
	global_load_b32 v5, v[5:6], off
	s_waitcnt vmcnt(1)
	v_sub_co_u32 v3, vcc_lo, v3, s8
	v_subrev_co_ci_u32_e32 v4, vcc_lo, 0, v4, vcc_lo
	s_delay_alu instid0(VALU_DEP_2) | instskip(SKIP_1) | instid1(VALU_DEP_1)
	v_mul_lo_u32 v6, 0x89, v3
	s_waitcnt vmcnt(0)
	v_dual_mul_f32 v7, v13, v5 :: v_dual_and_b32 v8, 0x1fff, v6
	s_branch .LBB93_32
.LBB93_31:                              ;   in Loop: Header=BB93_32 Depth=2
	s_or_b32 exec_lo, exec_lo, s10
	s_xor_b32 s10, s11, -1
	s_delay_alu instid0(SALU_CYCLE_1) | instskip(NEXT) | instid1(SALU_CYCLE_1)
	s_and_b32 s10, exec_lo, s10
	s_or_b32 s9, s10, s9
	s_delay_alu instid0(SALU_CYCLE_1)
	s_and_not1_b32 exec_lo, exec_lo, s9
	s_cbranch_execz .LBB93_29
.LBB93_32:                              ;   Parent Loop BB93_30 Depth=1
                                        ; =>  This Inner Loop Header: Depth=2
	s_delay_alu instid0(VALU_DEP_1)
	v_lshl_add_u32 v9, v8, 3, 0
	s_mov_b32 s10, exec_lo
                                        ; implicit-def: $sgpr11
	ds_load_b64 v[5:6], v9
	s_waitcnt lgkmcnt(0)
	v_cmpx_ne_u64_e64 v[5:6], v[3:4]
	s_xor_b32 s10, exec_lo, s10
	s_cbranch_execz .LBB93_40
; %bb.33:                               ;   in Loop: Header=BB93_32 Depth=2
	s_mov_b32 s12, exec_lo
                                        ; implicit-def: $sgpr11
	v_cmpx_ne_u64_e64 s[20:21], v[5:6]
	s_xor_b32 s12, exec_lo, s12
; %bb.34:                               ;   in Loop: Header=BB93_32 Depth=2
	v_add_nc_u32_e32 v5, 1, v8
	s_mov_b32 s11, -1
                                        ; implicit-def: $vgpr9
	s_delay_alu instid0(VALU_DEP_1)
	v_and_b32_e32 v8, 0x1fff, v5
; %bb.35:                               ;   in Loop: Header=BB93_32 Depth=2
	s_and_not1_saveexec_b32 s12, s12
	s_cbranch_execz .LBB93_39
; %bb.36:                               ;   in Loop: Header=BB93_32 Depth=2
	v_dual_mov_b32 v5, s20 :: v_dual_mov_b32 v6, s21
	s_mov_b32 s13, -1
	s_mov_b32 s14, exec_lo
	ds_cmpstore_rtn_b64 v[5:6], v9, v[3:4], v[5:6]
	s_waitcnt lgkmcnt(0)
	v_cmpx_eq_u64_e64 s[20:21], v[5:6]
	s_cbranch_execz .LBB93_38
; %bb.37:                               ;   in Loop: Header=BB93_32 Depth=2
	v_lshlrev_b32_e32 v5, 2, v8
	s_xor_b32 s13, exec_lo, -1
	s_delay_alu instid0(VALU_DEP_1)
	v_add3_u32 v5, 0, v5, 0x10000
	ds_add_f32 v5, v7
.LBB93_38:                              ;   in Loop: Header=BB93_32 Depth=2
	s_or_b32 exec_lo, exec_lo, s14
	s_delay_alu instid0(SALU_CYCLE_1) | instskip(SKIP_1) | instid1(SALU_CYCLE_1)
	s_and_not1_b32 s11, s11, exec_lo
	s_and_b32 s13, s13, exec_lo
	s_or_b32 s11, s11, s13
.LBB93_39:                              ;   in Loop: Header=BB93_32 Depth=2
	s_or_b32 exec_lo, exec_lo, s12
	s_delay_alu instid0(SALU_CYCLE_1)
	s_and_b32 s11, s11, exec_lo
.LBB93_40:                              ;   in Loop: Header=BB93_32 Depth=2
	s_and_not1_saveexec_b32 s10, s10
	s_cbranch_execz .LBB93_31
; %bb.41:                               ;   in Loop: Header=BB93_32 Depth=2
	v_lshlrev_b32_e32 v5, 2, v8
	s_and_not1_b32 s11, s11, exec_lo
	s_delay_alu instid0(VALU_DEP_1)
	v_add3_u32 v5, 0, v5, 0x10000
	ds_add_f32 v5, v7
	s_branch .LBB93_31
.LBB93_42:
	s_or_b32 exec_lo, exec_lo, s7
.LBB93_43:
	v_mbcnt_lo_u32_b32 v1, -1, 0
	v_dual_mov_b32 v5, 0 :: v_dual_lshlrev_b32 v2, 3, v14
	s_add_i32 s39, 0, 0x18078
	v_cmp_eq_u32_e32 vcc_lo, 0x3ff, v0
	s_delay_alu instid0(VALU_DEP_3) | instskip(NEXT) | instid1(VALU_DEP_3)
	v_xor_b32_e32 v1, 63, v1
	v_add3_u32 v10, 0, 0x18000, v2
	v_cmp_lt_u32_e64 s0, 63, v0
	v_cmp_lt_u32_e64 s1, 0x7f, v0
	;; [unrolled: 1-line block ×3, first 2 shown]
	v_lshrrev_b64 v[1:2], v1, -1
	v_mov_b32_e32 v2, 0
	v_cmp_lt_u32_e64 s3, 0xff, v0
	v_cmp_lt_u32_e64 s4, 0x13f, v0
	;; [unrolled: 1-line block ×12, first 2 shown]
	v_or_b32_e32 v13, 0xfffffc00, v0
	v_dual_mov_b32 v3, 0 :: v_dual_mov_b32 v14, s39
	s_mov_b32 s17, 0
	s_add_i32 s19, 0, 0x18000
	s_add_i32 s28, 0, 0x18008
	;; [unrolled: 1-line block ×15, first 2 shown]
	s_waitcnt lgkmcnt(0)
	s_barrier
	buffer_gl0_inv
	s_branch .LBB93_45
.LBB93_44:                              ;   in Loop: Header=BB93_45 Depth=1
	s_or_b32 exec_lo, exec_lo, s15
	s_waitcnt lgkmcnt(0)
	s_barrier
	buffer_gl0_inv
	ds_load_b64 v[6:7], v14
	v_add_nc_u32_e32 v13, 0x400, v13
	v_add_nc_u32_e32 v11, 0x1000, v11
	;; [unrolled: 1-line block ×3, first 2 shown]
	s_delay_alu instid0(VALU_DEP_3) | instskip(NEXT) | instid1(VALU_DEP_1)
	v_cmp_lt_u32_e64 s15, 0x1bff, v13
	s_or_b32 s17, s15, s17
	s_waitcnt lgkmcnt(0)
	v_add_co_u32 v2, s16, v6, v2
	s_delay_alu instid0(VALU_DEP_1)
	v_add_co_ci_u32_e64 v3, s16, v7, v3, s16
	s_and_not1_b32 exec_lo, exec_lo, s17
	s_cbranch_execz .LBB93_79
.LBB93_45:                              ; =>This Inner Loop Header: Depth=1
	ds_load_b64 v[6:7], v12
	ds_load_b32 v15, v11
	s_waitcnt lgkmcnt(0)
	s_barrier
	buffer_gl0_inv
	v_cmp_gt_i64_e64 s15, s[20:21], v[6:7]
	s_delay_alu instid0(VALU_DEP_1) | instskip(SKIP_1) | instid1(SALU_CYCLE_1)
	v_and_b32_e32 v8, s15, v1
	s_bcnt1_i32_b32 s16, s15
	v_mov_b32_e32 v4, s16
	s_delay_alu instid0(VALU_DEP_2)
	v_bcnt_u32_b32 v8, v8, 0
	ds_store_b64 v10, v[4:5]
	s_waitcnt lgkmcnt(0)
	s_barrier
	buffer_gl0_inv
	s_and_saveexec_b32 s16, s0
	s_cbranch_execnz .LBB93_62
; %bb.46:                               ;   in Loop: Header=BB93_45 Depth=1
	s_or_b32 exec_lo, exec_lo, s16
	s_and_saveexec_b32 s16, s1
	s_cbranch_execnz .LBB93_63
.LBB93_47:                              ;   in Loop: Header=BB93_45 Depth=1
	s_or_b32 exec_lo, exec_lo, s16
	s_and_saveexec_b32 s16, s2
	s_cbranch_execnz .LBB93_64
.LBB93_48:                              ;   in Loop: Header=BB93_45 Depth=1
	s_or_b32 exec_lo, exec_lo, s16
	s_and_saveexec_b32 s16, s3
	s_cbranch_execnz .LBB93_65
.LBB93_49:                              ;   in Loop: Header=BB93_45 Depth=1
	s_or_b32 exec_lo, exec_lo, s16
	s_and_saveexec_b32 s16, s4
	s_cbranch_execnz .LBB93_66
.LBB93_50:                              ;   in Loop: Header=BB93_45 Depth=1
	s_or_b32 exec_lo, exec_lo, s16
	s_and_saveexec_b32 s16, s5
	s_cbranch_execnz .LBB93_67
.LBB93_51:                              ;   in Loop: Header=BB93_45 Depth=1
	s_or_b32 exec_lo, exec_lo, s16
	s_and_saveexec_b32 s16, s6
	s_cbranch_execnz .LBB93_68
.LBB93_52:                              ;   in Loop: Header=BB93_45 Depth=1
	s_or_b32 exec_lo, exec_lo, s16
	s_and_saveexec_b32 s16, s7
	s_cbranch_execnz .LBB93_69
.LBB93_53:                              ;   in Loop: Header=BB93_45 Depth=1
	s_or_b32 exec_lo, exec_lo, s16
	s_and_saveexec_b32 s16, s8
	s_cbranch_execnz .LBB93_70
.LBB93_54:                              ;   in Loop: Header=BB93_45 Depth=1
	s_or_b32 exec_lo, exec_lo, s16
	s_and_saveexec_b32 s16, s9
	s_cbranch_execnz .LBB93_71
.LBB93_55:                              ;   in Loop: Header=BB93_45 Depth=1
	s_or_b32 exec_lo, exec_lo, s16
	s_and_saveexec_b32 s16, s10
	s_cbranch_execnz .LBB93_72
.LBB93_56:                              ;   in Loop: Header=BB93_45 Depth=1
	s_or_b32 exec_lo, exec_lo, s16
	s_and_saveexec_b32 s16, s11
	s_cbranch_execnz .LBB93_73
.LBB93_57:                              ;   in Loop: Header=BB93_45 Depth=1
	s_or_b32 exec_lo, exec_lo, s16
	s_and_saveexec_b32 s16, s12
	s_cbranch_execnz .LBB93_74
.LBB93_58:                              ;   in Loop: Header=BB93_45 Depth=1
	s_or_b32 exec_lo, exec_lo, s16
	s_and_saveexec_b32 s16, s13
	s_cbranch_execnz .LBB93_75
.LBB93_59:                              ;   in Loop: Header=BB93_45 Depth=1
	s_or_b32 exec_lo, exec_lo, s16
	s_and_saveexec_b32 s16, s14
	s_cbranch_execnz .LBB93_76
.LBB93_60:                              ;   in Loop: Header=BB93_45 Depth=1
	s_or_b32 exec_lo, exec_lo, s16
	v_ashrrev_i32_e32 v9, 31, v8
	s_and_saveexec_b32 s16, s15
	s_cbranch_execnz .LBB93_77
.LBB93_61:                              ;   in Loop: Header=BB93_45 Depth=1
	s_or_b32 exec_lo, exec_lo, s16
	s_and_saveexec_b32 s15, vcc_lo
	s_cbranch_execz .LBB93_44
	s_branch .LBB93_78
.LBB93_62:                              ;   in Loop: Header=BB93_45 Depth=1
	v_mov_b32_e32 v4, s19
	ds_load_b32 v4, v4
	s_waitcnt lgkmcnt(0)
	v_add_nc_u32_e32 v8, v4, v8
	s_or_b32 exec_lo, exec_lo, s16
	s_and_saveexec_b32 s16, s1
	s_cbranch_execz .LBB93_47
.LBB93_63:                              ;   in Loop: Header=BB93_45 Depth=1
	v_mov_b32_e32 v4, s28
	ds_load_b32 v4, v4
	s_waitcnt lgkmcnt(0)
	v_add_nc_u32_e32 v8, v8, v4
	s_or_b32 exec_lo, exec_lo, s16
	s_and_saveexec_b32 s16, s2
	s_cbranch_execz .LBB93_48
.LBB93_64:                              ;   in Loop: Header=BB93_45 Depth=1
	v_mov_b32_e32 v4, s29
	ds_load_b32 v4, v4
	s_waitcnt lgkmcnt(0)
	v_add_nc_u32_e32 v8, v8, v4
	s_or_b32 exec_lo, exec_lo, s16
	s_and_saveexec_b32 s16, s3
	s_cbranch_execz .LBB93_49
.LBB93_65:                              ;   in Loop: Header=BB93_45 Depth=1
	v_mov_b32_e32 v4, s30
	ds_load_b32 v4, v4
	s_waitcnt lgkmcnt(0)
	v_add_nc_u32_e32 v8, v8, v4
	s_or_b32 exec_lo, exec_lo, s16
	s_and_saveexec_b32 s16, s4
	s_cbranch_execz .LBB93_50
.LBB93_66:                              ;   in Loop: Header=BB93_45 Depth=1
	v_mov_b32_e32 v4, s31
	ds_load_b32 v4, v4
	s_waitcnt lgkmcnt(0)
	v_add_nc_u32_e32 v8, v8, v4
	s_or_b32 exec_lo, exec_lo, s16
	s_and_saveexec_b32 s16, s5
	s_cbranch_execz .LBB93_51
.LBB93_67:                              ;   in Loop: Header=BB93_45 Depth=1
	v_mov_b32_e32 v4, s33
	ds_load_b32 v4, v4
	s_waitcnt lgkmcnt(0)
	v_add_nc_u32_e32 v8, v8, v4
	s_or_b32 exec_lo, exec_lo, s16
	s_and_saveexec_b32 s16, s6
	s_cbranch_execz .LBB93_52
.LBB93_68:                              ;   in Loop: Header=BB93_45 Depth=1
	v_mov_b32_e32 v4, s34
	ds_load_b32 v4, v4
	s_waitcnt lgkmcnt(0)
	v_add_nc_u32_e32 v8, v8, v4
	s_or_b32 exec_lo, exec_lo, s16
	s_and_saveexec_b32 s16, s7
	s_cbranch_execz .LBB93_53
.LBB93_69:                              ;   in Loop: Header=BB93_45 Depth=1
	v_mov_b32_e32 v4, s35
	ds_load_b32 v4, v4
	s_waitcnt lgkmcnt(0)
	v_add_nc_u32_e32 v8, v8, v4
	s_or_b32 exec_lo, exec_lo, s16
	s_and_saveexec_b32 s16, s8
	s_cbranch_execz .LBB93_54
.LBB93_70:                              ;   in Loop: Header=BB93_45 Depth=1
	v_mov_b32_e32 v4, s36
	ds_load_b32 v4, v4
	s_waitcnt lgkmcnt(0)
	v_add_nc_u32_e32 v8, v8, v4
	s_or_b32 exec_lo, exec_lo, s16
	s_and_saveexec_b32 s16, s9
	s_cbranch_execz .LBB93_55
.LBB93_71:                              ;   in Loop: Header=BB93_45 Depth=1
	v_mov_b32_e32 v4, s37
	ds_load_b32 v4, v4
	s_waitcnt lgkmcnt(0)
	v_add_nc_u32_e32 v8, v8, v4
	s_or_b32 exec_lo, exec_lo, s16
	s_and_saveexec_b32 s16, s10
	s_cbranch_execz .LBB93_56
.LBB93_72:                              ;   in Loop: Header=BB93_45 Depth=1
	v_mov_b32_e32 v4, s38
	ds_load_b32 v4, v4
	s_waitcnt lgkmcnt(0)
	v_add_nc_u32_e32 v8, v8, v4
	s_or_b32 exec_lo, exec_lo, s16
	s_and_saveexec_b32 s16, s11
	s_cbranch_execz .LBB93_57
.LBB93_73:                              ;   in Loop: Header=BB93_45 Depth=1
	v_mov_b32_e32 v4, s40
	ds_load_b32 v4, v4
	s_waitcnt lgkmcnt(0)
	v_add_nc_u32_e32 v8, v8, v4
	s_or_b32 exec_lo, exec_lo, s16
	s_and_saveexec_b32 s16, s12
	s_cbranch_execz .LBB93_58
.LBB93_74:                              ;   in Loop: Header=BB93_45 Depth=1
	v_mov_b32_e32 v4, s41
	ds_load_b32 v4, v4
	s_waitcnt lgkmcnt(0)
	v_add_nc_u32_e32 v8, v8, v4
	s_or_b32 exec_lo, exec_lo, s16
	s_and_saveexec_b32 s16, s13
	s_cbranch_execz .LBB93_59
.LBB93_75:                              ;   in Loop: Header=BB93_45 Depth=1
	v_mov_b32_e32 v4, s42
	ds_load_b32 v4, v4
	s_waitcnt lgkmcnt(0)
	v_add_nc_u32_e32 v8, v8, v4
	s_or_b32 exec_lo, exec_lo, s16
	s_and_saveexec_b32 s16, s14
	s_cbranch_execz .LBB93_60
.LBB93_76:                              ;   in Loop: Header=BB93_45 Depth=1
	v_mov_b32_e32 v4, s43
	ds_load_b32 v4, v4
	s_waitcnt lgkmcnt(0)
	v_add_nc_u32_e32 v8, v8, v4
	s_or_b32 exec_lo, exec_lo, s16
	s_delay_alu instid0(VALU_DEP_1)
	v_ashrrev_i32_e32 v9, 31, v8
	s_and_saveexec_b32 s16, s15
	s_cbranch_execz .LBB93_61
.LBB93_77:                              ;   in Loop: Header=BB93_45 Depth=1
	v_add3_u32 v4, v2, -1, v8
	s_delay_alu instid0(VALU_DEP_1) | instskip(SKIP_1) | instid1(VALU_DEP_2)
	v_lshlrev_b32_e32 v16, 2, v4
	v_lshl_add_u32 v4, v4, 3, 0
	v_add3_u32 v16, 0, v16, 0x10000
	ds_store_b64 v4, v[6:7]
	ds_store_b32 v16, v15
	s_or_b32 exec_lo, exec_lo, s16
	s_and_saveexec_b32 s15, vcc_lo
	s_cbranch_execz .LBB93_44
.LBB93_78:                              ;   in Loop: Header=BB93_45 Depth=1
	v_mov_b32_e32 v4, s39
	ds_store_b64 v4, v[8:9]
	s_branch .LBB93_44
.LBB93_79:
	s_or_b32 exec_lo, exec_lo, s17
	s_lshl_b64 s[0:1], s[24:25], 3
	v_mov_b32_e32 v1, 0
	s_add_u32 s0, s26, s0
	s_addc_u32 s1, s27, s1
	s_mov_b32 s6, exec_lo
	s_load_b128 s[0:3], s[0:1], 0x0
	s_waitcnt lgkmcnt(0)
	s_sub_u32 s4, s2, s0
	s_subb_u32 s5, s3, s1
	s_delay_alu instid0(SALU_CYCLE_1)
	v_cmpx_gt_i64_e64 s[4:5], v[0:1]
	s_cbranch_execz .LBB93_89
; %bb.80:
	s_sub_u32 s8, s0, s18
	s_subb_u32 s9, s1, 0
	s_and_b32 s6, s4, 7
	s_sub_u32 s0, s0, s2
	s_subb_u32 s1, s1, s3
	s_mov_b32 s7, 0
	v_cmp_lt_u64_e64 s12, s[0:1], -7
	s_and_b32 s2, s4, -8
	s_cmp_lg_u64 s[6:7], 0
	s_mov_b32 s3, s5
	s_cselect_b32 s13, -1, 0
	s_mov_b32 s14, s7
	s_branch .LBB93_82
.LBB93_81:                              ;   in Loop: Header=BB93_82 Depth=1
	v_add_co_u32 v0, vcc_lo, 0x400, v0
	v_add_co_ci_u32_e32 v1, vcc_lo, 0, v1, vcc_lo
	s_waitcnt lgkmcnt(1)
	v_lshlrev_b64 v[2:3], 2, v[4:5]
	s_delay_alu instid0(VALU_DEP_2) | instskip(NEXT) | instid1(VALU_DEP_2)
	v_cmp_le_i64_e32 vcc_lo, s[4:5], v[0:1]
	v_add_co_u32 v2, s0, s22, v2
	s_delay_alu instid0(VALU_DEP_1)
	v_add_co_ci_u32_e64 v3, s0, s23, v3, s0
	s_or_b32 s14, vcc_lo, s14
	s_waitcnt lgkmcnt(0)
	global_store_b32 v[2:3], v6, off
	s_and_not1_b32 exec_lo, exec_lo, s14
	s_cbranch_execz .LBB93_89
.LBB93_82:                              ; =>This Loop Header: Depth=1
                                        ;     Child Loop BB93_84 Depth 2
                                        ;     Child Loop BB93_88 Depth 2
	v_lshlrev_b32_e32 v2, 2, v0
	v_lshl_add_u32 v3, v0, 3, 0
	s_and_not1_b32 vcc_lo, exec_lo, s12
	s_mov_b64 s[0:1], 0
	s_delay_alu instid0(VALU_DEP_2)
	v_add3_u32 v4, 0, v2, 0x10000
	ds_load_b64 v[2:3], v3
	ds_load_b32 v6, v4
	v_dual_mov_b32 v4, s8 :: v_dual_mov_b32 v5, s9
	s_cbranch_vccnz .LBB93_86
; %bb.83:                               ;   in Loop: Header=BB93_82 Depth=1
	v_dual_mov_b32 v4, s8 :: v_dual_mov_b32 v5, s9
	s_mov_b64 s[10:11], 0
	s_mov_b32 s1, 0
.LBB93_84:                              ;   Parent Loop BB93_82 Depth=1
                                        ; =>  This Inner Loop Header: Depth=2
	s_delay_alu instid0(SALU_CYCLE_1)
	v_mov_b32_e32 v19, s1
	s_add_u32 s10, s10, 8
	s_addc_u32 s11, s11, 0
	s_add_i32 s1, s1, 64
	s_cmp_eq_u64 s[2:3], s[10:11]
	ds_load_2addr_b64 v[7:10], v19 offset1:1
	ds_load_2addr_b64 v[11:14], v19 offset0:2 offset1:3
	ds_load_2addr_b64 v[15:18], v19 offset0:4 offset1:5
	;; [unrolled: 1-line block ×3, first 2 shown]
	s_waitcnt lgkmcnt(3)
	v_cmp_gt_i64_e32 vcc_lo, v[2:3], v[7:8]
	v_cndmask_b32_e64 v7, 0, 1, vcc_lo
	v_cmp_gt_i64_e32 vcc_lo, v[2:3], v[9:10]
	v_cndmask_b32_e64 v8, 0, 1, vcc_lo
	s_waitcnt lgkmcnt(2)
	v_cmp_gt_i64_e32 vcc_lo, v[2:3], v[11:12]
	v_cndmask_b32_e64 v9, 0, 1, vcc_lo
	v_cmp_gt_i64_e32 vcc_lo, v[2:3], v[13:14]
	v_cndmask_b32_e64 v10, 0, 1, vcc_lo
	s_waitcnt lgkmcnt(1)
	v_cmp_gt_i64_e32 vcc_lo, v[2:3], v[15:16]
	v_cndmask_b32_e64 v11, 0, 1, vcc_lo
	v_add_co_u32 v4, vcc_lo, v4, v7
	v_add_co_ci_u32_e32 v5, vcc_lo, 0, v5, vcc_lo
	v_cmp_gt_i64_e32 vcc_lo, v[2:3], v[17:18]
	s_delay_alu instid0(VALU_DEP_3) | instskip(NEXT) | instid1(VALU_DEP_1)
	v_add_co_u32 v4, s0, v4, v8
	v_add_co_ci_u32_e64 v5, s0, 0, v5, s0
	v_cndmask_b32_e64 v7, 0, 1, vcc_lo
	s_delay_alu instid0(VALU_DEP_3) | instskip(NEXT) | instid1(VALU_DEP_3)
	v_add_co_u32 v4, vcc_lo, v4, v9
	v_add_co_ci_u32_e32 v5, vcc_lo, 0, v5, vcc_lo
	s_waitcnt lgkmcnt(0)
	v_cmp_gt_i64_e32 vcc_lo, v[2:3], v[19:20]
	s_delay_alu instid0(VALU_DEP_3) | instskip(NEXT) | instid1(VALU_DEP_1)
	v_add_co_u32 v4, s0, v4, v10
	v_add_co_ci_u32_e64 v5, s0, 0, v5, s0
	v_cndmask_b32_e64 v8, 0, 1, vcc_lo
	s_delay_alu instid0(VALU_DEP_3) | instskip(NEXT) | instid1(VALU_DEP_3)
	v_add_co_u32 v4, vcc_lo, v4, v11
	v_add_co_ci_u32_e32 v5, vcc_lo, 0, v5, vcc_lo
	v_cmp_gt_i64_e32 vcc_lo, v[2:3], v[21:22]
	s_delay_alu instid0(VALU_DEP_3) | instskip(NEXT) | instid1(VALU_DEP_1)
	v_add_co_u32 v4, s0, v4, v7
	v_add_co_ci_u32_e64 v5, s0, 0, v5, s0
	v_cndmask_b32_e64 v7, 0, 1, vcc_lo
	s_delay_alu instid0(VALU_DEP_3) | instskip(NEXT) | instid1(VALU_DEP_3)
	v_add_co_u32 v4, vcc_lo, v4, v8
	v_add_co_ci_u32_e32 v5, vcc_lo, 0, v5, vcc_lo
	s_delay_alu instid0(VALU_DEP_2) | instskip(NEXT) | instid1(VALU_DEP_2)
	v_add_co_u32 v4, vcc_lo, v4, v7
	v_add_co_ci_u32_e32 v5, vcc_lo, 0, v5, vcc_lo
	s_cbranch_scc0 .LBB93_84
; %bb.85:                               ;   in Loop: Header=BB93_82 Depth=1
	s_mov_b64 s[0:1], s[2:3]
.LBB93_86:                              ;   in Loop: Header=BB93_82 Depth=1
	s_and_not1_b32 vcc_lo, exec_lo, s13
	s_cbranch_vccnz .LBB93_81
; %bb.87:                               ;   in Loop: Header=BB93_82 Depth=1
	s_lshl_b32 s0, s0, 3
	s_delay_alu instid0(SALU_CYCLE_1)
	s_add_i32 s10, s0, 0
	s_mov_b64 s[0:1], s[6:7]
.LBB93_88:                              ;   Parent Loop BB93_82 Depth=1
                                        ; =>  This Inner Loop Header: Depth=2
	v_mov_b32_e32 v7, s10
	s_add_i32 s10, s10, 8
	s_add_u32 s0, s0, -1
	s_addc_u32 s1, s1, -1
	s_delay_alu instid0(SALU_CYCLE_1) | instskip(SKIP_4) | instid1(VALU_DEP_1)
	s_cmp_lg_u64 s[0:1], 0
	ds_load_b64 v[7:8], v7
	s_waitcnt lgkmcnt(0)
	v_cmp_gt_i64_e32 vcc_lo, v[2:3], v[7:8]
	v_cndmask_b32_e64 v7, 0, 1, vcc_lo
	v_add_co_u32 v4, vcc_lo, v4, v7
	v_add_co_ci_u32_e32 v5, vcc_lo, 0, v5, vcc_lo
	s_cbranch_scc1 .LBB93_88
	s_branch .LBB93_81
.LBB93_89:
	s_nop 0
	s_sendmsg sendmsg(MSG_DEALLOC_VGPRS)
	s_endpgm
	.section	.rodata,"a",@progbits
	.p2align	6, 0x0
	.amdhsa_kernel _ZN9rocsparseL41csrgemm_numeric_fill_block_per_row_kernelILj1024ELj64ELj8192ELj137ELj64EllfEEvT5_PKS1_S3_NS_24const_host_device_scalarIT6_EEPKT4_S3_PKS5_S9_S3_SB_S6_S9_S3_SB_S9_S3_PS5_21rocsparse_index_base_SD_SD_SD_bbb
		.amdhsa_group_segment_fixed_size 0
		.amdhsa_private_segment_fixed_size 0
		.amdhsa_kernarg_size 156
		.amdhsa_user_sgpr_count 15
		.amdhsa_user_sgpr_dispatch_ptr 0
		.amdhsa_user_sgpr_queue_ptr 0
		.amdhsa_user_sgpr_kernarg_segment_ptr 1
		.amdhsa_user_sgpr_dispatch_id 0
		.amdhsa_user_sgpr_private_segment_size 0
		.amdhsa_wavefront_size32 1
		.amdhsa_uses_dynamic_stack 0
		.amdhsa_enable_private_segment 0
		.amdhsa_system_sgpr_workgroup_id_x 1
		.amdhsa_system_sgpr_workgroup_id_y 0
		.amdhsa_system_sgpr_workgroup_id_z 0
		.amdhsa_system_sgpr_workgroup_info 0
		.amdhsa_system_vgpr_workitem_id 0
		.amdhsa_next_free_vgpr 23
		.amdhsa_next_free_sgpr 44
		.amdhsa_reserve_vcc 1
		.amdhsa_float_round_mode_32 0
		.amdhsa_float_round_mode_16_64 0
		.amdhsa_float_denorm_mode_32 3
		.amdhsa_float_denorm_mode_16_64 3
		.amdhsa_dx10_clamp 1
		.amdhsa_ieee_mode 1
		.amdhsa_fp16_overflow 0
		.amdhsa_workgroup_processor_mode 1
		.amdhsa_memory_ordered 1
		.amdhsa_forward_progress 0
		.amdhsa_shared_vgpr_count 0
		.amdhsa_exception_fp_ieee_invalid_op 0
		.amdhsa_exception_fp_denorm_src 0
		.amdhsa_exception_fp_ieee_div_zero 0
		.amdhsa_exception_fp_ieee_overflow 0
		.amdhsa_exception_fp_ieee_underflow 0
		.amdhsa_exception_fp_ieee_inexact 0
		.amdhsa_exception_int_div_zero 0
	.end_amdhsa_kernel
	.section	.text._ZN9rocsparseL41csrgemm_numeric_fill_block_per_row_kernelILj1024ELj64ELj8192ELj137ELj64EllfEEvT5_PKS1_S3_NS_24const_host_device_scalarIT6_EEPKT4_S3_PKS5_S9_S3_SB_S6_S9_S3_SB_S9_S3_PS5_21rocsparse_index_base_SD_SD_SD_bbb,"axG",@progbits,_ZN9rocsparseL41csrgemm_numeric_fill_block_per_row_kernelILj1024ELj64ELj8192ELj137ELj64EllfEEvT5_PKS1_S3_NS_24const_host_device_scalarIT6_EEPKT4_S3_PKS5_S9_S3_SB_S6_S9_S3_SB_S9_S3_PS5_21rocsparse_index_base_SD_SD_SD_bbb,comdat
.Lfunc_end93:
	.size	_ZN9rocsparseL41csrgemm_numeric_fill_block_per_row_kernelILj1024ELj64ELj8192ELj137ELj64EllfEEvT5_PKS1_S3_NS_24const_host_device_scalarIT6_EEPKT4_S3_PKS5_S9_S3_SB_S6_S9_S3_SB_S9_S3_PS5_21rocsparse_index_base_SD_SD_SD_bbb, .Lfunc_end93-_ZN9rocsparseL41csrgemm_numeric_fill_block_per_row_kernelILj1024ELj64ELj8192ELj137ELj64EllfEEvT5_PKS1_S3_NS_24const_host_device_scalarIT6_EEPKT4_S3_PKS5_S9_S3_SB_S6_S9_S3_SB_S9_S3_PS5_21rocsparse_index_base_SD_SD_SD_bbb
                                        ; -- End function
	.section	.AMDGPU.csdata,"",@progbits
; Kernel info:
; codeLenInByte = 3872
; NumSgprs: 46
; NumVgprs: 23
; ScratchSize: 0
; MemoryBound: 0
; FloatMode: 240
; IeeeMode: 1
; LDSByteSize: 0 bytes/workgroup (compile time only)
; SGPRBlocks: 5
; VGPRBlocks: 2
; NumSGPRsForWavesPerEU: 46
; NumVGPRsForWavesPerEU: 23
; Occupancy: 16
; WaveLimiterHint : 1
; COMPUTE_PGM_RSRC2:SCRATCH_EN: 0
; COMPUTE_PGM_RSRC2:USER_SGPR: 15
; COMPUTE_PGM_RSRC2:TRAP_HANDLER: 0
; COMPUTE_PGM_RSRC2:TGID_X_EN: 1
; COMPUTE_PGM_RSRC2:TGID_Y_EN: 0
; COMPUTE_PGM_RSRC2:TGID_Z_EN: 0
; COMPUTE_PGM_RSRC2:TIDIG_COMP_CNT: 0
	.section	.text._ZN9rocsparseL41csrgemm_numeric_fill_block_per_row_kernelILj1024ELj64ELj16384ELj137ELj32EllfEEvT5_PKS1_S3_NS_24const_host_device_scalarIT6_EEPKT4_S3_PKS5_S9_S3_SB_S6_S9_S3_SB_S9_S3_PS5_21rocsparse_index_base_SD_SD_SD_bbb,"axG",@progbits,_ZN9rocsparseL41csrgemm_numeric_fill_block_per_row_kernelILj1024ELj64ELj16384ELj137ELj32EllfEEvT5_PKS1_S3_NS_24const_host_device_scalarIT6_EEPKT4_S3_PKS5_S9_S3_SB_S6_S9_S3_SB_S9_S3_PS5_21rocsparse_index_base_SD_SD_SD_bbb,comdat
	.globl	_ZN9rocsparseL41csrgemm_numeric_fill_block_per_row_kernelILj1024ELj64ELj16384ELj137ELj32EllfEEvT5_PKS1_S3_NS_24const_host_device_scalarIT6_EEPKT4_S3_PKS5_S9_S3_SB_S6_S9_S3_SB_S9_S3_PS5_21rocsparse_index_base_SD_SD_SD_bbb ; -- Begin function _ZN9rocsparseL41csrgemm_numeric_fill_block_per_row_kernelILj1024ELj64ELj16384ELj137ELj32EllfEEvT5_PKS1_S3_NS_24const_host_device_scalarIT6_EEPKT4_S3_PKS5_S9_S3_SB_S6_S9_S3_SB_S9_S3_PS5_21rocsparse_index_base_SD_SD_SD_bbb
	.p2align	8
	.type	_ZN9rocsparseL41csrgemm_numeric_fill_block_per_row_kernelILj1024ELj64ELj16384ELj137ELj32EllfEEvT5_PKS1_S3_NS_24const_host_device_scalarIT6_EEPKT4_S3_PKS5_S9_S3_SB_S6_S9_S3_SB_S9_S3_PS5_21rocsparse_index_base_SD_SD_SD_bbb,@function
_ZN9rocsparseL41csrgemm_numeric_fill_block_per_row_kernelILj1024ELj64ELj16384ELj137ELj32EllfEEvT5_PKS1_S3_NS_24const_host_device_scalarIT6_EEPKT4_S3_PKS5_S9_S3_SB_S6_S9_S3_SB_S9_S3_PS5_21rocsparse_index_base_SD_SD_SD_bbb: ; @_ZN9rocsparseL41csrgemm_numeric_fill_block_per_row_kernelILj1024ELj64ELj16384ELj137ELj32EllfEEvT5_PKS1_S3_NS_24const_host_device_scalarIT6_EEPKT4_S3_PKS5_S9_S3_SB_S6_S9_S3_SB_S9_S3_PS5_21rocsparse_index_base_SD_SD_SD_bbb
; %bb.0:
	s_clause 0x3
	s_load_b32 s3, s[0:1], 0x98
	s_load_b128 s[44:47], s[0:1], 0x88
	s_load_b64 s[4:5], s[0:1], 0x18
	s_load_b64 s[20:21], s[0:1], 0x50
	s_mov_b32 s2, s15
	s_waitcnt lgkmcnt(0)
	s_bitcmp1_b32 s3, 0
	s_cselect_b32 s23, -1, 0
	s_bitcmp1_b32 s3, 16
	s_cselect_b32 s24, -1, 0
	s_xor_b32 s6, s23, -1
	s_delay_alu instid0(SALU_CYCLE_1) | instskip(NEXT) | instid1(SALU_CYCLE_1)
	s_or_b32 s6, s6, s24
	s_and_b32 vcc_lo, exec_lo, s6
	s_cbranch_vccnz .LBB94_2
; %bb.1:
	s_load_b32 s4, s[4:5], 0x0
	s_waitcnt lgkmcnt(0)
	v_mov_b32_e32 v15, s4
	s_branch .LBB94_3
.LBB94_2:
	v_cndmask_b32_e64 v15, 0, s4, s23
.LBB94_3:
	s_clause 0x4
	s_load_b64 s[34:35], s[0:1], 0x80
	s_load_b256 s[36:43], s[0:1], 0x58
	s_load_b128 s[12:15], s[0:1], 0x40
	s_load_b128 s[16:19], s[0:1], 0x8
	s_load_b256 s[4:11], s[0:1], 0x20
	s_bitcmp1_b32 s3, 8
	s_cselect_b32 s22, -1, 0
	s_delay_alu instid0(SALU_CYCLE_1) | instskip(NEXT) | instid1(SALU_CYCLE_1)
	s_xor_b32 s3, s22, -1
	s_or_b32 s3, s3, s24
	s_delay_alu instid0(SALU_CYCLE_1)
	s_and_b32 vcc_lo, exec_lo, s3
	s_cbranch_vccnz .LBB94_5
; %bb.4:
	s_load_b32 s3, s[20:21], 0x0
	s_waitcnt lgkmcnt(0)
	v_mov_b32_e32 v14, s3
	s_branch .LBB94_6
.LBB94_5:
	v_cndmask_b32_e64 v14, 0, s20, s22
.LBB94_6:
	s_load_b64 s[48:49], s[0:1], 0x0
	v_lshl_add_u32 v11, v0, 3, 0
	v_lshlrev_b32_e32 v1, 2, v0
	v_or_b32_e32 v13, 0xfffffc00, v0
	v_mov_b32_e32 v3, 0
	s_mov_b32 s0, 0
	v_mov_b32_e32 v4, v11
	v_add3_u32 v12, v1, 0, 0x20000
	s_delay_alu instid0(VALU_DEP_1)
	v_dual_mov_b32 v6, v13 :: v_dual_mov_b32 v5, v12
	s_waitcnt lgkmcnt(0)
	v_dual_mov_b32 v1, s48 :: v_dual_mov_b32 v2, s49
.LBB94_7:                               ; =>This Inner Loop Header: Depth=1
	s_delay_alu instid0(VALU_DEP_2)
	v_add_nc_u32_e32 v6, 0x400, v6
	ds_store_b64 v4, v[1:2]
	ds_store_b32 v5, v3
	v_add_nc_u32_e32 v5, 0x1000, v5
	v_add_nc_u32_e32 v4, 0x2000, v4
	v_cmp_lt_u32_e32 vcc_lo, 0x3bff, v6
	s_or_b32 s0, vcc_lo, s0
	s_delay_alu instid0(SALU_CYCLE_1)
	s_and_not1_b32 exec_lo, exec_lo, s0
	s_cbranch_execnz .LBB94_7
; %bb.8:
	s_or_b32 exec_lo, exec_lo, s0
	s_waitcnt lgkmcnt(0)
	s_barrier
	buffer_gl0_inv
	s_load_b64 s[0:1], s[16:17], 0x0
	s_mov_b32 s3, 0
	s_waitcnt lgkmcnt(0)
	s_lshl_b64 s[0:1], s[0:1], 3
	s_delay_alu instid0(SALU_CYCLE_1) | instskip(SKIP_2) | instid1(SALU_CYCLE_1)
	s_add_u32 s16, s18, s0
	s_addc_u32 s17, s19, s1
	s_lshl_b64 s[0:1], s[2:3], 3
	s_add_u32 s0, s16, s0
	s_addc_u32 s1, s17, s1
	s_and_b32 vcc_lo, exec_lo, s23
	s_load_b64 s[50:51], s[0:1], 0x0
	s_cbranch_vccz .LBB94_28
; %bb.9:
	s_waitcnt lgkmcnt(0)
	s_lshl_b64 s[0:1], s[50:51], 3
	v_lshrrev_b32_e32 v1, 6, v0
	s_add_u32 s0, s4, s0
	s_addc_u32 s1, s5, s1
	s_load_b128 s[0:3], s[0:1], 0x0
	s_delay_alu instid0(VALU_DEP_1) | instskip(NEXT) | instid1(VALU_DEP_1)
	v_sub_co_u32 v1, s4, v1, s44
	v_sub_co_ci_u32_e64 v2, null, 0, 0, s4
	s_waitcnt lgkmcnt(0)
	s_delay_alu instid0(VALU_DEP_2) | instskip(NEXT) | instid1(VALU_DEP_2)
	v_add_co_u32 v1, vcc_lo, s0, v1
	v_add_co_ci_u32_e32 v2, vcc_lo, s1, v2, vcc_lo
	s_sub_u32 s0, s2, s44
	s_subb_u32 s1, s3, 0
	s_mov_b32 s2, exec_lo
	s_delay_alu instid0(VALU_DEP_1)
	v_cmpx_gt_i64_e64 s[0:1], v[1:2]
	s_cbranch_execz .LBB94_27
; %bb.10:
	v_and_b32_e32 v3, 63, v0
	s_mov_b32 s4, s45
	s_delay_alu instid0(VALU_DEP_1) | instskip(NEXT) | instid1(VALU_DEP_1)
	v_sub_co_u32 v16, s3, v3, s45
	v_sub_co_ci_u32_e64 v17, null, 0, 0, s3
	s_mov_b32 s3, 0
	s_branch .LBB94_12
.LBB94_11:                              ;   in Loop: Header=BB94_12 Depth=1
	s_or_b32 exec_lo, exec_lo, s5
	v_add_co_u32 v1, vcc_lo, v1, 16
	v_add_co_ci_u32_e32 v2, vcc_lo, 0, v2, vcc_lo
	s_delay_alu instid0(VALU_DEP_1) | instskip(SKIP_1) | instid1(SALU_CYCLE_1)
	v_cmp_le_i64_e32 vcc_lo, s[0:1], v[1:2]
	s_or_b32 s3, vcc_lo, s3
	s_and_not1_b32 exec_lo, exec_lo, s3
	s_cbranch_execz .LBB94_27
.LBB94_12:                              ; =>This Loop Header: Depth=1
                                        ;     Child Loop BB94_15 Depth 2
                                        ;       Child Loop BB94_17 Depth 3
	v_lshlrev_b64 v[3:4], 3, v[1:2]
	s_mov_b32 s5, exec_lo
	s_delay_alu instid0(VALU_DEP_1) | instskip(NEXT) | instid1(VALU_DEP_2)
	v_add_co_u32 v3, vcc_lo, s6, v3
	v_add_co_ci_u32_e32 v4, vcc_lo, s7, v4, vcc_lo
	global_load_b64 v[3:4], v[3:4], off
	s_waitcnt vmcnt(0)
	v_sub_co_u32 v3, vcc_lo, v3, s44
	v_subrev_co_ci_u32_e32 v4, vcc_lo, 0, v4, vcc_lo
	s_delay_alu instid0(VALU_DEP_1) | instskip(NEXT) | instid1(VALU_DEP_1)
	v_lshlrev_b64 v[3:4], 3, v[3:4]
	v_add_co_u32 v3, vcc_lo, s10, v3
	s_delay_alu instid0(VALU_DEP_2)
	v_add_co_ci_u32_e32 v4, vcc_lo, s11, v4, vcc_lo
	global_load_b128 v[5:8], v[3:4], off
	s_waitcnt vmcnt(0)
	v_sub_co_u32 v3, vcc_lo, v7, s4
	v_subrev_co_ci_u32_e32 v4, vcc_lo, 0, v8, vcc_lo
	v_add_co_u32 v5, vcc_lo, v5, v16
	v_add_co_ci_u32_e32 v6, vcc_lo, v6, v17, vcc_lo
	s_delay_alu instid0(VALU_DEP_1)
	v_cmpx_lt_i64_e64 v[5:6], v[3:4]
	s_cbranch_execz .LBB94_11
; %bb.13:                               ;   in Loop: Header=BB94_12 Depth=1
	v_lshlrev_b64 v[7:8], 2, v[1:2]
	s_mov_b32 s16, 0
	s_delay_alu instid0(VALU_DEP_1) | instskip(NEXT) | instid1(VALU_DEP_2)
	v_add_co_u32 v7, vcc_lo, s8, v7
	v_add_co_ci_u32_e32 v8, vcc_lo, s9, v8, vcc_lo
	global_load_b32 v7, v[7:8], off
	s_waitcnt vmcnt(0)
	v_mul_f32_e32 v18, v15, v7
	s_branch .LBB94_15
.LBB94_14:                              ;   in Loop: Header=BB94_15 Depth=2
	s_or_b32 exec_lo, exec_lo, s17
	v_add_co_u32 v5, vcc_lo, v5, 64
	v_add_co_ci_u32_e32 v6, vcc_lo, 0, v6, vcc_lo
	s_delay_alu instid0(VALU_DEP_1) | instskip(SKIP_1) | instid1(SALU_CYCLE_1)
	v_cmp_ge_i64_e32 vcc_lo, v[5:6], v[3:4]
	s_or_b32 s16, vcc_lo, s16
	s_and_not1_b32 exec_lo, exec_lo, s16
	s_cbranch_execz .LBB94_11
.LBB94_15:                              ;   Parent Loop BB94_12 Depth=1
                                        ; =>  This Loop Header: Depth=2
                                        ;       Child Loop BB94_17 Depth 3
	v_lshlrev_b64 v[7:8], 3, v[5:6]
	v_lshlrev_b64 v[9:10], 2, v[5:6]
	s_mov_b32 s17, 0
	s_delay_alu instid0(VALU_DEP_2) | instskip(NEXT) | instid1(VALU_DEP_3)
	v_add_co_u32 v7, vcc_lo, s12, v7
	v_add_co_ci_u32_e32 v8, vcc_lo, s13, v8, vcc_lo
	s_delay_alu instid0(VALU_DEP_3) | instskip(NEXT) | instid1(VALU_DEP_4)
	v_add_co_u32 v9, vcc_lo, s14, v9
	v_add_co_ci_u32_e32 v10, vcc_lo, s15, v10, vcc_lo
	global_load_b64 v[7:8], v[7:8], off
	global_load_b32 v9, v[9:10], off
	s_waitcnt vmcnt(1)
	v_sub_co_u32 v7, vcc_lo, v7, s4
	v_subrev_co_ci_u32_e32 v8, vcc_lo, 0, v8, vcc_lo
	s_delay_alu instid0(VALU_DEP_2) | instskip(SKIP_1) | instid1(VALU_DEP_1)
	v_mul_lo_u32 v10, 0x89, v7
	s_waitcnt vmcnt(0)
	v_dual_mul_f32 v19, v18, v9 :: v_dual_and_b32 v20, 0x3fff, v10
	s_branch .LBB94_17
.LBB94_16:                              ;   in Loop: Header=BB94_17 Depth=3
	s_or_b32 exec_lo, exec_lo, s18
	s_xor_b32 s18, s19, -1
	s_delay_alu instid0(SALU_CYCLE_1) | instskip(NEXT) | instid1(SALU_CYCLE_1)
	s_and_b32 s18, exec_lo, s18
	s_or_b32 s17, s18, s17
	s_delay_alu instid0(SALU_CYCLE_1)
	s_and_not1_b32 exec_lo, exec_lo, s17
	s_cbranch_execz .LBB94_14
.LBB94_17:                              ;   Parent Loop BB94_12 Depth=1
                                        ;     Parent Loop BB94_15 Depth=2
                                        ; =>    This Inner Loop Header: Depth=3
	s_delay_alu instid0(VALU_DEP_1)
	v_lshl_add_u32 v21, v20, 3, 0
	s_mov_b32 s18, exec_lo
                                        ; implicit-def: $sgpr19
	ds_load_b64 v[9:10], v21
	s_waitcnt lgkmcnt(0)
	v_cmpx_ne_u64_e64 v[9:10], v[7:8]
	s_xor_b32 s18, exec_lo, s18
	s_cbranch_execz .LBB94_25
; %bb.18:                               ;   in Loop: Header=BB94_17 Depth=3
	s_mov_b32 s20, exec_lo
                                        ; implicit-def: $sgpr19
	v_cmpx_ne_u64_e64 s[48:49], v[9:10]
	s_xor_b32 s20, exec_lo, s20
; %bb.19:                               ;   in Loop: Header=BB94_17 Depth=3
	v_add_nc_u32_e32 v9, 1, v20
	s_mov_b32 s19, -1
                                        ; implicit-def: $vgpr21
	s_delay_alu instid0(VALU_DEP_1)
	v_and_b32_e32 v20, 0x3fff, v9
; %bb.20:                               ;   in Loop: Header=BB94_17 Depth=3
	s_and_not1_saveexec_b32 s20, s20
	s_cbranch_execz .LBB94_24
; %bb.21:                               ;   in Loop: Header=BB94_17 Depth=3
	v_dual_mov_b32 v9, s48 :: v_dual_mov_b32 v10, s49
	s_mov_b32 s21, -1
	s_mov_b32 s23, exec_lo
	ds_cmpstore_rtn_b64 v[9:10], v21, v[7:8], v[9:10]
	s_waitcnt lgkmcnt(0)
	v_cmpx_eq_u64_e64 s[48:49], v[9:10]
	s_cbranch_execz .LBB94_23
; %bb.22:                               ;   in Loop: Header=BB94_17 Depth=3
	v_lshlrev_b32_e32 v9, 2, v20
	s_xor_b32 s21, exec_lo, -1
	s_delay_alu instid0(VALU_DEP_1)
	v_add3_u32 v9, 0, v9, 0x20000
	ds_add_f32 v9, v19
.LBB94_23:                              ;   in Loop: Header=BB94_17 Depth=3
	s_or_b32 exec_lo, exec_lo, s23
	s_delay_alu instid0(SALU_CYCLE_1) | instskip(SKIP_1) | instid1(SALU_CYCLE_1)
	s_and_not1_b32 s19, s19, exec_lo
	s_and_b32 s21, s21, exec_lo
	s_or_b32 s19, s19, s21
.LBB94_24:                              ;   in Loop: Header=BB94_17 Depth=3
	s_or_b32 exec_lo, exec_lo, s20
	s_delay_alu instid0(SALU_CYCLE_1)
	s_and_b32 s19, s19, exec_lo
.LBB94_25:                              ;   in Loop: Header=BB94_17 Depth=3
	s_and_not1_saveexec_b32 s18, s18
	s_cbranch_execz .LBB94_16
; %bb.26:                               ;   in Loop: Header=BB94_17 Depth=3
	v_lshlrev_b32_e32 v9, 2, v20
	s_and_not1_b32 s19, s19, exec_lo
	s_delay_alu instid0(VALU_DEP_1)
	v_add3_u32 v9, 0, v9, 0x20000
	ds_add_f32 v9, v19
	s_branch .LBB94_16
.LBB94_27:
	s_or_b32 exec_lo, exec_lo, s2
.LBB94_28:
	s_delay_alu instid0(SALU_CYCLE_1)
	s_and_not1_b32 vcc_lo, exec_lo, s22
	s_cbranch_vccnz .LBB94_45
; %bb.29:
	s_waitcnt lgkmcnt(0)
	s_lshl_b64 s[0:1], s[50:51], 3
	v_sub_co_u32 v1, s4, v0, s47
	s_add_u32 s0, s36, s0
	s_addc_u32 s1, s37, s1
	v_sub_co_ci_u32_e64 v2, null, 0, 0, s4
	s_load_b128 s[0:3], s[0:1], 0x0
	s_waitcnt lgkmcnt(0)
	v_add_co_u32 v1, vcc_lo, s0, v1
	s_delay_alu instid0(VALU_DEP_2)
	v_add_co_ci_u32_e32 v2, vcc_lo, s1, v2, vcc_lo
	s_sub_u32 s0, s2, s47
	s_subb_u32 s1, s3, 0
	s_mov_b32 s2, 0
	s_mov_b32 s3, exec_lo
	v_cmpx_gt_i64_e64 s[0:1], v[1:2]
	s_cbranch_execz .LBB94_44
; %bb.30:
	s_mov_b32 s4, s47
	s_branch .LBB94_32
.LBB94_31:                              ;   in Loop: Header=BB94_32 Depth=1
	s_or_b32 exec_lo, exec_lo, s5
	v_add_co_u32 v1, vcc_lo, 0x400, v1
	v_add_co_ci_u32_e32 v2, vcc_lo, 0, v2, vcc_lo
	s_delay_alu instid0(VALU_DEP_1) | instskip(SKIP_1) | instid1(SALU_CYCLE_1)
	v_cmp_le_i64_e32 vcc_lo, s[0:1], v[1:2]
	s_or_b32 s2, vcc_lo, s2
	s_and_not1_b32 exec_lo, exec_lo, s2
	s_cbranch_execz .LBB94_44
.LBB94_32:                              ; =>This Loop Header: Depth=1
                                        ;     Child Loop BB94_34 Depth 2
	v_lshlrev_b64 v[3:4], 3, v[1:2]
	v_lshlrev_b64 v[5:6], 2, v[1:2]
	s_mov_b32 s5, 0
	s_delay_alu instid0(VALU_DEP_2) | instskip(NEXT) | instid1(VALU_DEP_3)
	v_add_co_u32 v3, vcc_lo, s38, v3
	v_add_co_ci_u32_e32 v4, vcc_lo, s39, v4, vcc_lo
	s_delay_alu instid0(VALU_DEP_3) | instskip(NEXT) | instid1(VALU_DEP_4)
	v_add_co_u32 v5, vcc_lo, s40, v5
	v_add_co_ci_u32_e32 v6, vcc_lo, s41, v6, vcc_lo
	global_load_b64 v[3:4], v[3:4], off
	global_load_b32 v5, v[5:6], off
	s_waitcnt vmcnt(1)
	v_sub_co_u32 v3, vcc_lo, v3, s4
	v_subrev_co_ci_u32_e32 v4, vcc_lo, 0, v4, vcc_lo
	s_delay_alu instid0(VALU_DEP_2) | instskip(SKIP_1) | instid1(VALU_DEP_1)
	v_mul_lo_u32 v6, 0x89, v3
	s_waitcnt vmcnt(0)
	v_dual_mul_f32 v7, v14, v5 :: v_dual_and_b32 v8, 0x3fff, v6
	s_branch .LBB94_34
.LBB94_33:                              ;   in Loop: Header=BB94_34 Depth=2
	s_or_b32 exec_lo, exec_lo, s6
	s_xor_b32 s6, s7, -1
	s_delay_alu instid0(SALU_CYCLE_1) | instskip(NEXT) | instid1(SALU_CYCLE_1)
	s_and_b32 s6, exec_lo, s6
	s_or_b32 s5, s6, s5
	s_delay_alu instid0(SALU_CYCLE_1)
	s_and_not1_b32 exec_lo, exec_lo, s5
	s_cbranch_execz .LBB94_31
.LBB94_34:                              ;   Parent Loop BB94_32 Depth=1
                                        ; =>  This Inner Loop Header: Depth=2
	s_delay_alu instid0(VALU_DEP_1)
	v_lshl_add_u32 v9, v8, 3, 0
	s_mov_b32 s6, exec_lo
                                        ; implicit-def: $sgpr7
	ds_load_b64 v[5:6], v9
	s_waitcnt lgkmcnt(0)
	v_cmpx_ne_u64_e64 v[5:6], v[3:4]
	s_xor_b32 s6, exec_lo, s6
	s_cbranch_execz .LBB94_42
; %bb.35:                               ;   in Loop: Header=BB94_34 Depth=2
	s_mov_b32 s8, exec_lo
                                        ; implicit-def: $sgpr7
	v_cmpx_ne_u64_e64 s[48:49], v[5:6]
	s_xor_b32 s8, exec_lo, s8
; %bb.36:                               ;   in Loop: Header=BB94_34 Depth=2
	v_add_nc_u32_e32 v5, 1, v8
	s_mov_b32 s7, -1
                                        ; implicit-def: $vgpr9
	s_delay_alu instid0(VALU_DEP_1)
	v_and_b32_e32 v8, 0x3fff, v5
; %bb.37:                               ;   in Loop: Header=BB94_34 Depth=2
	s_and_not1_saveexec_b32 s8, s8
	s_cbranch_execz .LBB94_41
; %bb.38:                               ;   in Loop: Header=BB94_34 Depth=2
	v_dual_mov_b32 v5, s48 :: v_dual_mov_b32 v6, s49
	s_mov_b32 s9, -1
	s_mov_b32 s10, exec_lo
	ds_cmpstore_rtn_b64 v[5:6], v9, v[3:4], v[5:6]
	s_waitcnt lgkmcnt(0)
	v_cmpx_eq_u64_e64 s[48:49], v[5:6]
	s_cbranch_execz .LBB94_40
; %bb.39:                               ;   in Loop: Header=BB94_34 Depth=2
	v_lshlrev_b32_e32 v5, 2, v8
	s_xor_b32 s9, exec_lo, -1
	s_delay_alu instid0(VALU_DEP_1)
	v_add3_u32 v5, 0, v5, 0x20000
	ds_add_f32 v5, v7
.LBB94_40:                              ;   in Loop: Header=BB94_34 Depth=2
	s_or_b32 exec_lo, exec_lo, s10
	s_delay_alu instid0(SALU_CYCLE_1) | instskip(SKIP_1) | instid1(SALU_CYCLE_1)
	s_and_not1_b32 s7, s7, exec_lo
	s_and_b32 s9, s9, exec_lo
	s_or_b32 s7, s7, s9
.LBB94_41:                              ;   in Loop: Header=BB94_34 Depth=2
	s_or_b32 exec_lo, exec_lo, s8
	s_delay_alu instid0(SALU_CYCLE_1)
	s_and_b32 s7, s7, exec_lo
.LBB94_42:                              ;   in Loop: Header=BB94_34 Depth=2
	s_and_not1_saveexec_b32 s6, s6
	s_cbranch_execz .LBB94_33
; %bb.43:                               ;   in Loop: Header=BB94_34 Depth=2
	v_lshlrev_b32_e32 v5, 2, v8
	s_and_not1_b32 s7, s7, exec_lo
	s_delay_alu instid0(VALU_DEP_1)
	v_add3_u32 v5, 0, v5, 0x20000
	ds_add_f32 v5, v7
	s_branch .LBB94_33
.LBB94_44:
	s_or_b32 exec_lo, exec_lo, s3
.LBB94_45:
	v_mbcnt_lo_u32_b32 v1, -1, 0
	v_lshrrev_b32_e32 v2, 2, v0
	s_add_i32 s71, 0, 0x300f8
	v_cmp_eq_u32_e32 vcc_lo, 0x3ff, v0
	v_cmp_lt_u32_e64 s0, 31, v0
	v_xor_b32_e32 v1, 63, v1
	v_dual_mov_b32 v14, s71 :: v_dual_and_b32 v3, 0xf8, v2
	v_cmp_lt_u32_e64 s1, 63, v0
	v_cmp_lt_u32_e64 s2, 0x5f, v0
	s_delay_alu instid0(VALU_DEP_4) | instskip(NEXT) | instid1(VALU_DEP_4)
	v_lshrrev_b64 v[1:2], v1, -1
	v_add3_u32 v10, 0, 0x30000, v3
	v_dual_mov_b32 v2, 0 :: v_dual_mov_b32 v5, 0
	v_cmp_lt_u32_e64 s3, 0x7f, v0
	v_cmp_lt_u32_e64 s4, 0x9f, v0
	;; [unrolled: 1-line block ×28, first 2 shown]
	v_mov_b32_e32 v3, 0
	s_mov_b32 s36, 0
	s_add_i32 s37, 0, 0x30000
	s_add_i32 s38, 0, 0x30008
	;; [unrolled: 1-line block ×31, first 2 shown]
	s_waitcnt lgkmcnt(0)
	s_barrier
	buffer_gl0_inv
	s_branch .LBB94_47
.LBB94_46:                              ;   in Loop: Header=BB94_47 Depth=1
	s_or_b32 exec_lo, exec_lo, s31
	s_waitcnt lgkmcnt(0)
	s_barrier
	buffer_gl0_inv
	ds_load_b64 v[6:7], v14
	v_add_nc_u32_e32 v13, 0x400, v13
	v_add_nc_u32_e32 v12, 0x1000, v12
	;; [unrolled: 1-line block ×3, first 2 shown]
	s_delay_alu instid0(VALU_DEP_3) | instskip(NEXT) | instid1(VALU_DEP_1)
	v_cmp_lt_u32_e64 s31, 0x3bff, v13
	s_or_b32 s36, s31, s36
	s_waitcnt lgkmcnt(0)
	v_add_co_u32 v2, s33, v6, v2
	s_delay_alu instid0(VALU_DEP_1)
	v_add_co_ci_u32_e64 v3, s33, v7, v3, s33
	s_and_not1_b32 exec_lo, exec_lo, s36
	s_cbranch_execz .LBB94_113
.LBB94_47:                              ; =>This Inner Loop Header: Depth=1
	ds_load_b64 v[6:7], v11
	ds_load_b32 v15, v12
	s_waitcnt lgkmcnt(0)
	s_barrier
	buffer_gl0_inv
	v_cmp_gt_i64_e64 s31, s[48:49], v[6:7]
	s_delay_alu instid0(VALU_DEP_1) | instskip(SKIP_1) | instid1(SALU_CYCLE_1)
	v_and_b32_e32 v8, s31, v1
	s_bcnt1_i32_b32 s33, s31
	v_mov_b32_e32 v4, s33
	s_delay_alu instid0(VALU_DEP_2)
	v_bcnt_u32_b32 v8, v8, 0
	ds_store_b64 v10, v[4:5]
	s_waitcnt lgkmcnt(0)
	s_barrier
	buffer_gl0_inv
	s_and_saveexec_b32 s33, s0
	s_cbranch_execnz .LBB94_80
; %bb.48:                               ;   in Loop: Header=BB94_47 Depth=1
	s_or_b32 exec_lo, exec_lo, s33
	s_and_saveexec_b32 s33, s1
	s_cbranch_execnz .LBB94_81
.LBB94_49:                              ;   in Loop: Header=BB94_47 Depth=1
	s_or_b32 exec_lo, exec_lo, s33
	s_and_saveexec_b32 s33, s2
	s_cbranch_execnz .LBB94_82
.LBB94_50:                              ;   in Loop: Header=BB94_47 Depth=1
	s_or_b32 exec_lo, exec_lo, s33
	s_and_saveexec_b32 s33, s3
	s_cbranch_execnz .LBB94_83
.LBB94_51:                              ;   in Loop: Header=BB94_47 Depth=1
	s_or_b32 exec_lo, exec_lo, s33
	s_and_saveexec_b32 s33, s4
	s_cbranch_execnz .LBB94_84
.LBB94_52:                              ;   in Loop: Header=BB94_47 Depth=1
	s_or_b32 exec_lo, exec_lo, s33
	s_and_saveexec_b32 s33, s5
	s_cbranch_execnz .LBB94_85
.LBB94_53:                              ;   in Loop: Header=BB94_47 Depth=1
	s_or_b32 exec_lo, exec_lo, s33
	s_and_saveexec_b32 s33, s6
	s_cbranch_execnz .LBB94_86
.LBB94_54:                              ;   in Loop: Header=BB94_47 Depth=1
	s_or_b32 exec_lo, exec_lo, s33
	s_and_saveexec_b32 s33, s7
	s_cbranch_execnz .LBB94_87
.LBB94_55:                              ;   in Loop: Header=BB94_47 Depth=1
	s_or_b32 exec_lo, exec_lo, s33
	s_and_saveexec_b32 s33, s8
	s_cbranch_execnz .LBB94_88
.LBB94_56:                              ;   in Loop: Header=BB94_47 Depth=1
	s_or_b32 exec_lo, exec_lo, s33
	s_and_saveexec_b32 s33, s9
	s_cbranch_execnz .LBB94_89
.LBB94_57:                              ;   in Loop: Header=BB94_47 Depth=1
	s_or_b32 exec_lo, exec_lo, s33
	s_and_saveexec_b32 s33, s10
	s_cbranch_execnz .LBB94_90
.LBB94_58:                              ;   in Loop: Header=BB94_47 Depth=1
	s_or_b32 exec_lo, exec_lo, s33
	s_and_saveexec_b32 s33, s11
	s_cbranch_execnz .LBB94_91
.LBB94_59:                              ;   in Loop: Header=BB94_47 Depth=1
	s_or_b32 exec_lo, exec_lo, s33
	s_and_saveexec_b32 s33, s12
	s_cbranch_execnz .LBB94_92
.LBB94_60:                              ;   in Loop: Header=BB94_47 Depth=1
	s_or_b32 exec_lo, exec_lo, s33
	s_and_saveexec_b32 s33, s13
	s_cbranch_execnz .LBB94_93
.LBB94_61:                              ;   in Loop: Header=BB94_47 Depth=1
	s_or_b32 exec_lo, exec_lo, s33
	s_and_saveexec_b32 s33, s14
	s_cbranch_execnz .LBB94_94
.LBB94_62:                              ;   in Loop: Header=BB94_47 Depth=1
	s_or_b32 exec_lo, exec_lo, s33
	s_and_saveexec_b32 s33, s15
	s_cbranch_execnz .LBB94_95
.LBB94_63:                              ;   in Loop: Header=BB94_47 Depth=1
	s_or_b32 exec_lo, exec_lo, s33
	s_and_saveexec_b32 s33, s16
	s_cbranch_execnz .LBB94_96
.LBB94_64:                              ;   in Loop: Header=BB94_47 Depth=1
	s_or_b32 exec_lo, exec_lo, s33
	s_and_saveexec_b32 s33, s17
	s_cbranch_execnz .LBB94_97
.LBB94_65:                              ;   in Loop: Header=BB94_47 Depth=1
	s_or_b32 exec_lo, exec_lo, s33
	s_and_saveexec_b32 s33, s18
	s_cbranch_execnz .LBB94_98
.LBB94_66:                              ;   in Loop: Header=BB94_47 Depth=1
	s_or_b32 exec_lo, exec_lo, s33
	s_and_saveexec_b32 s33, s19
	s_cbranch_execnz .LBB94_99
.LBB94_67:                              ;   in Loop: Header=BB94_47 Depth=1
	s_or_b32 exec_lo, exec_lo, s33
	s_and_saveexec_b32 s33, s20
	s_cbranch_execnz .LBB94_100
.LBB94_68:                              ;   in Loop: Header=BB94_47 Depth=1
	s_or_b32 exec_lo, exec_lo, s33
	s_and_saveexec_b32 s33, s21
	s_cbranch_execnz .LBB94_101
.LBB94_69:                              ;   in Loop: Header=BB94_47 Depth=1
	s_or_b32 exec_lo, exec_lo, s33
	s_and_saveexec_b32 s33, s22
	s_cbranch_execnz .LBB94_102
.LBB94_70:                              ;   in Loop: Header=BB94_47 Depth=1
	s_or_b32 exec_lo, exec_lo, s33
	s_and_saveexec_b32 s33, s23
	s_cbranch_execnz .LBB94_103
.LBB94_71:                              ;   in Loop: Header=BB94_47 Depth=1
	s_or_b32 exec_lo, exec_lo, s33
	s_and_saveexec_b32 s33, s24
	s_cbranch_execnz .LBB94_104
.LBB94_72:                              ;   in Loop: Header=BB94_47 Depth=1
	s_or_b32 exec_lo, exec_lo, s33
	s_and_saveexec_b32 s33, s25
	s_cbranch_execnz .LBB94_105
.LBB94_73:                              ;   in Loop: Header=BB94_47 Depth=1
	s_or_b32 exec_lo, exec_lo, s33
	s_and_saveexec_b32 s33, s26
	s_cbranch_execnz .LBB94_106
.LBB94_74:                              ;   in Loop: Header=BB94_47 Depth=1
	s_or_b32 exec_lo, exec_lo, s33
	s_and_saveexec_b32 s33, s27
	s_cbranch_execnz .LBB94_107
.LBB94_75:                              ;   in Loop: Header=BB94_47 Depth=1
	s_or_b32 exec_lo, exec_lo, s33
	s_and_saveexec_b32 s33, s28
	s_cbranch_execnz .LBB94_108
.LBB94_76:                              ;   in Loop: Header=BB94_47 Depth=1
	s_or_b32 exec_lo, exec_lo, s33
	s_and_saveexec_b32 s33, s29
	s_cbranch_execnz .LBB94_109
.LBB94_77:                              ;   in Loop: Header=BB94_47 Depth=1
	s_or_b32 exec_lo, exec_lo, s33
	s_and_saveexec_b32 s33, s30
	s_cbranch_execnz .LBB94_110
.LBB94_78:                              ;   in Loop: Header=BB94_47 Depth=1
	s_or_b32 exec_lo, exec_lo, s33
	v_ashrrev_i32_e32 v9, 31, v8
	s_and_saveexec_b32 s33, s31
	s_cbranch_execnz .LBB94_111
.LBB94_79:                              ;   in Loop: Header=BB94_47 Depth=1
	s_or_b32 exec_lo, exec_lo, s33
	s_and_saveexec_b32 s31, vcc_lo
	s_cbranch_execz .LBB94_46
	s_branch .LBB94_112
.LBB94_80:                              ;   in Loop: Header=BB94_47 Depth=1
	v_mov_b32_e32 v4, s37
	ds_load_b32 v4, v4
	s_waitcnt lgkmcnt(0)
	v_add_nc_u32_e32 v8, v4, v8
	s_or_b32 exec_lo, exec_lo, s33
	s_and_saveexec_b32 s33, s1
	s_cbranch_execz .LBB94_49
.LBB94_81:                              ;   in Loop: Header=BB94_47 Depth=1
	v_mov_b32_e32 v4, s38
	ds_load_b32 v4, v4
	s_waitcnt lgkmcnt(0)
	v_add_nc_u32_e32 v8, v8, v4
	s_or_b32 exec_lo, exec_lo, s33
	s_and_saveexec_b32 s33, s2
	s_cbranch_execz .LBB94_50
.LBB94_82:                              ;   in Loop: Header=BB94_47 Depth=1
	v_mov_b32_e32 v4, s39
	ds_load_b32 v4, v4
	s_waitcnt lgkmcnt(0)
	v_add_nc_u32_e32 v8, v8, v4
	s_or_b32 exec_lo, exec_lo, s33
	s_and_saveexec_b32 s33, s3
	s_cbranch_execz .LBB94_51
.LBB94_83:                              ;   in Loop: Header=BB94_47 Depth=1
	v_mov_b32_e32 v4, s40
	ds_load_b32 v4, v4
	s_waitcnt lgkmcnt(0)
	v_add_nc_u32_e32 v8, v8, v4
	s_or_b32 exec_lo, exec_lo, s33
	s_and_saveexec_b32 s33, s4
	s_cbranch_execz .LBB94_52
.LBB94_84:                              ;   in Loop: Header=BB94_47 Depth=1
	v_mov_b32_e32 v4, s41
	ds_load_b32 v4, v4
	s_waitcnt lgkmcnt(0)
	v_add_nc_u32_e32 v8, v8, v4
	s_or_b32 exec_lo, exec_lo, s33
	s_and_saveexec_b32 s33, s5
	s_cbranch_execz .LBB94_53
.LBB94_85:                              ;   in Loop: Header=BB94_47 Depth=1
	v_mov_b32_e32 v4, s44
	ds_load_b32 v4, v4
	s_waitcnt lgkmcnt(0)
	v_add_nc_u32_e32 v8, v8, v4
	s_or_b32 exec_lo, exec_lo, s33
	s_and_saveexec_b32 s33, s6
	s_cbranch_execz .LBB94_54
.LBB94_86:                              ;   in Loop: Header=BB94_47 Depth=1
	v_mov_b32_e32 v4, s45
	ds_load_b32 v4, v4
	s_waitcnt lgkmcnt(0)
	v_add_nc_u32_e32 v8, v8, v4
	s_or_b32 exec_lo, exec_lo, s33
	s_and_saveexec_b32 s33, s7
	s_cbranch_execz .LBB94_55
.LBB94_87:                              ;   in Loop: Header=BB94_47 Depth=1
	v_mov_b32_e32 v4, s47
	ds_load_b32 v4, v4
	s_waitcnt lgkmcnt(0)
	v_add_nc_u32_e32 v8, v8, v4
	s_or_b32 exec_lo, exec_lo, s33
	s_and_saveexec_b32 s33, s8
	s_cbranch_execz .LBB94_56
.LBB94_88:                              ;   in Loop: Header=BB94_47 Depth=1
	v_mov_b32_e32 v4, s52
	ds_load_b32 v4, v4
	s_waitcnt lgkmcnt(0)
	v_add_nc_u32_e32 v8, v8, v4
	s_or_b32 exec_lo, exec_lo, s33
	s_and_saveexec_b32 s33, s9
	s_cbranch_execz .LBB94_57
.LBB94_89:                              ;   in Loop: Header=BB94_47 Depth=1
	v_mov_b32_e32 v4, s53
	ds_load_b32 v4, v4
	s_waitcnt lgkmcnt(0)
	v_add_nc_u32_e32 v8, v8, v4
	s_or_b32 exec_lo, exec_lo, s33
	s_and_saveexec_b32 s33, s10
	s_cbranch_execz .LBB94_58
.LBB94_90:                              ;   in Loop: Header=BB94_47 Depth=1
	v_mov_b32_e32 v4, s54
	ds_load_b32 v4, v4
	s_waitcnt lgkmcnt(0)
	v_add_nc_u32_e32 v8, v8, v4
	s_or_b32 exec_lo, exec_lo, s33
	s_and_saveexec_b32 s33, s11
	s_cbranch_execz .LBB94_59
.LBB94_91:                              ;   in Loop: Header=BB94_47 Depth=1
	v_mov_b32_e32 v4, s55
	ds_load_b32 v4, v4
	s_waitcnt lgkmcnt(0)
	v_add_nc_u32_e32 v8, v8, v4
	s_or_b32 exec_lo, exec_lo, s33
	s_and_saveexec_b32 s33, s12
	s_cbranch_execz .LBB94_60
.LBB94_92:                              ;   in Loop: Header=BB94_47 Depth=1
	v_mov_b32_e32 v4, s56
	ds_load_b32 v4, v4
	s_waitcnt lgkmcnt(0)
	v_add_nc_u32_e32 v8, v8, v4
	s_or_b32 exec_lo, exec_lo, s33
	s_and_saveexec_b32 s33, s13
	s_cbranch_execz .LBB94_61
.LBB94_93:                              ;   in Loop: Header=BB94_47 Depth=1
	v_mov_b32_e32 v4, s57
	ds_load_b32 v4, v4
	s_waitcnt lgkmcnt(0)
	v_add_nc_u32_e32 v8, v8, v4
	s_or_b32 exec_lo, exec_lo, s33
	s_and_saveexec_b32 s33, s14
	s_cbranch_execz .LBB94_62
.LBB94_94:                              ;   in Loop: Header=BB94_47 Depth=1
	v_mov_b32_e32 v4, s58
	ds_load_b32 v4, v4
	s_waitcnt lgkmcnt(0)
	v_add_nc_u32_e32 v8, v8, v4
	s_or_b32 exec_lo, exec_lo, s33
	s_and_saveexec_b32 s33, s15
	s_cbranch_execz .LBB94_63
.LBB94_95:                              ;   in Loop: Header=BB94_47 Depth=1
	v_mov_b32_e32 v4, s59
	ds_load_b32 v4, v4
	s_waitcnt lgkmcnt(0)
	v_add_nc_u32_e32 v8, v8, v4
	s_or_b32 exec_lo, exec_lo, s33
	s_and_saveexec_b32 s33, s16
	s_cbranch_execz .LBB94_64
.LBB94_96:                              ;   in Loop: Header=BB94_47 Depth=1
	v_mov_b32_e32 v4, s60
	ds_load_b32 v4, v4
	s_waitcnt lgkmcnt(0)
	v_add_nc_u32_e32 v8, v8, v4
	s_or_b32 exec_lo, exec_lo, s33
	s_and_saveexec_b32 s33, s17
	s_cbranch_execz .LBB94_65
.LBB94_97:                              ;   in Loop: Header=BB94_47 Depth=1
	v_mov_b32_e32 v4, s61
	ds_load_b32 v4, v4
	s_waitcnt lgkmcnt(0)
	v_add_nc_u32_e32 v8, v8, v4
	s_or_b32 exec_lo, exec_lo, s33
	s_and_saveexec_b32 s33, s18
	s_cbranch_execz .LBB94_66
.LBB94_98:                              ;   in Loop: Header=BB94_47 Depth=1
	v_mov_b32_e32 v4, s62
	ds_load_b32 v4, v4
	s_waitcnt lgkmcnt(0)
	v_add_nc_u32_e32 v8, v8, v4
	s_or_b32 exec_lo, exec_lo, s33
	s_and_saveexec_b32 s33, s19
	s_cbranch_execz .LBB94_67
.LBB94_99:                              ;   in Loop: Header=BB94_47 Depth=1
	v_mov_b32_e32 v4, s63
	ds_load_b32 v4, v4
	s_waitcnt lgkmcnt(0)
	v_add_nc_u32_e32 v8, v8, v4
	s_or_b32 exec_lo, exec_lo, s33
	s_and_saveexec_b32 s33, s20
	s_cbranch_execz .LBB94_68
.LBB94_100:                             ;   in Loop: Header=BB94_47 Depth=1
	v_mov_b32_e32 v4, s64
	ds_load_b32 v4, v4
	s_waitcnt lgkmcnt(0)
	v_add_nc_u32_e32 v8, v8, v4
	s_or_b32 exec_lo, exec_lo, s33
	s_and_saveexec_b32 s33, s21
	s_cbranch_execz .LBB94_69
.LBB94_101:                             ;   in Loop: Header=BB94_47 Depth=1
	v_mov_b32_e32 v4, s65
	ds_load_b32 v4, v4
	s_waitcnt lgkmcnt(0)
	v_add_nc_u32_e32 v8, v8, v4
	s_or_b32 exec_lo, exec_lo, s33
	s_and_saveexec_b32 s33, s22
	s_cbranch_execz .LBB94_70
.LBB94_102:                             ;   in Loop: Header=BB94_47 Depth=1
	v_mov_b32_e32 v4, s66
	ds_load_b32 v4, v4
	s_waitcnt lgkmcnt(0)
	v_add_nc_u32_e32 v8, v8, v4
	s_or_b32 exec_lo, exec_lo, s33
	s_and_saveexec_b32 s33, s23
	s_cbranch_execz .LBB94_71
.LBB94_103:                             ;   in Loop: Header=BB94_47 Depth=1
	v_mov_b32_e32 v4, s67
	ds_load_b32 v4, v4
	s_waitcnt lgkmcnt(0)
	v_add_nc_u32_e32 v8, v8, v4
	s_or_b32 exec_lo, exec_lo, s33
	s_and_saveexec_b32 s33, s24
	s_cbranch_execz .LBB94_72
.LBB94_104:                             ;   in Loop: Header=BB94_47 Depth=1
	v_mov_b32_e32 v4, s68
	ds_load_b32 v4, v4
	s_waitcnt lgkmcnt(0)
	v_add_nc_u32_e32 v8, v8, v4
	s_or_b32 exec_lo, exec_lo, s33
	s_and_saveexec_b32 s33, s25
	s_cbranch_execz .LBB94_73
.LBB94_105:                             ;   in Loop: Header=BB94_47 Depth=1
	v_mov_b32_e32 v4, s69
	ds_load_b32 v4, v4
	s_waitcnt lgkmcnt(0)
	v_add_nc_u32_e32 v8, v8, v4
	s_or_b32 exec_lo, exec_lo, s33
	s_and_saveexec_b32 s33, s26
	s_cbranch_execz .LBB94_74
.LBB94_106:                             ;   in Loop: Header=BB94_47 Depth=1
	v_mov_b32_e32 v4, s70
	ds_load_b32 v4, v4
	s_waitcnt lgkmcnt(0)
	v_add_nc_u32_e32 v8, v8, v4
	s_or_b32 exec_lo, exec_lo, s33
	s_and_saveexec_b32 s33, s27
	s_cbranch_execz .LBB94_75
.LBB94_107:                             ;   in Loop: Header=BB94_47 Depth=1
	v_mov_b32_e32 v4, s72
	ds_load_b32 v4, v4
	s_waitcnt lgkmcnt(0)
	v_add_nc_u32_e32 v8, v8, v4
	s_or_b32 exec_lo, exec_lo, s33
	s_and_saveexec_b32 s33, s28
	s_cbranch_execz .LBB94_76
.LBB94_108:                             ;   in Loop: Header=BB94_47 Depth=1
	v_mov_b32_e32 v4, s73
	ds_load_b32 v4, v4
	s_waitcnt lgkmcnt(0)
	v_add_nc_u32_e32 v8, v8, v4
	s_or_b32 exec_lo, exec_lo, s33
	s_and_saveexec_b32 s33, s29
	s_cbranch_execz .LBB94_77
.LBB94_109:                             ;   in Loop: Header=BB94_47 Depth=1
	v_mov_b32_e32 v4, s74
	ds_load_b32 v4, v4
	s_waitcnt lgkmcnt(0)
	v_add_nc_u32_e32 v8, v8, v4
	s_or_b32 exec_lo, exec_lo, s33
	s_and_saveexec_b32 s33, s30
	s_cbranch_execz .LBB94_78
.LBB94_110:                             ;   in Loop: Header=BB94_47 Depth=1
	v_mov_b32_e32 v4, s75
	ds_load_b32 v4, v4
	s_waitcnt lgkmcnt(0)
	v_add_nc_u32_e32 v8, v8, v4
	s_or_b32 exec_lo, exec_lo, s33
	s_delay_alu instid0(VALU_DEP_1)
	v_ashrrev_i32_e32 v9, 31, v8
	s_and_saveexec_b32 s33, s31
	s_cbranch_execz .LBB94_79
.LBB94_111:                             ;   in Loop: Header=BB94_47 Depth=1
	v_add3_u32 v4, v2, -1, v8
	s_delay_alu instid0(VALU_DEP_1) | instskip(SKIP_1) | instid1(VALU_DEP_2)
	v_lshlrev_b32_e32 v16, 2, v4
	v_lshl_add_u32 v4, v4, 3, 0
	v_add3_u32 v16, 0, v16, 0x20000
	ds_store_b64 v4, v[6:7]
	ds_store_b32 v16, v15
	s_or_b32 exec_lo, exec_lo, s33
	s_and_saveexec_b32 s31, vcc_lo
	s_cbranch_execz .LBB94_46
.LBB94_112:                             ;   in Loop: Header=BB94_47 Depth=1
	v_mov_b32_e32 v4, s71
	ds_store_b64 v4, v[8:9]
	s_branch .LBB94_46
.LBB94_113:
	s_or_b32 exec_lo, exec_lo, s36
	s_lshl_b64 s[0:1], s[50:51], 3
	v_mov_b32_e32 v1, 0
	s_add_u32 s0, s42, s0
	s_addc_u32 s1, s43, s1
	s_mov_b32 s6, exec_lo
	s_load_b128 s[0:3], s[0:1], 0x0
	s_waitcnt lgkmcnt(0)
	s_sub_u32 s4, s2, s0
	s_subb_u32 s5, s3, s1
	s_delay_alu instid0(SALU_CYCLE_1)
	v_cmpx_gt_i64_e64 s[4:5], v[0:1]
	s_cbranch_execz .LBB94_123
; %bb.114:
	s_sub_u32 s8, s0, s46
	s_subb_u32 s9, s1, 0
	s_and_b32 s6, s4, 7
	s_sub_u32 s0, s0, s2
	s_subb_u32 s1, s1, s3
	s_mov_b32 s7, 0
	v_cmp_lt_u64_e64 s12, s[0:1], -7
	s_and_b32 s2, s4, -8
	s_cmp_lg_u64 s[6:7], 0
	s_mov_b32 s3, s5
	s_cselect_b32 s13, -1, 0
	s_mov_b32 s14, s7
	s_branch .LBB94_116
.LBB94_115:                             ;   in Loop: Header=BB94_116 Depth=1
	v_add_co_u32 v0, vcc_lo, 0x400, v0
	v_add_co_ci_u32_e32 v1, vcc_lo, 0, v1, vcc_lo
	s_waitcnt lgkmcnt(1)
	v_lshlrev_b64 v[2:3], 2, v[4:5]
	s_delay_alu instid0(VALU_DEP_2) | instskip(NEXT) | instid1(VALU_DEP_2)
	v_cmp_le_i64_e32 vcc_lo, s[4:5], v[0:1]
	v_add_co_u32 v2, s0, s34, v2
	s_delay_alu instid0(VALU_DEP_1)
	v_add_co_ci_u32_e64 v3, s0, s35, v3, s0
	s_or_b32 s14, vcc_lo, s14
	s_waitcnt lgkmcnt(0)
	global_store_b32 v[2:3], v6, off
	s_and_not1_b32 exec_lo, exec_lo, s14
	s_cbranch_execz .LBB94_123
.LBB94_116:                             ; =>This Loop Header: Depth=1
                                        ;     Child Loop BB94_118 Depth 2
                                        ;     Child Loop BB94_122 Depth 2
	v_lshlrev_b32_e32 v2, 2, v0
	v_lshl_add_u32 v3, v0, 3, 0
	s_and_not1_b32 vcc_lo, exec_lo, s12
	s_mov_b64 s[0:1], 0
	s_delay_alu instid0(VALU_DEP_2)
	v_add3_u32 v4, 0, v2, 0x20000
	ds_load_b64 v[2:3], v3
	ds_load_b32 v6, v4
	v_dual_mov_b32 v4, s8 :: v_dual_mov_b32 v5, s9
	s_cbranch_vccnz .LBB94_120
; %bb.117:                              ;   in Loop: Header=BB94_116 Depth=1
	v_dual_mov_b32 v4, s8 :: v_dual_mov_b32 v5, s9
	s_mov_b64 s[10:11], 0
	s_mov_b32 s1, 0
.LBB94_118:                             ;   Parent Loop BB94_116 Depth=1
                                        ; =>  This Inner Loop Header: Depth=2
	s_delay_alu instid0(SALU_CYCLE_1)
	v_mov_b32_e32 v19, s1
	s_add_u32 s10, s10, 8
	s_addc_u32 s11, s11, 0
	s_add_i32 s1, s1, 64
	s_cmp_eq_u64 s[2:3], s[10:11]
	ds_load_2addr_b64 v[7:10], v19 offset1:1
	ds_load_2addr_b64 v[11:14], v19 offset0:2 offset1:3
	ds_load_2addr_b64 v[15:18], v19 offset0:4 offset1:5
	ds_load_2addr_b64 v[19:22], v19 offset0:6 offset1:7
	s_waitcnt lgkmcnt(3)
	v_cmp_gt_i64_e32 vcc_lo, v[2:3], v[7:8]
	v_cndmask_b32_e64 v7, 0, 1, vcc_lo
	v_cmp_gt_i64_e32 vcc_lo, v[2:3], v[9:10]
	v_cndmask_b32_e64 v8, 0, 1, vcc_lo
	s_waitcnt lgkmcnt(2)
	v_cmp_gt_i64_e32 vcc_lo, v[2:3], v[11:12]
	v_cndmask_b32_e64 v9, 0, 1, vcc_lo
	v_cmp_gt_i64_e32 vcc_lo, v[2:3], v[13:14]
	v_cndmask_b32_e64 v10, 0, 1, vcc_lo
	s_waitcnt lgkmcnt(1)
	v_cmp_gt_i64_e32 vcc_lo, v[2:3], v[15:16]
	v_cndmask_b32_e64 v11, 0, 1, vcc_lo
	v_add_co_u32 v4, vcc_lo, v4, v7
	v_add_co_ci_u32_e32 v5, vcc_lo, 0, v5, vcc_lo
	v_cmp_gt_i64_e32 vcc_lo, v[2:3], v[17:18]
	s_delay_alu instid0(VALU_DEP_3) | instskip(NEXT) | instid1(VALU_DEP_1)
	v_add_co_u32 v4, s0, v4, v8
	v_add_co_ci_u32_e64 v5, s0, 0, v5, s0
	v_cndmask_b32_e64 v7, 0, 1, vcc_lo
	s_delay_alu instid0(VALU_DEP_3) | instskip(NEXT) | instid1(VALU_DEP_3)
	v_add_co_u32 v4, vcc_lo, v4, v9
	v_add_co_ci_u32_e32 v5, vcc_lo, 0, v5, vcc_lo
	s_waitcnt lgkmcnt(0)
	v_cmp_gt_i64_e32 vcc_lo, v[2:3], v[19:20]
	s_delay_alu instid0(VALU_DEP_3) | instskip(NEXT) | instid1(VALU_DEP_1)
	v_add_co_u32 v4, s0, v4, v10
	v_add_co_ci_u32_e64 v5, s0, 0, v5, s0
	v_cndmask_b32_e64 v8, 0, 1, vcc_lo
	s_delay_alu instid0(VALU_DEP_3) | instskip(NEXT) | instid1(VALU_DEP_3)
	v_add_co_u32 v4, vcc_lo, v4, v11
	v_add_co_ci_u32_e32 v5, vcc_lo, 0, v5, vcc_lo
	v_cmp_gt_i64_e32 vcc_lo, v[2:3], v[21:22]
	s_delay_alu instid0(VALU_DEP_3) | instskip(NEXT) | instid1(VALU_DEP_1)
	v_add_co_u32 v4, s0, v4, v7
	v_add_co_ci_u32_e64 v5, s0, 0, v5, s0
	v_cndmask_b32_e64 v7, 0, 1, vcc_lo
	s_delay_alu instid0(VALU_DEP_3) | instskip(NEXT) | instid1(VALU_DEP_3)
	v_add_co_u32 v4, vcc_lo, v4, v8
	v_add_co_ci_u32_e32 v5, vcc_lo, 0, v5, vcc_lo
	s_delay_alu instid0(VALU_DEP_2) | instskip(NEXT) | instid1(VALU_DEP_2)
	v_add_co_u32 v4, vcc_lo, v4, v7
	v_add_co_ci_u32_e32 v5, vcc_lo, 0, v5, vcc_lo
	s_cbranch_scc0 .LBB94_118
; %bb.119:                              ;   in Loop: Header=BB94_116 Depth=1
	s_mov_b64 s[0:1], s[2:3]
.LBB94_120:                             ;   in Loop: Header=BB94_116 Depth=1
	s_and_not1_b32 vcc_lo, exec_lo, s13
	s_cbranch_vccnz .LBB94_115
; %bb.121:                              ;   in Loop: Header=BB94_116 Depth=1
	s_lshl_b32 s0, s0, 3
	s_delay_alu instid0(SALU_CYCLE_1)
	s_add_i32 s10, s0, 0
	s_mov_b64 s[0:1], s[6:7]
.LBB94_122:                             ;   Parent Loop BB94_116 Depth=1
                                        ; =>  This Inner Loop Header: Depth=2
	v_mov_b32_e32 v7, s10
	s_add_i32 s10, s10, 8
	s_add_u32 s0, s0, -1
	s_addc_u32 s1, s1, -1
	s_delay_alu instid0(SALU_CYCLE_1) | instskip(SKIP_4) | instid1(VALU_DEP_1)
	s_cmp_lg_u64 s[0:1], 0
	ds_load_b64 v[7:8], v7
	s_waitcnt lgkmcnt(0)
	v_cmp_gt_i64_e32 vcc_lo, v[2:3], v[7:8]
	v_cndmask_b32_e64 v7, 0, 1, vcc_lo
	v_add_co_u32 v4, vcc_lo, v4, v7
	v_add_co_ci_u32_e32 v5, vcc_lo, 0, v5, vcc_lo
	s_cbranch_scc1 .LBB94_122
	s_branch .LBB94_115
.LBB94_123:
	s_nop 0
	s_sendmsg sendmsg(MSG_DEALLOC_VGPRS)
	s_endpgm
	.section	.rodata,"a",@progbits
	.p2align	6, 0x0
	.amdhsa_kernel _ZN9rocsparseL41csrgemm_numeric_fill_block_per_row_kernelILj1024ELj64ELj16384ELj137ELj32EllfEEvT5_PKS1_S3_NS_24const_host_device_scalarIT6_EEPKT4_S3_PKS5_S9_S3_SB_S6_S9_S3_SB_S9_S3_PS5_21rocsparse_index_base_SD_SD_SD_bbb
		.amdhsa_group_segment_fixed_size 0
		.amdhsa_private_segment_fixed_size 0
		.amdhsa_kernarg_size 156
		.amdhsa_user_sgpr_count 15
		.amdhsa_user_sgpr_dispatch_ptr 0
		.amdhsa_user_sgpr_queue_ptr 0
		.amdhsa_user_sgpr_kernarg_segment_ptr 1
		.amdhsa_user_sgpr_dispatch_id 0
		.amdhsa_user_sgpr_private_segment_size 0
		.amdhsa_wavefront_size32 1
		.amdhsa_uses_dynamic_stack 0
		.amdhsa_enable_private_segment 0
		.amdhsa_system_sgpr_workgroup_id_x 1
		.amdhsa_system_sgpr_workgroup_id_y 0
		.amdhsa_system_sgpr_workgroup_id_z 0
		.amdhsa_system_sgpr_workgroup_info 0
		.amdhsa_system_vgpr_workitem_id 0
		.amdhsa_next_free_vgpr 23
		.amdhsa_next_free_sgpr 76
		.amdhsa_reserve_vcc 1
		.amdhsa_float_round_mode_32 0
		.amdhsa_float_round_mode_16_64 0
		.amdhsa_float_denorm_mode_32 3
		.amdhsa_float_denorm_mode_16_64 3
		.amdhsa_dx10_clamp 1
		.amdhsa_ieee_mode 1
		.amdhsa_fp16_overflow 0
		.amdhsa_workgroup_processor_mode 1
		.amdhsa_memory_ordered 1
		.amdhsa_forward_progress 0
		.amdhsa_shared_vgpr_count 0
		.amdhsa_exception_fp_ieee_invalid_op 0
		.amdhsa_exception_fp_denorm_src 0
		.amdhsa_exception_fp_ieee_div_zero 0
		.amdhsa_exception_fp_ieee_overflow 0
		.amdhsa_exception_fp_ieee_underflow 0
		.amdhsa_exception_fp_ieee_inexact 0
		.amdhsa_exception_int_div_zero 0
	.end_amdhsa_kernel
	.section	.text._ZN9rocsparseL41csrgemm_numeric_fill_block_per_row_kernelILj1024ELj64ELj16384ELj137ELj32EllfEEvT5_PKS1_S3_NS_24const_host_device_scalarIT6_EEPKT4_S3_PKS5_S9_S3_SB_S6_S9_S3_SB_S9_S3_PS5_21rocsparse_index_base_SD_SD_SD_bbb,"axG",@progbits,_ZN9rocsparseL41csrgemm_numeric_fill_block_per_row_kernelILj1024ELj64ELj16384ELj137ELj32EllfEEvT5_PKS1_S3_NS_24const_host_device_scalarIT6_EEPKT4_S3_PKS5_S9_S3_SB_S6_S9_S3_SB_S9_S3_PS5_21rocsparse_index_base_SD_SD_SD_bbb,comdat
.Lfunc_end94:
	.size	_ZN9rocsparseL41csrgemm_numeric_fill_block_per_row_kernelILj1024ELj64ELj16384ELj137ELj32EllfEEvT5_PKS1_S3_NS_24const_host_device_scalarIT6_EEPKT4_S3_PKS5_S9_S3_SB_S6_S9_S3_SB_S9_S3_PS5_21rocsparse_index_base_SD_SD_SD_bbb, .Lfunc_end94-_ZN9rocsparseL41csrgemm_numeric_fill_block_per_row_kernelILj1024ELj64ELj16384ELj137ELj32EllfEEvT5_PKS1_S3_NS_24const_host_device_scalarIT6_EEPKT4_S3_PKS5_S9_S3_SB_S6_S9_S3_SB_S9_S3_PS5_21rocsparse_index_base_SD_SD_SD_bbb
                                        ; -- End function
	.section	.AMDGPU.csdata,"",@progbits
; Kernel info:
; codeLenInByte = 4836
; NumSgprs: 78
; NumVgprs: 23
; ScratchSize: 0
; MemoryBound: 0
; FloatMode: 240
; IeeeMode: 1
; LDSByteSize: 0 bytes/workgroup (compile time only)
; SGPRBlocks: 9
; VGPRBlocks: 2
; NumSGPRsForWavesPerEU: 78
; NumVGPRsForWavesPerEU: 23
; Occupancy: 16
; WaveLimiterHint : 1
; COMPUTE_PGM_RSRC2:SCRATCH_EN: 0
; COMPUTE_PGM_RSRC2:USER_SGPR: 15
; COMPUTE_PGM_RSRC2:TRAP_HANDLER: 0
; COMPUTE_PGM_RSRC2:TGID_X_EN: 1
; COMPUTE_PGM_RSRC2:TGID_Y_EN: 0
; COMPUTE_PGM_RSRC2:TGID_Z_EN: 0
; COMPUTE_PGM_RSRC2:TIDIG_COMP_CNT: 0
	.section	.text._ZN9rocsparseL41csrgemm_numeric_fill_block_per_row_kernelILj1024ELj64ELj16384ELj137ELj64EllfEEvT5_PKS1_S3_NS_24const_host_device_scalarIT6_EEPKT4_S3_PKS5_S9_S3_SB_S6_S9_S3_SB_S9_S3_PS5_21rocsparse_index_base_SD_SD_SD_bbb,"axG",@progbits,_ZN9rocsparseL41csrgemm_numeric_fill_block_per_row_kernelILj1024ELj64ELj16384ELj137ELj64EllfEEvT5_PKS1_S3_NS_24const_host_device_scalarIT6_EEPKT4_S3_PKS5_S9_S3_SB_S6_S9_S3_SB_S9_S3_PS5_21rocsparse_index_base_SD_SD_SD_bbb,comdat
	.globl	_ZN9rocsparseL41csrgemm_numeric_fill_block_per_row_kernelILj1024ELj64ELj16384ELj137ELj64EllfEEvT5_PKS1_S3_NS_24const_host_device_scalarIT6_EEPKT4_S3_PKS5_S9_S3_SB_S6_S9_S3_SB_S9_S3_PS5_21rocsparse_index_base_SD_SD_SD_bbb ; -- Begin function _ZN9rocsparseL41csrgemm_numeric_fill_block_per_row_kernelILj1024ELj64ELj16384ELj137ELj64EllfEEvT5_PKS1_S3_NS_24const_host_device_scalarIT6_EEPKT4_S3_PKS5_S9_S3_SB_S6_S9_S3_SB_S9_S3_PS5_21rocsparse_index_base_SD_SD_SD_bbb
	.p2align	8
	.type	_ZN9rocsparseL41csrgemm_numeric_fill_block_per_row_kernelILj1024ELj64ELj16384ELj137ELj64EllfEEvT5_PKS1_S3_NS_24const_host_device_scalarIT6_EEPKT4_S3_PKS5_S9_S3_SB_S6_S9_S3_SB_S9_S3_PS5_21rocsparse_index_base_SD_SD_SD_bbb,@function
_ZN9rocsparseL41csrgemm_numeric_fill_block_per_row_kernelILj1024ELj64ELj16384ELj137ELj64EllfEEvT5_PKS1_S3_NS_24const_host_device_scalarIT6_EEPKT4_S3_PKS5_S9_S3_SB_S6_S9_S3_SB_S9_S3_PS5_21rocsparse_index_base_SD_SD_SD_bbb: ; @_ZN9rocsparseL41csrgemm_numeric_fill_block_per_row_kernelILj1024ELj64ELj16384ELj137ELj64EllfEEvT5_PKS1_S3_NS_24const_host_device_scalarIT6_EEPKT4_S3_PKS5_S9_S3_SB_S6_S9_S3_SB_S9_S3_PS5_21rocsparse_index_base_SD_SD_SD_bbb
; %bb.0:
	s_clause 0x3
	s_load_b32 s3, s[0:1], 0x98
	s_load_b128 s[20:23], s[0:1], 0x88
	s_load_b64 s[4:5], s[0:1], 0x18
	s_load_b64 s[36:37], s[0:1], 0x50
	s_mov_b32 s2, s15
	s_waitcnt lgkmcnt(0)
	s_bitcmp1_b32 s3, 0
	s_cselect_b32 s38, -1, 0
	s_bitcmp1_b32 s3, 16
	s_cselect_b32 s39, -1, 0
	s_xor_b32 s6, s38, -1
	s_delay_alu instid0(SALU_CYCLE_1) | instskip(NEXT) | instid1(SALU_CYCLE_1)
	s_or_b32 s6, s6, s39
	s_and_b32 vcc_lo, exec_lo, s6
	s_cbranch_vccnz .LBB95_2
; %bb.1:
	s_load_b32 s4, s[4:5], 0x0
	s_waitcnt lgkmcnt(0)
	v_mov_b32_e32 v16, s4
	s_branch .LBB95_3
.LBB95_2:
	v_cndmask_b32_e64 v16, 0, s4, s38
.LBB95_3:
	s_clause 0x4
	s_load_b64 s[34:35], s[0:1], 0x80
	s_load_b256 s[12:19], s[0:1], 0x58
	s_load_b128 s[24:27], s[0:1], 0x40
	s_load_b128 s[28:31], s[0:1], 0x8
	s_load_b256 s[4:11], s[0:1], 0x20
	s_bitcmp1_b32 s3, 8
	s_cselect_b32 s33, -1, 0
	s_delay_alu instid0(SALU_CYCLE_1) | instskip(NEXT) | instid1(SALU_CYCLE_1)
	s_xor_b32 s3, s33, -1
	s_or_b32 s3, s3, s39
	s_delay_alu instid0(SALU_CYCLE_1)
	s_and_b32 vcc_lo, exec_lo, s3
	s_cbranch_vccnz .LBB95_5
; %bb.4:
	s_load_b32 s3, s[36:37], 0x0
	s_waitcnt lgkmcnt(0)
	v_mov_b32_e32 v14, s3
	s_branch .LBB95_6
.LBB95_5:
	v_cndmask_b32_e64 v14, 0, s36, s33
.LBB95_6:
	s_load_b64 s[36:37], s[0:1], 0x0
	v_lshl_add_u32 v11, v0, 3, 0
	v_lshlrev_b32_e32 v1, 2, v0
	v_or_b32_e32 v13, 0xfffffc00, v0
	v_mov_b32_e32 v3, 0
	s_mov_b32 s0, 0
	v_mov_b32_e32 v4, v11
	v_add3_u32 v12, v1, 0, 0x20000
	s_delay_alu instid0(VALU_DEP_1)
	v_dual_mov_b32 v6, v13 :: v_dual_mov_b32 v5, v12
	s_waitcnt lgkmcnt(0)
	v_dual_mov_b32 v1, s36 :: v_dual_mov_b32 v2, s37
.LBB95_7:                               ; =>This Inner Loop Header: Depth=1
	s_delay_alu instid0(VALU_DEP_2)
	v_add_nc_u32_e32 v6, 0x400, v6
	ds_store_b64 v4, v[1:2]
	ds_store_b32 v5, v3
	v_add_nc_u32_e32 v5, 0x1000, v5
	v_add_nc_u32_e32 v4, 0x2000, v4
	v_cmp_lt_u32_e32 vcc_lo, 0x3bff, v6
	s_or_b32 s0, vcc_lo, s0
	s_delay_alu instid0(SALU_CYCLE_1)
	s_and_not1_b32 exec_lo, exec_lo, s0
	s_cbranch_execnz .LBB95_7
; %bb.8:
	s_or_b32 exec_lo, exec_lo, s0
	s_waitcnt lgkmcnt(0)
	s_barrier
	buffer_gl0_inv
	s_load_b64 s[0:1], s[28:29], 0x0
	s_mov_b32 s3, 0
	v_lshrrev_b32_e32 v15, 6, v0
	s_waitcnt lgkmcnt(0)
	s_lshl_b64 s[0:1], s[0:1], 3
	s_delay_alu instid0(SALU_CYCLE_1) | instskip(SKIP_2) | instid1(SALU_CYCLE_1)
	s_add_u32 s28, s30, s0
	s_addc_u32 s29, s31, s1
	s_lshl_b64 s[0:1], s[2:3], 3
	s_add_u32 s0, s28, s0
	s_addc_u32 s1, s29, s1
	s_and_b32 vcc_lo, exec_lo, s38
	s_load_b64 s[28:29], s[0:1], 0x0
	s_cbranch_vccz .LBB95_28
; %bb.9:
	s_waitcnt lgkmcnt(0)
	s_lshl_b64 s[0:1], s[28:29], 3
	s_delay_alu instid0(SALU_CYCLE_1)
	s_add_u32 s0, s4, s0
	s_addc_u32 s1, s5, s1
	v_sub_co_u32 v1, s4, v15, s20
	s_load_b128 s[0:3], s[0:1], 0x0
	v_sub_co_ci_u32_e64 v2, null, 0, 0, s4
	s_waitcnt lgkmcnt(0)
	s_delay_alu instid0(VALU_DEP_2) | instskip(NEXT) | instid1(VALU_DEP_2)
	v_add_co_u32 v1, vcc_lo, s0, v1
	v_add_co_ci_u32_e32 v2, vcc_lo, s1, v2, vcc_lo
	s_sub_u32 s0, s2, s20
	s_subb_u32 s1, s3, 0
	s_mov_b32 s2, exec_lo
	s_delay_alu instid0(VALU_DEP_1)
	v_cmpx_gt_i64_e64 s[0:1], v[1:2]
	s_cbranch_execz .LBB95_27
; %bb.10:
	v_and_b32_e32 v3, 63, v0
	s_mov_b32 s4, s21
	s_delay_alu instid0(VALU_DEP_1) | instskip(NEXT) | instid1(VALU_DEP_1)
	v_sub_co_u32 v17, s3, v3, s21
	v_sub_co_ci_u32_e64 v18, null, 0, 0, s3
	s_mov_b32 s3, 0
	s_branch .LBB95_12
.LBB95_11:                              ;   in Loop: Header=BB95_12 Depth=1
	s_or_b32 exec_lo, exec_lo, s5
	v_add_co_u32 v1, vcc_lo, v1, 16
	v_add_co_ci_u32_e32 v2, vcc_lo, 0, v2, vcc_lo
	s_delay_alu instid0(VALU_DEP_1) | instskip(SKIP_1) | instid1(SALU_CYCLE_1)
	v_cmp_le_i64_e32 vcc_lo, s[0:1], v[1:2]
	s_or_b32 s3, vcc_lo, s3
	s_and_not1_b32 exec_lo, exec_lo, s3
	s_cbranch_execz .LBB95_27
.LBB95_12:                              ; =>This Loop Header: Depth=1
                                        ;     Child Loop BB95_15 Depth 2
                                        ;       Child Loop BB95_17 Depth 3
	v_lshlrev_b64 v[3:4], 3, v[1:2]
	s_mov_b32 s5, exec_lo
	s_delay_alu instid0(VALU_DEP_1) | instskip(NEXT) | instid1(VALU_DEP_2)
	v_add_co_u32 v3, vcc_lo, s6, v3
	v_add_co_ci_u32_e32 v4, vcc_lo, s7, v4, vcc_lo
	global_load_b64 v[3:4], v[3:4], off
	s_waitcnt vmcnt(0)
	v_sub_co_u32 v3, vcc_lo, v3, s20
	v_subrev_co_ci_u32_e32 v4, vcc_lo, 0, v4, vcc_lo
	s_delay_alu instid0(VALU_DEP_1) | instskip(NEXT) | instid1(VALU_DEP_1)
	v_lshlrev_b64 v[3:4], 3, v[3:4]
	v_add_co_u32 v3, vcc_lo, s10, v3
	s_delay_alu instid0(VALU_DEP_2)
	v_add_co_ci_u32_e32 v4, vcc_lo, s11, v4, vcc_lo
	global_load_b128 v[5:8], v[3:4], off
	s_waitcnt vmcnt(0)
	v_sub_co_u32 v3, vcc_lo, v7, s4
	v_subrev_co_ci_u32_e32 v4, vcc_lo, 0, v8, vcc_lo
	v_add_co_u32 v5, vcc_lo, v5, v17
	v_add_co_ci_u32_e32 v6, vcc_lo, v6, v18, vcc_lo
	s_delay_alu instid0(VALU_DEP_1)
	v_cmpx_lt_i64_e64 v[5:6], v[3:4]
	s_cbranch_execz .LBB95_11
; %bb.13:                               ;   in Loop: Header=BB95_12 Depth=1
	v_lshlrev_b64 v[7:8], 2, v[1:2]
	s_mov_b32 s21, 0
	s_delay_alu instid0(VALU_DEP_1) | instskip(NEXT) | instid1(VALU_DEP_2)
	v_add_co_u32 v7, vcc_lo, s8, v7
	v_add_co_ci_u32_e32 v8, vcc_lo, s9, v8, vcc_lo
	global_load_b32 v7, v[7:8], off
	s_waitcnt vmcnt(0)
	v_mul_f32_e32 v19, v16, v7
	s_branch .LBB95_15
.LBB95_14:                              ;   in Loop: Header=BB95_15 Depth=2
	s_or_b32 exec_lo, exec_lo, s30
	v_add_co_u32 v5, vcc_lo, v5, 64
	v_add_co_ci_u32_e32 v6, vcc_lo, 0, v6, vcc_lo
	s_delay_alu instid0(VALU_DEP_1) | instskip(SKIP_1) | instid1(SALU_CYCLE_1)
	v_cmp_ge_i64_e32 vcc_lo, v[5:6], v[3:4]
	s_or_b32 s21, vcc_lo, s21
	s_and_not1_b32 exec_lo, exec_lo, s21
	s_cbranch_execz .LBB95_11
.LBB95_15:                              ;   Parent Loop BB95_12 Depth=1
                                        ; =>  This Loop Header: Depth=2
                                        ;       Child Loop BB95_17 Depth 3
	v_lshlrev_b64 v[7:8], 3, v[5:6]
	v_lshlrev_b64 v[9:10], 2, v[5:6]
	s_mov_b32 s30, 0
	s_delay_alu instid0(VALU_DEP_2) | instskip(NEXT) | instid1(VALU_DEP_3)
	v_add_co_u32 v7, vcc_lo, s24, v7
	v_add_co_ci_u32_e32 v8, vcc_lo, s25, v8, vcc_lo
	s_delay_alu instid0(VALU_DEP_3) | instskip(NEXT) | instid1(VALU_DEP_4)
	v_add_co_u32 v9, vcc_lo, s26, v9
	v_add_co_ci_u32_e32 v10, vcc_lo, s27, v10, vcc_lo
	global_load_b64 v[7:8], v[7:8], off
	global_load_b32 v9, v[9:10], off
	s_waitcnt vmcnt(1)
	v_sub_co_u32 v7, vcc_lo, v7, s4
	v_subrev_co_ci_u32_e32 v8, vcc_lo, 0, v8, vcc_lo
	s_delay_alu instid0(VALU_DEP_2) | instskip(SKIP_1) | instid1(VALU_DEP_1)
	v_mul_lo_u32 v10, 0x89, v7
	s_waitcnt vmcnt(0)
	v_dual_mul_f32 v20, v19, v9 :: v_dual_and_b32 v21, 0x3fff, v10
	s_branch .LBB95_17
.LBB95_16:                              ;   in Loop: Header=BB95_17 Depth=3
	s_or_b32 exec_lo, exec_lo, s31
	s_xor_b32 s31, s38, -1
	s_delay_alu instid0(SALU_CYCLE_1) | instskip(NEXT) | instid1(SALU_CYCLE_1)
	s_and_b32 s31, exec_lo, s31
	s_or_b32 s30, s31, s30
	s_delay_alu instid0(SALU_CYCLE_1)
	s_and_not1_b32 exec_lo, exec_lo, s30
	s_cbranch_execz .LBB95_14
.LBB95_17:                              ;   Parent Loop BB95_12 Depth=1
                                        ;     Parent Loop BB95_15 Depth=2
                                        ; =>    This Inner Loop Header: Depth=3
	s_delay_alu instid0(VALU_DEP_1)
	v_lshl_add_u32 v22, v21, 3, 0
	s_mov_b32 s31, exec_lo
                                        ; implicit-def: $sgpr38
	ds_load_b64 v[9:10], v22
	s_waitcnt lgkmcnt(0)
	v_cmpx_ne_u64_e64 v[9:10], v[7:8]
	s_xor_b32 s31, exec_lo, s31
	s_cbranch_execz .LBB95_25
; %bb.18:                               ;   in Loop: Header=BB95_17 Depth=3
	s_mov_b32 s39, exec_lo
                                        ; implicit-def: $sgpr38
	v_cmpx_ne_u64_e64 s[36:37], v[9:10]
	s_xor_b32 s39, exec_lo, s39
; %bb.19:                               ;   in Loop: Header=BB95_17 Depth=3
	v_add_nc_u32_e32 v9, 1, v21
	s_mov_b32 s38, -1
                                        ; implicit-def: $vgpr22
	s_delay_alu instid0(VALU_DEP_1)
	v_and_b32_e32 v21, 0x3fff, v9
; %bb.20:                               ;   in Loop: Header=BB95_17 Depth=3
	s_and_not1_saveexec_b32 s39, s39
	s_cbranch_execz .LBB95_24
; %bb.21:                               ;   in Loop: Header=BB95_17 Depth=3
	v_dual_mov_b32 v9, s36 :: v_dual_mov_b32 v10, s37
	s_mov_b32 s40, -1
	s_mov_b32 s41, exec_lo
	ds_cmpstore_rtn_b64 v[9:10], v22, v[7:8], v[9:10]
	s_waitcnt lgkmcnt(0)
	v_cmpx_eq_u64_e64 s[36:37], v[9:10]
	s_cbranch_execz .LBB95_23
; %bb.22:                               ;   in Loop: Header=BB95_17 Depth=3
	v_lshlrev_b32_e32 v9, 2, v21
	s_xor_b32 s40, exec_lo, -1
	s_delay_alu instid0(VALU_DEP_1)
	v_add3_u32 v9, 0, v9, 0x20000
	ds_add_f32 v9, v20
.LBB95_23:                              ;   in Loop: Header=BB95_17 Depth=3
	s_or_b32 exec_lo, exec_lo, s41
	s_delay_alu instid0(SALU_CYCLE_1) | instskip(SKIP_1) | instid1(SALU_CYCLE_1)
	s_and_not1_b32 s38, s38, exec_lo
	s_and_b32 s40, s40, exec_lo
	s_or_b32 s38, s38, s40
.LBB95_24:                              ;   in Loop: Header=BB95_17 Depth=3
	s_or_b32 exec_lo, exec_lo, s39
	s_delay_alu instid0(SALU_CYCLE_1)
	s_and_b32 s38, s38, exec_lo
.LBB95_25:                              ;   in Loop: Header=BB95_17 Depth=3
	s_and_not1_saveexec_b32 s31, s31
	s_cbranch_execz .LBB95_16
; %bb.26:                               ;   in Loop: Header=BB95_17 Depth=3
	v_lshlrev_b32_e32 v9, 2, v21
	s_and_not1_b32 s38, s38, exec_lo
	s_delay_alu instid0(VALU_DEP_1)
	v_add3_u32 v9, 0, v9, 0x20000
	ds_add_f32 v9, v20
	s_branch .LBB95_16
.LBB95_27:
	s_or_b32 exec_lo, exec_lo, s2
.LBB95_28:
	s_delay_alu instid0(SALU_CYCLE_1)
	s_and_not1_b32 vcc_lo, exec_lo, s33
	s_cbranch_vccnz .LBB95_45
; %bb.29:
	s_waitcnt lgkmcnt(0)
	s_lshl_b64 s[0:1], s[28:29], 3
	v_sub_co_u32 v1, s4, v0, s23
	s_add_u32 s0, s12, s0
	s_addc_u32 s1, s13, s1
	v_sub_co_ci_u32_e64 v2, null, 0, 0, s4
	s_load_b128 s[0:3], s[0:1], 0x0
	s_waitcnt lgkmcnt(0)
	v_add_co_u32 v1, vcc_lo, s0, v1
	s_delay_alu instid0(VALU_DEP_2)
	v_add_co_ci_u32_e32 v2, vcc_lo, s1, v2, vcc_lo
	s_sub_u32 s0, s2, s23
	s_subb_u32 s1, s3, 0
	s_mov_b32 s2, 0
	s_mov_b32 s3, exec_lo
	v_cmpx_gt_i64_e64 s[0:1], v[1:2]
	s_cbranch_execz .LBB95_44
; %bb.30:
	s_mov_b32 s4, s23
	s_branch .LBB95_32
.LBB95_31:                              ;   in Loop: Header=BB95_32 Depth=1
	s_or_b32 exec_lo, exec_lo, s5
	v_add_co_u32 v1, vcc_lo, 0x400, v1
	v_add_co_ci_u32_e32 v2, vcc_lo, 0, v2, vcc_lo
	s_delay_alu instid0(VALU_DEP_1) | instskip(SKIP_1) | instid1(SALU_CYCLE_1)
	v_cmp_le_i64_e32 vcc_lo, s[0:1], v[1:2]
	s_or_b32 s2, vcc_lo, s2
	s_and_not1_b32 exec_lo, exec_lo, s2
	s_cbranch_execz .LBB95_44
.LBB95_32:                              ; =>This Loop Header: Depth=1
                                        ;     Child Loop BB95_34 Depth 2
	v_lshlrev_b64 v[3:4], 3, v[1:2]
	v_lshlrev_b64 v[5:6], 2, v[1:2]
	s_mov_b32 s5, 0
	s_delay_alu instid0(VALU_DEP_2) | instskip(NEXT) | instid1(VALU_DEP_3)
	v_add_co_u32 v3, vcc_lo, s14, v3
	v_add_co_ci_u32_e32 v4, vcc_lo, s15, v4, vcc_lo
	s_delay_alu instid0(VALU_DEP_3) | instskip(NEXT) | instid1(VALU_DEP_4)
	v_add_co_u32 v5, vcc_lo, s16, v5
	v_add_co_ci_u32_e32 v6, vcc_lo, s17, v6, vcc_lo
	global_load_b64 v[3:4], v[3:4], off
	global_load_b32 v5, v[5:6], off
	s_waitcnt vmcnt(1)
	v_sub_co_u32 v3, vcc_lo, v3, s4
	v_subrev_co_ci_u32_e32 v4, vcc_lo, 0, v4, vcc_lo
	s_delay_alu instid0(VALU_DEP_2) | instskip(SKIP_1) | instid1(VALU_DEP_1)
	v_mul_lo_u32 v6, 0x89, v3
	s_waitcnt vmcnt(0)
	v_dual_mul_f32 v7, v14, v5 :: v_dual_and_b32 v8, 0x3fff, v6
	s_branch .LBB95_34
.LBB95_33:                              ;   in Loop: Header=BB95_34 Depth=2
	s_or_b32 exec_lo, exec_lo, s6
	s_xor_b32 s6, s7, -1
	s_delay_alu instid0(SALU_CYCLE_1) | instskip(NEXT) | instid1(SALU_CYCLE_1)
	s_and_b32 s6, exec_lo, s6
	s_or_b32 s5, s6, s5
	s_delay_alu instid0(SALU_CYCLE_1)
	s_and_not1_b32 exec_lo, exec_lo, s5
	s_cbranch_execz .LBB95_31
.LBB95_34:                              ;   Parent Loop BB95_32 Depth=1
                                        ; =>  This Inner Loop Header: Depth=2
	s_delay_alu instid0(VALU_DEP_1)
	v_lshl_add_u32 v9, v8, 3, 0
	s_mov_b32 s6, exec_lo
                                        ; implicit-def: $sgpr7
	ds_load_b64 v[5:6], v9
	s_waitcnt lgkmcnt(0)
	v_cmpx_ne_u64_e64 v[5:6], v[3:4]
	s_xor_b32 s6, exec_lo, s6
	s_cbranch_execz .LBB95_42
; %bb.35:                               ;   in Loop: Header=BB95_34 Depth=2
	s_mov_b32 s8, exec_lo
                                        ; implicit-def: $sgpr7
	v_cmpx_ne_u64_e64 s[36:37], v[5:6]
	s_xor_b32 s8, exec_lo, s8
; %bb.36:                               ;   in Loop: Header=BB95_34 Depth=2
	v_add_nc_u32_e32 v5, 1, v8
	s_mov_b32 s7, -1
                                        ; implicit-def: $vgpr9
	s_delay_alu instid0(VALU_DEP_1)
	v_and_b32_e32 v8, 0x3fff, v5
; %bb.37:                               ;   in Loop: Header=BB95_34 Depth=2
	s_and_not1_saveexec_b32 s8, s8
	s_cbranch_execz .LBB95_41
; %bb.38:                               ;   in Loop: Header=BB95_34 Depth=2
	v_dual_mov_b32 v5, s36 :: v_dual_mov_b32 v6, s37
	s_mov_b32 s9, -1
	s_mov_b32 s10, exec_lo
	ds_cmpstore_rtn_b64 v[5:6], v9, v[3:4], v[5:6]
	s_waitcnt lgkmcnt(0)
	v_cmpx_eq_u64_e64 s[36:37], v[5:6]
	s_cbranch_execz .LBB95_40
; %bb.39:                               ;   in Loop: Header=BB95_34 Depth=2
	v_lshlrev_b32_e32 v5, 2, v8
	s_xor_b32 s9, exec_lo, -1
	s_delay_alu instid0(VALU_DEP_1)
	v_add3_u32 v5, 0, v5, 0x20000
	ds_add_f32 v5, v7
.LBB95_40:                              ;   in Loop: Header=BB95_34 Depth=2
	s_or_b32 exec_lo, exec_lo, s10
	s_delay_alu instid0(SALU_CYCLE_1) | instskip(SKIP_1) | instid1(SALU_CYCLE_1)
	s_and_not1_b32 s7, s7, exec_lo
	s_and_b32 s9, s9, exec_lo
	s_or_b32 s7, s7, s9
.LBB95_41:                              ;   in Loop: Header=BB95_34 Depth=2
	s_or_b32 exec_lo, exec_lo, s8
	s_delay_alu instid0(SALU_CYCLE_1)
	s_and_b32 s7, s7, exec_lo
.LBB95_42:                              ;   in Loop: Header=BB95_34 Depth=2
	s_and_not1_saveexec_b32 s6, s6
	s_cbranch_execz .LBB95_33
; %bb.43:                               ;   in Loop: Header=BB95_34 Depth=2
	v_lshlrev_b32_e32 v5, 2, v8
	s_and_not1_b32 s7, s7, exec_lo
	s_delay_alu instid0(VALU_DEP_1)
	v_add3_u32 v5, 0, v5, 0x20000
	ds_add_f32 v5, v7
	s_branch .LBB95_33
.LBB95_44:
	s_or_b32 exec_lo, exec_lo, s3
.LBB95_45:
	v_mbcnt_lo_u32_b32 v1, -1, 0
	v_dual_mov_b32 v5, 0 :: v_dual_lshlrev_b32 v2, 3, v15
	s_add_i32 s39, 0, 0x30078
	v_cmp_eq_u32_e32 vcc_lo, 0x3ff, v0
	s_delay_alu instid0(VALU_DEP_3) | instskip(NEXT) | instid1(VALU_DEP_3)
	v_xor_b32_e32 v1, 63, v1
	v_add3_u32 v10, 0, 0x30000, v2
	v_cmp_lt_u32_e64 s0, 63, v0
	v_cmp_lt_u32_e64 s1, 0x7f, v0
	;; [unrolled: 1-line block ×3, first 2 shown]
	v_lshrrev_b64 v[1:2], v1, -1
	v_mov_b32_e32 v2, 0
	v_cmp_lt_u32_e64 s3, 0xff, v0
	v_cmp_lt_u32_e64 s4, 0x13f, v0
	;; [unrolled: 1-line block ×12, first 2 shown]
	v_dual_mov_b32 v3, 0 :: v_dual_mov_b32 v14, s39
	s_mov_b32 s17, 0
	s_add_i32 s20, 0, 0x30000
	s_add_i32 s21, 0, 0x30008
	;; [unrolled: 1-line block ×15, first 2 shown]
	s_waitcnt lgkmcnt(0)
	s_barrier
	buffer_gl0_inv
	s_branch .LBB95_47
.LBB95_46:                              ;   in Loop: Header=BB95_47 Depth=1
	s_or_b32 exec_lo, exec_lo, s15
	s_waitcnt lgkmcnt(0)
	s_barrier
	buffer_gl0_inv
	ds_load_b64 v[6:7], v14
	v_add_nc_u32_e32 v13, 0x400, v13
	v_add_nc_u32_e32 v12, 0x1000, v12
	;; [unrolled: 1-line block ×3, first 2 shown]
	s_delay_alu instid0(VALU_DEP_3) | instskip(NEXT) | instid1(VALU_DEP_1)
	v_cmp_lt_u32_e64 s15, 0x3bff, v13
	s_or_b32 s17, s15, s17
	s_waitcnt lgkmcnt(0)
	v_add_co_u32 v2, s16, v6, v2
	s_delay_alu instid0(VALU_DEP_1)
	v_add_co_ci_u32_e64 v3, s16, v7, v3, s16
	s_and_not1_b32 exec_lo, exec_lo, s17
	s_cbranch_execz .LBB95_81
.LBB95_47:                              ; =>This Inner Loop Header: Depth=1
	ds_load_b64 v[6:7], v11
	ds_load_b32 v15, v12
	s_waitcnt lgkmcnt(0)
	s_barrier
	buffer_gl0_inv
	v_cmp_gt_i64_e64 s15, s[36:37], v[6:7]
	s_delay_alu instid0(VALU_DEP_1) | instskip(SKIP_1) | instid1(SALU_CYCLE_1)
	v_and_b32_e32 v8, s15, v1
	s_bcnt1_i32_b32 s16, s15
	v_mov_b32_e32 v4, s16
	s_delay_alu instid0(VALU_DEP_2)
	v_bcnt_u32_b32 v8, v8, 0
	ds_store_b64 v10, v[4:5]
	s_waitcnt lgkmcnt(0)
	s_barrier
	buffer_gl0_inv
	s_and_saveexec_b32 s16, s0
	s_cbranch_execnz .LBB95_64
; %bb.48:                               ;   in Loop: Header=BB95_47 Depth=1
	s_or_b32 exec_lo, exec_lo, s16
	s_and_saveexec_b32 s16, s1
	s_cbranch_execnz .LBB95_65
.LBB95_49:                              ;   in Loop: Header=BB95_47 Depth=1
	s_or_b32 exec_lo, exec_lo, s16
	s_and_saveexec_b32 s16, s2
	s_cbranch_execnz .LBB95_66
.LBB95_50:                              ;   in Loop: Header=BB95_47 Depth=1
	s_or_b32 exec_lo, exec_lo, s16
	s_and_saveexec_b32 s16, s3
	s_cbranch_execnz .LBB95_67
.LBB95_51:                              ;   in Loop: Header=BB95_47 Depth=1
	s_or_b32 exec_lo, exec_lo, s16
	s_and_saveexec_b32 s16, s4
	s_cbranch_execnz .LBB95_68
.LBB95_52:                              ;   in Loop: Header=BB95_47 Depth=1
	s_or_b32 exec_lo, exec_lo, s16
	s_and_saveexec_b32 s16, s5
	s_cbranch_execnz .LBB95_69
.LBB95_53:                              ;   in Loop: Header=BB95_47 Depth=1
	s_or_b32 exec_lo, exec_lo, s16
	s_and_saveexec_b32 s16, s6
	s_cbranch_execnz .LBB95_70
.LBB95_54:                              ;   in Loop: Header=BB95_47 Depth=1
	s_or_b32 exec_lo, exec_lo, s16
	s_and_saveexec_b32 s16, s7
	s_cbranch_execnz .LBB95_71
.LBB95_55:                              ;   in Loop: Header=BB95_47 Depth=1
	s_or_b32 exec_lo, exec_lo, s16
	s_and_saveexec_b32 s16, s8
	s_cbranch_execnz .LBB95_72
.LBB95_56:                              ;   in Loop: Header=BB95_47 Depth=1
	s_or_b32 exec_lo, exec_lo, s16
	s_and_saveexec_b32 s16, s9
	s_cbranch_execnz .LBB95_73
.LBB95_57:                              ;   in Loop: Header=BB95_47 Depth=1
	s_or_b32 exec_lo, exec_lo, s16
	s_and_saveexec_b32 s16, s10
	s_cbranch_execnz .LBB95_74
.LBB95_58:                              ;   in Loop: Header=BB95_47 Depth=1
	s_or_b32 exec_lo, exec_lo, s16
	s_and_saveexec_b32 s16, s11
	s_cbranch_execnz .LBB95_75
.LBB95_59:                              ;   in Loop: Header=BB95_47 Depth=1
	s_or_b32 exec_lo, exec_lo, s16
	s_and_saveexec_b32 s16, s12
	s_cbranch_execnz .LBB95_76
.LBB95_60:                              ;   in Loop: Header=BB95_47 Depth=1
	s_or_b32 exec_lo, exec_lo, s16
	s_and_saveexec_b32 s16, s13
	s_cbranch_execnz .LBB95_77
.LBB95_61:                              ;   in Loop: Header=BB95_47 Depth=1
	s_or_b32 exec_lo, exec_lo, s16
	s_and_saveexec_b32 s16, s14
	s_cbranch_execnz .LBB95_78
.LBB95_62:                              ;   in Loop: Header=BB95_47 Depth=1
	s_or_b32 exec_lo, exec_lo, s16
	v_ashrrev_i32_e32 v9, 31, v8
	s_and_saveexec_b32 s16, s15
	s_cbranch_execnz .LBB95_79
.LBB95_63:                              ;   in Loop: Header=BB95_47 Depth=1
	s_or_b32 exec_lo, exec_lo, s16
	s_and_saveexec_b32 s15, vcc_lo
	s_cbranch_execz .LBB95_46
	s_branch .LBB95_80
.LBB95_64:                              ;   in Loop: Header=BB95_47 Depth=1
	v_mov_b32_e32 v4, s20
	ds_load_b32 v4, v4
	s_waitcnt lgkmcnt(0)
	v_add_nc_u32_e32 v8, v4, v8
	s_or_b32 exec_lo, exec_lo, s16
	s_and_saveexec_b32 s16, s1
	s_cbranch_execz .LBB95_49
.LBB95_65:                              ;   in Loop: Header=BB95_47 Depth=1
	v_mov_b32_e32 v4, s21
	ds_load_b32 v4, v4
	s_waitcnt lgkmcnt(0)
	v_add_nc_u32_e32 v8, v8, v4
	s_or_b32 exec_lo, exec_lo, s16
	s_and_saveexec_b32 s16, s2
	s_cbranch_execz .LBB95_50
.LBB95_66:                              ;   in Loop: Header=BB95_47 Depth=1
	v_mov_b32_e32 v4, s23
	ds_load_b32 v4, v4
	s_waitcnt lgkmcnt(0)
	v_add_nc_u32_e32 v8, v8, v4
	s_or_b32 exec_lo, exec_lo, s16
	s_and_saveexec_b32 s16, s3
	s_cbranch_execz .LBB95_51
.LBB95_67:                              ;   in Loop: Header=BB95_47 Depth=1
	v_mov_b32_e32 v4, s24
	ds_load_b32 v4, v4
	s_waitcnt lgkmcnt(0)
	v_add_nc_u32_e32 v8, v8, v4
	s_or_b32 exec_lo, exec_lo, s16
	s_and_saveexec_b32 s16, s4
	s_cbranch_execz .LBB95_52
.LBB95_68:                              ;   in Loop: Header=BB95_47 Depth=1
	v_mov_b32_e32 v4, s25
	ds_load_b32 v4, v4
	s_waitcnt lgkmcnt(0)
	v_add_nc_u32_e32 v8, v8, v4
	s_or_b32 exec_lo, exec_lo, s16
	s_and_saveexec_b32 s16, s5
	s_cbranch_execz .LBB95_53
.LBB95_69:                              ;   in Loop: Header=BB95_47 Depth=1
	v_mov_b32_e32 v4, s26
	ds_load_b32 v4, v4
	s_waitcnt lgkmcnt(0)
	v_add_nc_u32_e32 v8, v8, v4
	s_or_b32 exec_lo, exec_lo, s16
	s_and_saveexec_b32 s16, s6
	s_cbranch_execz .LBB95_54
.LBB95_70:                              ;   in Loop: Header=BB95_47 Depth=1
	v_mov_b32_e32 v4, s27
	ds_load_b32 v4, v4
	s_waitcnt lgkmcnt(0)
	v_add_nc_u32_e32 v8, v8, v4
	s_or_b32 exec_lo, exec_lo, s16
	s_and_saveexec_b32 s16, s7
	s_cbranch_execz .LBB95_55
.LBB95_71:                              ;   in Loop: Header=BB95_47 Depth=1
	v_mov_b32_e32 v4, s30
	ds_load_b32 v4, v4
	s_waitcnt lgkmcnt(0)
	v_add_nc_u32_e32 v8, v8, v4
	s_or_b32 exec_lo, exec_lo, s16
	s_and_saveexec_b32 s16, s8
	s_cbranch_execz .LBB95_56
.LBB95_72:                              ;   in Loop: Header=BB95_47 Depth=1
	v_mov_b32_e32 v4, s31
	ds_load_b32 v4, v4
	s_waitcnt lgkmcnt(0)
	v_add_nc_u32_e32 v8, v8, v4
	s_or_b32 exec_lo, exec_lo, s16
	s_and_saveexec_b32 s16, s9
	s_cbranch_execz .LBB95_57
.LBB95_73:                              ;   in Loop: Header=BB95_47 Depth=1
	v_mov_b32_e32 v4, s33
	ds_load_b32 v4, v4
	s_waitcnt lgkmcnt(0)
	v_add_nc_u32_e32 v8, v8, v4
	s_or_b32 exec_lo, exec_lo, s16
	s_and_saveexec_b32 s16, s10
	s_cbranch_execz .LBB95_58
.LBB95_74:                              ;   in Loop: Header=BB95_47 Depth=1
	v_mov_b32_e32 v4, s38
	ds_load_b32 v4, v4
	s_waitcnt lgkmcnt(0)
	v_add_nc_u32_e32 v8, v8, v4
	s_or_b32 exec_lo, exec_lo, s16
	s_and_saveexec_b32 s16, s11
	s_cbranch_execz .LBB95_59
.LBB95_75:                              ;   in Loop: Header=BB95_47 Depth=1
	v_mov_b32_e32 v4, s40
	ds_load_b32 v4, v4
	s_waitcnt lgkmcnt(0)
	v_add_nc_u32_e32 v8, v8, v4
	s_or_b32 exec_lo, exec_lo, s16
	s_and_saveexec_b32 s16, s12
	s_cbranch_execz .LBB95_60
.LBB95_76:                              ;   in Loop: Header=BB95_47 Depth=1
	v_mov_b32_e32 v4, s41
	ds_load_b32 v4, v4
	s_waitcnt lgkmcnt(0)
	v_add_nc_u32_e32 v8, v8, v4
	s_or_b32 exec_lo, exec_lo, s16
	s_and_saveexec_b32 s16, s13
	s_cbranch_execz .LBB95_61
.LBB95_77:                              ;   in Loop: Header=BB95_47 Depth=1
	v_mov_b32_e32 v4, s42
	ds_load_b32 v4, v4
	s_waitcnt lgkmcnt(0)
	v_add_nc_u32_e32 v8, v8, v4
	s_or_b32 exec_lo, exec_lo, s16
	s_and_saveexec_b32 s16, s14
	s_cbranch_execz .LBB95_62
.LBB95_78:                              ;   in Loop: Header=BB95_47 Depth=1
	v_mov_b32_e32 v4, s43
	ds_load_b32 v4, v4
	s_waitcnt lgkmcnt(0)
	v_add_nc_u32_e32 v8, v8, v4
	s_or_b32 exec_lo, exec_lo, s16
	s_delay_alu instid0(VALU_DEP_1)
	v_ashrrev_i32_e32 v9, 31, v8
	s_and_saveexec_b32 s16, s15
	s_cbranch_execz .LBB95_63
.LBB95_79:                              ;   in Loop: Header=BB95_47 Depth=1
	v_add3_u32 v4, v2, -1, v8
	s_delay_alu instid0(VALU_DEP_1) | instskip(SKIP_1) | instid1(VALU_DEP_2)
	v_lshlrev_b32_e32 v16, 2, v4
	v_lshl_add_u32 v4, v4, 3, 0
	v_add3_u32 v16, 0, v16, 0x20000
	ds_store_b64 v4, v[6:7]
	ds_store_b32 v16, v15
	s_or_b32 exec_lo, exec_lo, s16
	s_and_saveexec_b32 s15, vcc_lo
	s_cbranch_execz .LBB95_46
.LBB95_80:                              ;   in Loop: Header=BB95_47 Depth=1
	v_mov_b32_e32 v4, s39
	ds_store_b64 v4, v[8:9]
	s_branch .LBB95_46
.LBB95_81:
	s_or_b32 exec_lo, exec_lo, s17
	s_lshl_b64 s[0:1], s[28:29], 3
	v_mov_b32_e32 v1, 0
	s_add_u32 s0, s18, s0
	s_addc_u32 s1, s19, s1
	s_mov_b32 s6, exec_lo
	s_load_b128 s[0:3], s[0:1], 0x0
	s_waitcnt lgkmcnt(0)
	s_sub_u32 s4, s2, s0
	s_subb_u32 s5, s3, s1
	s_delay_alu instid0(SALU_CYCLE_1)
	v_cmpx_gt_i64_e64 s[4:5], v[0:1]
	s_cbranch_execz .LBB95_91
; %bb.82:
	s_sub_u32 s8, s0, s22
	s_subb_u32 s9, s1, 0
	s_and_b32 s6, s4, 7
	s_sub_u32 s0, s0, s2
	s_subb_u32 s1, s1, s3
	s_mov_b32 s7, 0
	v_cmp_lt_u64_e64 s12, s[0:1], -7
	s_and_b32 s2, s4, -8
	s_cmp_lg_u64 s[6:7], 0
	s_mov_b32 s3, s5
	s_cselect_b32 s13, -1, 0
	s_mov_b32 s14, s7
	s_branch .LBB95_84
.LBB95_83:                              ;   in Loop: Header=BB95_84 Depth=1
	v_add_co_u32 v0, vcc_lo, 0x400, v0
	v_add_co_ci_u32_e32 v1, vcc_lo, 0, v1, vcc_lo
	s_waitcnt lgkmcnt(1)
	v_lshlrev_b64 v[2:3], 2, v[4:5]
	s_delay_alu instid0(VALU_DEP_2) | instskip(NEXT) | instid1(VALU_DEP_2)
	v_cmp_le_i64_e32 vcc_lo, s[4:5], v[0:1]
	v_add_co_u32 v2, s0, s34, v2
	s_delay_alu instid0(VALU_DEP_1)
	v_add_co_ci_u32_e64 v3, s0, s35, v3, s0
	s_or_b32 s14, vcc_lo, s14
	s_waitcnt lgkmcnt(0)
	global_store_b32 v[2:3], v6, off
	s_and_not1_b32 exec_lo, exec_lo, s14
	s_cbranch_execz .LBB95_91
.LBB95_84:                              ; =>This Loop Header: Depth=1
                                        ;     Child Loop BB95_86 Depth 2
                                        ;     Child Loop BB95_90 Depth 2
	v_lshlrev_b32_e32 v2, 2, v0
	v_lshl_add_u32 v3, v0, 3, 0
	s_and_not1_b32 vcc_lo, exec_lo, s12
	s_mov_b64 s[0:1], 0
	s_delay_alu instid0(VALU_DEP_2)
	v_add3_u32 v4, 0, v2, 0x20000
	ds_load_b64 v[2:3], v3
	ds_load_b32 v6, v4
	v_dual_mov_b32 v4, s8 :: v_dual_mov_b32 v5, s9
	s_cbranch_vccnz .LBB95_88
; %bb.85:                               ;   in Loop: Header=BB95_84 Depth=1
	v_dual_mov_b32 v4, s8 :: v_dual_mov_b32 v5, s9
	s_mov_b64 s[10:11], 0
	s_mov_b32 s1, 0
.LBB95_86:                              ;   Parent Loop BB95_84 Depth=1
                                        ; =>  This Inner Loop Header: Depth=2
	s_delay_alu instid0(SALU_CYCLE_1)
	v_mov_b32_e32 v19, s1
	s_add_u32 s10, s10, 8
	s_addc_u32 s11, s11, 0
	s_add_i32 s1, s1, 64
	s_cmp_eq_u64 s[2:3], s[10:11]
	ds_load_2addr_b64 v[7:10], v19 offset1:1
	ds_load_2addr_b64 v[11:14], v19 offset0:2 offset1:3
	ds_load_2addr_b64 v[15:18], v19 offset0:4 offset1:5
	;; [unrolled: 1-line block ×3, first 2 shown]
	s_waitcnt lgkmcnt(3)
	v_cmp_gt_i64_e32 vcc_lo, v[2:3], v[7:8]
	v_cndmask_b32_e64 v7, 0, 1, vcc_lo
	v_cmp_gt_i64_e32 vcc_lo, v[2:3], v[9:10]
	v_cndmask_b32_e64 v8, 0, 1, vcc_lo
	s_waitcnt lgkmcnt(2)
	v_cmp_gt_i64_e32 vcc_lo, v[2:3], v[11:12]
	v_cndmask_b32_e64 v9, 0, 1, vcc_lo
	v_cmp_gt_i64_e32 vcc_lo, v[2:3], v[13:14]
	v_cndmask_b32_e64 v10, 0, 1, vcc_lo
	s_waitcnt lgkmcnt(1)
	v_cmp_gt_i64_e32 vcc_lo, v[2:3], v[15:16]
	v_cndmask_b32_e64 v11, 0, 1, vcc_lo
	v_add_co_u32 v4, vcc_lo, v4, v7
	v_add_co_ci_u32_e32 v5, vcc_lo, 0, v5, vcc_lo
	v_cmp_gt_i64_e32 vcc_lo, v[2:3], v[17:18]
	s_delay_alu instid0(VALU_DEP_3) | instskip(NEXT) | instid1(VALU_DEP_1)
	v_add_co_u32 v4, s0, v4, v8
	v_add_co_ci_u32_e64 v5, s0, 0, v5, s0
	v_cndmask_b32_e64 v7, 0, 1, vcc_lo
	s_delay_alu instid0(VALU_DEP_3) | instskip(NEXT) | instid1(VALU_DEP_3)
	v_add_co_u32 v4, vcc_lo, v4, v9
	v_add_co_ci_u32_e32 v5, vcc_lo, 0, v5, vcc_lo
	s_waitcnt lgkmcnt(0)
	v_cmp_gt_i64_e32 vcc_lo, v[2:3], v[19:20]
	s_delay_alu instid0(VALU_DEP_3) | instskip(NEXT) | instid1(VALU_DEP_1)
	v_add_co_u32 v4, s0, v4, v10
	v_add_co_ci_u32_e64 v5, s0, 0, v5, s0
	v_cndmask_b32_e64 v8, 0, 1, vcc_lo
	s_delay_alu instid0(VALU_DEP_3) | instskip(NEXT) | instid1(VALU_DEP_3)
	v_add_co_u32 v4, vcc_lo, v4, v11
	v_add_co_ci_u32_e32 v5, vcc_lo, 0, v5, vcc_lo
	v_cmp_gt_i64_e32 vcc_lo, v[2:3], v[21:22]
	s_delay_alu instid0(VALU_DEP_3) | instskip(NEXT) | instid1(VALU_DEP_1)
	v_add_co_u32 v4, s0, v4, v7
	v_add_co_ci_u32_e64 v5, s0, 0, v5, s0
	v_cndmask_b32_e64 v7, 0, 1, vcc_lo
	s_delay_alu instid0(VALU_DEP_3) | instskip(NEXT) | instid1(VALU_DEP_3)
	v_add_co_u32 v4, vcc_lo, v4, v8
	v_add_co_ci_u32_e32 v5, vcc_lo, 0, v5, vcc_lo
	s_delay_alu instid0(VALU_DEP_2) | instskip(NEXT) | instid1(VALU_DEP_2)
	v_add_co_u32 v4, vcc_lo, v4, v7
	v_add_co_ci_u32_e32 v5, vcc_lo, 0, v5, vcc_lo
	s_cbranch_scc0 .LBB95_86
; %bb.87:                               ;   in Loop: Header=BB95_84 Depth=1
	s_mov_b64 s[0:1], s[2:3]
.LBB95_88:                              ;   in Loop: Header=BB95_84 Depth=1
	s_and_not1_b32 vcc_lo, exec_lo, s13
	s_cbranch_vccnz .LBB95_83
; %bb.89:                               ;   in Loop: Header=BB95_84 Depth=1
	s_lshl_b32 s0, s0, 3
	s_delay_alu instid0(SALU_CYCLE_1)
	s_add_i32 s10, s0, 0
	s_mov_b64 s[0:1], s[6:7]
.LBB95_90:                              ;   Parent Loop BB95_84 Depth=1
                                        ; =>  This Inner Loop Header: Depth=2
	v_mov_b32_e32 v7, s10
	s_add_i32 s10, s10, 8
	s_add_u32 s0, s0, -1
	s_addc_u32 s1, s1, -1
	s_delay_alu instid0(SALU_CYCLE_1) | instskip(SKIP_4) | instid1(VALU_DEP_1)
	s_cmp_lg_u64 s[0:1], 0
	ds_load_b64 v[7:8], v7
	s_waitcnt lgkmcnt(0)
	v_cmp_gt_i64_e32 vcc_lo, v[2:3], v[7:8]
	v_cndmask_b32_e64 v7, 0, 1, vcc_lo
	v_add_co_u32 v4, vcc_lo, v4, v7
	v_add_co_ci_u32_e32 v5, vcc_lo, 0, v5, vcc_lo
	s_cbranch_scc1 .LBB95_90
	s_branch .LBB95_83
.LBB95_91:
	s_nop 0
	s_sendmsg sendmsg(MSG_DEALLOC_VGPRS)
	s_endpgm
	.section	.rodata,"a",@progbits
	.p2align	6, 0x0
	.amdhsa_kernel _ZN9rocsparseL41csrgemm_numeric_fill_block_per_row_kernelILj1024ELj64ELj16384ELj137ELj64EllfEEvT5_PKS1_S3_NS_24const_host_device_scalarIT6_EEPKT4_S3_PKS5_S9_S3_SB_S6_S9_S3_SB_S9_S3_PS5_21rocsparse_index_base_SD_SD_SD_bbb
		.amdhsa_group_segment_fixed_size 0
		.amdhsa_private_segment_fixed_size 0
		.amdhsa_kernarg_size 156
		.amdhsa_user_sgpr_count 15
		.amdhsa_user_sgpr_dispatch_ptr 0
		.amdhsa_user_sgpr_queue_ptr 0
		.amdhsa_user_sgpr_kernarg_segment_ptr 1
		.amdhsa_user_sgpr_dispatch_id 0
		.amdhsa_user_sgpr_private_segment_size 0
		.amdhsa_wavefront_size32 1
		.amdhsa_uses_dynamic_stack 0
		.amdhsa_enable_private_segment 0
		.amdhsa_system_sgpr_workgroup_id_x 1
		.amdhsa_system_sgpr_workgroup_id_y 0
		.amdhsa_system_sgpr_workgroup_id_z 0
		.amdhsa_system_sgpr_workgroup_info 0
		.amdhsa_system_vgpr_workitem_id 0
		.amdhsa_next_free_vgpr 23
		.amdhsa_next_free_sgpr 44
		.amdhsa_reserve_vcc 1
		.amdhsa_float_round_mode_32 0
		.amdhsa_float_round_mode_16_64 0
		.amdhsa_float_denorm_mode_32 3
		.amdhsa_float_denorm_mode_16_64 3
		.amdhsa_dx10_clamp 1
		.amdhsa_ieee_mode 1
		.amdhsa_fp16_overflow 0
		.amdhsa_workgroup_processor_mode 1
		.amdhsa_memory_ordered 1
		.amdhsa_forward_progress 0
		.amdhsa_shared_vgpr_count 0
		.amdhsa_exception_fp_ieee_invalid_op 0
		.amdhsa_exception_fp_denorm_src 0
		.amdhsa_exception_fp_ieee_div_zero 0
		.amdhsa_exception_fp_ieee_overflow 0
		.amdhsa_exception_fp_ieee_underflow 0
		.amdhsa_exception_fp_ieee_inexact 0
		.amdhsa_exception_int_div_zero 0
	.end_amdhsa_kernel
	.section	.text._ZN9rocsparseL41csrgemm_numeric_fill_block_per_row_kernelILj1024ELj64ELj16384ELj137ELj64EllfEEvT5_PKS1_S3_NS_24const_host_device_scalarIT6_EEPKT4_S3_PKS5_S9_S3_SB_S6_S9_S3_SB_S9_S3_PS5_21rocsparse_index_base_SD_SD_SD_bbb,"axG",@progbits,_ZN9rocsparseL41csrgemm_numeric_fill_block_per_row_kernelILj1024ELj64ELj16384ELj137ELj64EllfEEvT5_PKS1_S3_NS_24const_host_device_scalarIT6_EEPKT4_S3_PKS5_S9_S3_SB_S6_S9_S3_SB_S9_S3_PS5_21rocsparse_index_base_SD_SD_SD_bbb,comdat
.Lfunc_end95:
	.size	_ZN9rocsparseL41csrgemm_numeric_fill_block_per_row_kernelILj1024ELj64ELj16384ELj137ELj64EllfEEvT5_PKS1_S3_NS_24const_host_device_scalarIT6_EEPKT4_S3_PKS5_S9_S3_SB_S6_S9_S3_SB_S9_S3_PS5_21rocsparse_index_base_SD_SD_SD_bbb, .Lfunc_end95-_ZN9rocsparseL41csrgemm_numeric_fill_block_per_row_kernelILj1024ELj64ELj16384ELj137ELj64EllfEEvT5_PKS1_S3_NS_24const_host_device_scalarIT6_EEPKT4_S3_PKS5_S9_S3_SB_S6_S9_S3_SB_S9_S3_PS5_21rocsparse_index_base_SD_SD_SD_bbb
                                        ; -- End function
	.section	.AMDGPU.csdata,"",@progbits
; Kernel info:
; codeLenInByte = 3808
; NumSgprs: 46
; NumVgprs: 23
; ScratchSize: 0
; MemoryBound: 0
; FloatMode: 240
; IeeeMode: 1
; LDSByteSize: 0 bytes/workgroup (compile time only)
; SGPRBlocks: 5
; VGPRBlocks: 2
; NumSGPRsForWavesPerEU: 46
; NumVGPRsForWavesPerEU: 23
; Occupancy: 16
; WaveLimiterHint : 1
; COMPUTE_PGM_RSRC2:SCRATCH_EN: 0
; COMPUTE_PGM_RSRC2:USER_SGPR: 15
; COMPUTE_PGM_RSRC2:TRAP_HANDLER: 0
; COMPUTE_PGM_RSRC2:TGID_X_EN: 1
; COMPUTE_PGM_RSRC2:TGID_Y_EN: 0
; COMPUTE_PGM_RSRC2:TGID_Z_EN: 0
; COMPUTE_PGM_RSRC2:TIDIG_COMP_CNT: 0
	.section	.text._ZN9rocsparseL41csrgemm_numeric_fill_block_per_row_kernelILj1024ELj64ELj32768ELj137ELj32EllfEEvT5_PKS1_S3_NS_24const_host_device_scalarIT6_EEPKT4_S3_PKS5_S9_S3_SB_S6_S9_S3_SB_S9_S3_PS5_21rocsparse_index_base_SD_SD_SD_bbb,"axG",@progbits,_ZN9rocsparseL41csrgemm_numeric_fill_block_per_row_kernelILj1024ELj64ELj32768ELj137ELj32EllfEEvT5_PKS1_S3_NS_24const_host_device_scalarIT6_EEPKT4_S3_PKS5_S9_S3_SB_S6_S9_S3_SB_S9_S3_PS5_21rocsparse_index_base_SD_SD_SD_bbb,comdat
	.globl	_ZN9rocsparseL41csrgemm_numeric_fill_block_per_row_kernelILj1024ELj64ELj32768ELj137ELj32EllfEEvT5_PKS1_S3_NS_24const_host_device_scalarIT6_EEPKT4_S3_PKS5_S9_S3_SB_S6_S9_S3_SB_S9_S3_PS5_21rocsparse_index_base_SD_SD_SD_bbb ; -- Begin function _ZN9rocsparseL41csrgemm_numeric_fill_block_per_row_kernelILj1024ELj64ELj32768ELj137ELj32EllfEEvT5_PKS1_S3_NS_24const_host_device_scalarIT6_EEPKT4_S3_PKS5_S9_S3_SB_S6_S9_S3_SB_S9_S3_PS5_21rocsparse_index_base_SD_SD_SD_bbb
	.p2align	8
	.type	_ZN9rocsparseL41csrgemm_numeric_fill_block_per_row_kernelILj1024ELj64ELj32768ELj137ELj32EllfEEvT5_PKS1_S3_NS_24const_host_device_scalarIT6_EEPKT4_S3_PKS5_S9_S3_SB_S6_S9_S3_SB_S9_S3_PS5_21rocsparse_index_base_SD_SD_SD_bbb,@function
_ZN9rocsparseL41csrgemm_numeric_fill_block_per_row_kernelILj1024ELj64ELj32768ELj137ELj32EllfEEvT5_PKS1_S3_NS_24const_host_device_scalarIT6_EEPKT4_S3_PKS5_S9_S3_SB_S6_S9_S3_SB_S9_S3_PS5_21rocsparse_index_base_SD_SD_SD_bbb: ; @_ZN9rocsparseL41csrgemm_numeric_fill_block_per_row_kernelILj1024ELj64ELj32768ELj137ELj32EllfEEvT5_PKS1_S3_NS_24const_host_device_scalarIT6_EEPKT4_S3_PKS5_S9_S3_SB_S6_S9_S3_SB_S9_S3_PS5_21rocsparse_index_base_SD_SD_SD_bbb
; %bb.0:
	s_clause 0x3
	s_load_b32 s3, s[0:1], 0x98
	s_load_b128 s[44:47], s[0:1], 0x88
	s_load_b64 s[4:5], s[0:1], 0x18
	s_load_b64 s[20:21], s[0:1], 0x50
	s_mov_b32 s2, s15
	s_waitcnt lgkmcnt(0)
	s_bitcmp1_b32 s3, 0
	s_cselect_b32 s23, -1, 0
	s_bitcmp1_b32 s3, 16
	s_cselect_b32 s24, -1, 0
	s_xor_b32 s6, s23, -1
	s_delay_alu instid0(SALU_CYCLE_1) | instskip(NEXT) | instid1(SALU_CYCLE_1)
	s_or_b32 s6, s6, s24
	s_and_b32 vcc_lo, exec_lo, s6
	s_cbranch_vccnz .LBB96_2
; %bb.1:
	s_load_b32 s4, s[4:5], 0x0
	s_waitcnt lgkmcnt(0)
	v_mov_b32_e32 v15, s4
	s_branch .LBB96_3
.LBB96_2:
	v_cndmask_b32_e64 v15, 0, s4, s23
.LBB96_3:
	s_clause 0x4
	s_load_b64 s[34:35], s[0:1], 0x80
	s_load_b256 s[36:43], s[0:1], 0x58
	s_load_b128 s[12:15], s[0:1], 0x40
	s_load_b128 s[16:19], s[0:1], 0x8
	s_load_b256 s[4:11], s[0:1], 0x20
	s_bitcmp1_b32 s3, 8
	s_cselect_b32 s22, -1, 0
	s_delay_alu instid0(SALU_CYCLE_1) | instskip(NEXT) | instid1(SALU_CYCLE_1)
	s_xor_b32 s3, s22, -1
	s_or_b32 s3, s3, s24
	s_delay_alu instid0(SALU_CYCLE_1)
	s_and_b32 vcc_lo, exec_lo, s3
	s_cbranch_vccnz .LBB96_5
; %bb.4:
	s_load_b32 s3, s[20:21], 0x0
	s_waitcnt lgkmcnt(0)
	v_mov_b32_e32 v14, s3
	s_branch .LBB96_6
.LBB96_5:
	v_cndmask_b32_e64 v14, 0, s20, s22
.LBB96_6:
	s_load_b64 s[48:49], s[0:1], 0x0
	v_lshl_add_u32 v11, v0, 3, 0
	v_lshlrev_b32_e32 v1, 2, v0
	v_or_b32_e32 v13, 0xfffffc00, v0
	v_mov_b32_e32 v3, 0
	s_mov_b32 s0, 0
	v_mov_b32_e32 v4, v11
	v_add3_u32 v12, v1, 0, 0x40000
	s_delay_alu instid0(VALU_DEP_1)
	v_dual_mov_b32 v6, v13 :: v_dual_mov_b32 v5, v12
	s_waitcnt lgkmcnt(0)
	v_dual_mov_b32 v1, s48 :: v_dual_mov_b32 v2, s49
.LBB96_7:                               ; =>This Inner Loop Header: Depth=1
	s_delay_alu instid0(VALU_DEP_2)
	v_add_nc_u32_e32 v6, 0x400, v6
	ds_store_b64 v4, v[1:2]
	ds_store_b32 v5, v3
	v_add_nc_u32_e32 v5, 0x1000, v5
	v_add_nc_u32_e32 v4, 0x2000, v4
	v_cmp_lt_u32_e32 vcc_lo, 0x7bff, v6
	s_or_b32 s0, vcc_lo, s0
	s_delay_alu instid0(SALU_CYCLE_1)
	s_and_not1_b32 exec_lo, exec_lo, s0
	s_cbranch_execnz .LBB96_7
; %bb.8:
	s_or_b32 exec_lo, exec_lo, s0
	s_waitcnt lgkmcnt(0)
	s_barrier
	buffer_gl0_inv
	s_load_b64 s[0:1], s[16:17], 0x0
	s_mov_b32 s3, 0
	s_waitcnt lgkmcnt(0)
	s_lshl_b64 s[0:1], s[0:1], 3
	s_delay_alu instid0(SALU_CYCLE_1) | instskip(SKIP_2) | instid1(SALU_CYCLE_1)
	s_add_u32 s16, s18, s0
	s_addc_u32 s17, s19, s1
	s_lshl_b64 s[0:1], s[2:3], 3
	s_add_u32 s0, s16, s0
	s_addc_u32 s1, s17, s1
	s_and_b32 vcc_lo, exec_lo, s23
	s_load_b64 s[50:51], s[0:1], 0x0
	s_cbranch_vccz .LBB96_28
; %bb.9:
	s_waitcnt lgkmcnt(0)
	s_lshl_b64 s[0:1], s[50:51], 3
	v_lshrrev_b32_e32 v1, 6, v0
	s_add_u32 s0, s4, s0
	s_addc_u32 s1, s5, s1
	s_load_b128 s[0:3], s[0:1], 0x0
	s_delay_alu instid0(VALU_DEP_1) | instskip(NEXT) | instid1(VALU_DEP_1)
	v_sub_co_u32 v1, s4, v1, s44
	v_sub_co_ci_u32_e64 v2, null, 0, 0, s4
	s_waitcnt lgkmcnt(0)
	s_delay_alu instid0(VALU_DEP_2) | instskip(NEXT) | instid1(VALU_DEP_2)
	v_add_co_u32 v1, vcc_lo, s0, v1
	v_add_co_ci_u32_e32 v2, vcc_lo, s1, v2, vcc_lo
	s_sub_u32 s0, s2, s44
	s_subb_u32 s1, s3, 0
	s_mov_b32 s2, exec_lo
	s_delay_alu instid0(VALU_DEP_1)
	v_cmpx_gt_i64_e64 s[0:1], v[1:2]
	s_cbranch_execz .LBB96_27
; %bb.10:
	v_and_b32_e32 v3, 63, v0
	s_mov_b32 s4, s45
	s_delay_alu instid0(VALU_DEP_1) | instskip(NEXT) | instid1(VALU_DEP_1)
	v_sub_co_u32 v16, s3, v3, s45
	v_sub_co_ci_u32_e64 v17, null, 0, 0, s3
	s_mov_b32 s3, 0
	s_branch .LBB96_12
.LBB96_11:                              ;   in Loop: Header=BB96_12 Depth=1
	s_or_b32 exec_lo, exec_lo, s5
	v_add_co_u32 v1, vcc_lo, v1, 16
	v_add_co_ci_u32_e32 v2, vcc_lo, 0, v2, vcc_lo
	s_delay_alu instid0(VALU_DEP_1) | instskip(SKIP_1) | instid1(SALU_CYCLE_1)
	v_cmp_le_i64_e32 vcc_lo, s[0:1], v[1:2]
	s_or_b32 s3, vcc_lo, s3
	s_and_not1_b32 exec_lo, exec_lo, s3
	s_cbranch_execz .LBB96_27
.LBB96_12:                              ; =>This Loop Header: Depth=1
                                        ;     Child Loop BB96_15 Depth 2
                                        ;       Child Loop BB96_17 Depth 3
	v_lshlrev_b64 v[3:4], 3, v[1:2]
	s_mov_b32 s5, exec_lo
	s_delay_alu instid0(VALU_DEP_1) | instskip(NEXT) | instid1(VALU_DEP_2)
	v_add_co_u32 v3, vcc_lo, s6, v3
	v_add_co_ci_u32_e32 v4, vcc_lo, s7, v4, vcc_lo
	global_load_b64 v[3:4], v[3:4], off
	s_waitcnt vmcnt(0)
	v_sub_co_u32 v3, vcc_lo, v3, s44
	v_subrev_co_ci_u32_e32 v4, vcc_lo, 0, v4, vcc_lo
	s_delay_alu instid0(VALU_DEP_1) | instskip(NEXT) | instid1(VALU_DEP_1)
	v_lshlrev_b64 v[3:4], 3, v[3:4]
	v_add_co_u32 v3, vcc_lo, s10, v3
	s_delay_alu instid0(VALU_DEP_2)
	v_add_co_ci_u32_e32 v4, vcc_lo, s11, v4, vcc_lo
	global_load_b128 v[5:8], v[3:4], off
	s_waitcnt vmcnt(0)
	v_sub_co_u32 v3, vcc_lo, v7, s4
	v_subrev_co_ci_u32_e32 v4, vcc_lo, 0, v8, vcc_lo
	v_add_co_u32 v5, vcc_lo, v5, v16
	v_add_co_ci_u32_e32 v6, vcc_lo, v6, v17, vcc_lo
	s_delay_alu instid0(VALU_DEP_1)
	v_cmpx_lt_i64_e64 v[5:6], v[3:4]
	s_cbranch_execz .LBB96_11
; %bb.13:                               ;   in Loop: Header=BB96_12 Depth=1
	v_lshlrev_b64 v[7:8], 2, v[1:2]
	s_mov_b32 s16, 0
	s_delay_alu instid0(VALU_DEP_1) | instskip(NEXT) | instid1(VALU_DEP_2)
	v_add_co_u32 v7, vcc_lo, s8, v7
	v_add_co_ci_u32_e32 v8, vcc_lo, s9, v8, vcc_lo
	global_load_b32 v7, v[7:8], off
	s_waitcnt vmcnt(0)
	v_mul_f32_e32 v18, v15, v7
	s_branch .LBB96_15
.LBB96_14:                              ;   in Loop: Header=BB96_15 Depth=2
	s_or_b32 exec_lo, exec_lo, s17
	v_add_co_u32 v5, vcc_lo, v5, 64
	v_add_co_ci_u32_e32 v6, vcc_lo, 0, v6, vcc_lo
	s_delay_alu instid0(VALU_DEP_1) | instskip(SKIP_1) | instid1(SALU_CYCLE_1)
	v_cmp_ge_i64_e32 vcc_lo, v[5:6], v[3:4]
	s_or_b32 s16, vcc_lo, s16
	s_and_not1_b32 exec_lo, exec_lo, s16
	s_cbranch_execz .LBB96_11
.LBB96_15:                              ;   Parent Loop BB96_12 Depth=1
                                        ; =>  This Loop Header: Depth=2
                                        ;       Child Loop BB96_17 Depth 3
	v_lshlrev_b64 v[7:8], 3, v[5:6]
	v_lshlrev_b64 v[9:10], 2, v[5:6]
	s_mov_b32 s17, 0
	s_delay_alu instid0(VALU_DEP_2) | instskip(NEXT) | instid1(VALU_DEP_3)
	v_add_co_u32 v7, vcc_lo, s12, v7
	v_add_co_ci_u32_e32 v8, vcc_lo, s13, v8, vcc_lo
	s_delay_alu instid0(VALU_DEP_3) | instskip(NEXT) | instid1(VALU_DEP_4)
	v_add_co_u32 v9, vcc_lo, s14, v9
	v_add_co_ci_u32_e32 v10, vcc_lo, s15, v10, vcc_lo
	global_load_b64 v[7:8], v[7:8], off
	global_load_b32 v9, v[9:10], off
	s_waitcnt vmcnt(1)
	v_sub_co_u32 v7, vcc_lo, v7, s4
	v_subrev_co_ci_u32_e32 v8, vcc_lo, 0, v8, vcc_lo
	s_delay_alu instid0(VALU_DEP_2) | instskip(SKIP_1) | instid1(VALU_DEP_1)
	v_mul_lo_u32 v10, 0x89, v7
	s_waitcnt vmcnt(0)
	v_dual_mul_f32 v19, v18, v9 :: v_dual_and_b32 v20, 0x7fff, v10
	s_branch .LBB96_17
.LBB96_16:                              ;   in Loop: Header=BB96_17 Depth=3
	s_or_b32 exec_lo, exec_lo, s18
	s_xor_b32 s18, s19, -1
	s_delay_alu instid0(SALU_CYCLE_1) | instskip(NEXT) | instid1(SALU_CYCLE_1)
	s_and_b32 s18, exec_lo, s18
	s_or_b32 s17, s18, s17
	s_delay_alu instid0(SALU_CYCLE_1)
	s_and_not1_b32 exec_lo, exec_lo, s17
	s_cbranch_execz .LBB96_14
.LBB96_17:                              ;   Parent Loop BB96_12 Depth=1
                                        ;     Parent Loop BB96_15 Depth=2
                                        ; =>    This Inner Loop Header: Depth=3
	s_delay_alu instid0(VALU_DEP_1)
	v_lshl_add_u32 v21, v20, 3, 0
	s_mov_b32 s18, exec_lo
                                        ; implicit-def: $sgpr19
	ds_load_b64 v[9:10], v21
	s_waitcnt lgkmcnt(0)
	v_cmpx_ne_u64_e64 v[9:10], v[7:8]
	s_xor_b32 s18, exec_lo, s18
	s_cbranch_execz .LBB96_25
; %bb.18:                               ;   in Loop: Header=BB96_17 Depth=3
	s_mov_b32 s20, exec_lo
                                        ; implicit-def: $sgpr19
	v_cmpx_ne_u64_e64 s[48:49], v[9:10]
	s_xor_b32 s20, exec_lo, s20
; %bb.19:                               ;   in Loop: Header=BB96_17 Depth=3
	v_add_nc_u32_e32 v9, 1, v20
	s_mov_b32 s19, -1
                                        ; implicit-def: $vgpr21
	s_delay_alu instid0(VALU_DEP_1)
	v_and_b32_e32 v20, 0x7fff, v9
; %bb.20:                               ;   in Loop: Header=BB96_17 Depth=3
	s_and_not1_saveexec_b32 s20, s20
	s_cbranch_execz .LBB96_24
; %bb.21:                               ;   in Loop: Header=BB96_17 Depth=3
	v_dual_mov_b32 v9, s48 :: v_dual_mov_b32 v10, s49
	s_mov_b32 s21, -1
	s_mov_b32 s23, exec_lo
	ds_cmpstore_rtn_b64 v[9:10], v21, v[7:8], v[9:10]
	s_waitcnt lgkmcnt(0)
	v_cmpx_eq_u64_e64 s[48:49], v[9:10]
	s_cbranch_execz .LBB96_23
; %bb.22:                               ;   in Loop: Header=BB96_17 Depth=3
	v_lshlrev_b32_e32 v9, 2, v20
	s_xor_b32 s21, exec_lo, -1
	s_delay_alu instid0(VALU_DEP_1)
	v_add3_u32 v9, 0, v9, 0x40000
	ds_add_f32 v9, v19
.LBB96_23:                              ;   in Loop: Header=BB96_17 Depth=3
	s_or_b32 exec_lo, exec_lo, s23
	s_delay_alu instid0(SALU_CYCLE_1) | instskip(SKIP_1) | instid1(SALU_CYCLE_1)
	s_and_not1_b32 s19, s19, exec_lo
	s_and_b32 s21, s21, exec_lo
	s_or_b32 s19, s19, s21
.LBB96_24:                              ;   in Loop: Header=BB96_17 Depth=3
	s_or_b32 exec_lo, exec_lo, s20
	s_delay_alu instid0(SALU_CYCLE_1)
	s_and_b32 s19, s19, exec_lo
.LBB96_25:                              ;   in Loop: Header=BB96_17 Depth=3
	s_and_not1_saveexec_b32 s18, s18
	s_cbranch_execz .LBB96_16
; %bb.26:                               ;   in Loop: Header=BB96_17 Depth=3
	v_lshlrev_b32_e32 v9, 2, v20
	s_and_not1_b32 s19, s19, exec_lo
	s_delay_alu instid0(VALU_DEP_1)
	v_add3_u32 v9, 0, v9, 0x40000
	ds_add_f32 v9, v19
	s_branch .LBB96_16
.LBB96_27:
	s_or_b32 exec_lo, exec_lo, s2
.LBB96_28:
	s_delay_alu instid0(SALU_CYCLE_1)
	s_and_not1_b32 vcc_lo, exec_lo, s22
	s_cbranch_vccnz .LBB96_45
; %bb.29:
	s_waitcnt lgkmcnt(0)
	s_lshl_b64 s[0:1], s[50:51], 3
	v_sub_co_u32 v1, s4, v0, s47
	s_add_u32 s0, s36, s0
	s_addc_u32 s1, s37, s1
	v_sub_co_ci_u32_e64 v2, null, 0, 0, s4
	s_load_b128 s[0:3], s[0:1], 0x0
	s_waitcnt lgkmcnt(0)
	v_add_co_u32 v1, vcc_lo, s0, v1
	s_delay_alu instid0(VALU_DEP_2)
	v_add_co_ci_u32_e32 v2, vcc_lo, s1, v2, vcc_lo
	s_sub_u32 s0, s2, s47
	s_subb_u32 s1, s3, 0
	s_mov_b32 s2, 0
	s_mov_b32 s3, exec_lo
	v_cmpx_gt_i64_e64 s[0:1], v[1:2]
	s_cbranch_execz .LBB96_44
; %bb.30:
	s_mov_b32 s4, s47
	s_branch .LBB96_32
.LBB96_31:                              ;   in Loop: Header=BB96_32 Depth=1
	s_or_b32 exec_lo, exec_lo, s5
	v_add_co_u32 v1, vcc_lo, 0x400, v1
	v_add_co_ci_u32_e32 v2, vcc_lo, 0, v2, vcc_lo
	s_delay_alu instid0(VALU_DEP_1) | instskip(SKIP_1) | instid1(SALU_CYCLE_1)
	v_cmp_le_i64_e32 vcc_lo, s[0:1], v[1:2]
	s_or_b32 s2, vcc_lo, s2
	s_and_not1_b32 exec_lo, exec_lo, s2
	s_cbranch_execz .LBB96_44
.LBB96_32:                              ; =>This Loop Header: Depth=1
                                        ;     Child Loop BB96_34 Depth 2
	v_lshlrev_b64 v[3:4], 3, v[1:2]
	v_lshlrev_b64 v[5:6], 2, v[1:2]
	s_mov_b32 s5, 0
	s_delay_alu instid0(VALU_DEP_2) | instskip(NEXT) | instid1(VALU_DEP_3)
	v_add_co_u32 v3, vcc_lo, s38, v3
	v_add_co_ci_u32_e32 v4, vcc_lo, s39, v4, vcc_lo
	s_delay_alu instid0(VALU_DEP_3) | instskip(NEXT) | instid1(VALU_DEP_4)
	v_add_co_u32 v5, vcc_lo, s40, v5
	v_add_co_ci_u32_e32 v6, vcc_lo, s41, v6, vcc_lo
	global_load_b64 v[3:4], v[3:4], off
	global_load_b32 v5, v[5:6], off
	s_waitcnt vmcnt(1)
	v_sub_co_u32 v3, vcc_lo, v3, s4
	v_subrev_co_ci_u32_e32 v4, vcc_lo, 0, v4, vcc_lo
	s_delay_alu instid0(VALU_DEP_2) | instskip(SKIP_1) | instid1(VALU_DEP_1)
	v_mul_lo_u32 v6, 0x89, v3
	s_waitcnt vmcnt(0)
	v_dual_mul_f32 v7, v14, v5 :: v_dual_and_b32 v8, 0x7fff, v6
	s_branch .LBB96_34
.LBB96_33:                              ;   in Loop: Header=BB96_34 Depth=2
	s_or_b32 exec_lo, exec_lo, s6
	s_xor_b32 s6, s7, -1
	s_delay_alu instid0(SALU_CYCLE_1) | instskip(NEXT) | instid1(SALU_CYCLE_1)
	s_and_b32 s6, exec_lo, s6
	s_or_b32 s5, s6, s5
	s_delay_alu instid0(SALU_CYCLE_1)
	s_and_not1_b32 exec_lo, exec_lo, s5
	s_cbranch_execz .LBB96_31
.LBB96_34:                              ;   Parent Loop BB96_32 Depth=1
                                        ; =>  This Inner Loop Header: Depth=2
	s_delay_alu instid0(VALU_DEP_1)
	v_lshl_add_u32 v9, v8, 3, 0
	s_mov_b32 s6, exec_lo
                                        ; implicit-def: $sgpr7
	ds_load_b64 v[5:6], v9
	s_waitcnt lgkmcnt(0)
	v_cmpx_ne_u64_e64 v[5:6], v[3:4]
	s_xor_b32 s6, exec_lo, s6
	s_cbranch_execz .LBB96_42
; %bb.35:                               ;   in Loop: Header=BB96_34 Depth=2
	s_mov_b32 s8, exec_lo
                                        ; implicit-def: $sgpr7
	v_cmpx_ne_u64_e64 s[48:49], v[5:6]
	s_xor_b32 s8, exec_lo, s8
; %bb.36:                               ;   in Loop: Header=BB96_34 Depth=2
	v_add_nc_u32_e32 v5, 1, v8
	s_mov_b32 s7, -1
                                        ; implicit-def: $vgpr9
	s_delay_alu instid0(VALU_DEP_1)
	v_and_b32_e32 v8, 0x7fff, v5
; %bb.37:                               ;   in Loop: Header=BB96_34 Depth=2
	s_and_not1_saveexec_b32 s8, s8
	s_cbranch_execz .LBB96_41
; %bb.38:                               ;   in Loop: Header=BB96_34 Depth=2
	v_dual_mov_b32 v5, s48 :: v_dual_mov_b32 v6, s49
	s_mov_b32 s9, -1
	s_mov_b32 s10, exec_lo
	ds_cmpstore_rtn_b64 v[5:6], v9, v[3:4], v[5:6]
	s_waitcnt lgkmcnt(0)
	v_cmpx_eq_u64_e64 s[48:49], v[5:6]
	s_cbranch_execz .LBB96_40
; %bb.39:                               ;   in Loop: Header=BB96_34 Depth=2
	v_lshlrev_b32_e32 v5, 2, v8
	s_xor_b32 s9, exec_lo, -1
	s_delay_alu instid0(VALU_DEP_1)
	v_add3_u32 v5, 0, v5, 0x40000
	ds_add_f32 v5, v7
.LBB96_40:                              ;   in Loop: Header=BB96_34 Depth=2
	s_or_b32 exec_lo, exec_lo, s10
	s_delay_alu instid0(SALU_CYCLE_1) | instskip(SKIP_1) | instid1(SALU_CYCLE_1)
	s_and_not1_b32 s7, s7, exec_lo
	s_and_b32 s9, s9, exec_lo
	s_or_b32 s7, s7, s9
.LBB96_41:                              ;   in Loop: Header=BB96_34 Depth=2
	s_or_b32 exec_lo, exec_lo, s8
	s_delay_alu instid0(SALU_CYCLE_1)
	s_and_b32 s7, s7, exec_lo
.LBB96_42:                              ;   in Loop: Header=BB96_34 Depth=2
	s_and_not1_saveexec_b32 s6, s6
	s_cbranch_execz .LBB96_33
; %bb.43:                               ;   in Loop: Header=BB96_34 Depth=2
	v_lshlrev_b32_e32 v5, 2, v8
	s_and_not1_b32 s7, s7, exec_lo
	s_delay_alu instid0(VALU_DEP_1)
	v_add3_u32 v5, 0, v5, 0x40000
	ds_add_f32 v5, v7
	s_branch .LBB96_33
.LBB96_44:
	s_or_b32 exec_lo, exec_lo, s3
.LBB96_45:
	v_mbcnt_lo_u32_b32 v1, -1, 0
	v_lshrrev_b32_e32 v2, 2, v0
	s_add_i32 s71, 0, 0x600f8
	v_cmp_eq_u32_e32 vcc_lo, 0x3ff, v0
	v_cmp_lt_u32_e64 s0, 31, v0
	v_xor_b32_e32 v1, 63, v1
	v_dual_mov_b32 v14, s71 :: v_dual_and_b32 v3, 0xf8, v2
	v_cmp_lt_u32_e64 s1, 63, v0
	v_cmp_lt_u32_e64 s2, 0x5f, v0
	s_delay_alu instid0(VALU_DEP_4) | instskip(NEXT) | instid1(VALU_DEP_4)
	v_lshrrev_b64 v[1:2], v1, -1
	v_add3_u32 v10, 0, 0x60000, v3
	v_dual_mov_b32 v2, 0 :: v_dual_mov_b32 v5, 0
	v_cmp_lt_u32_e64 s3, 0x7f, v0
	v_cmp_lt_u32_e64 s4, 0x9f, v0
	;; [unrolled: 1-line block ×28, first 2 shown]
	v_mov_b32_e32 v3, 0
	s_mov_b32 s36, 0
	s_add_i32 s37, 0, 0x60000
	s_add_i32 s38, 0, 0x60008
	;; [unrolled: 1-line block ×31, first 2 shown]
	s_waitcnt lgkmcnt(0)
	s_barrier
	buffer_gl0_inv
	s_branch .LBB96_47
.LBB96_46:                              ;   in Loop: Header=BB96_47 Depth=1
	s_or_b32 exec_lo, exec_lo, s31
	s_waitcnt lgkmcnt(0)
	s_barrier
	buffer_gl0_inv
	ds_load_b64 v[6:7], v14
	v_add_nc_u32_e32 v13, 0x400, v13
	v_add_nc_u32_e32 v12, 0x1000, v12
	;; [unrolled: 1-line block ×3, first 2 shown]
	s_delay_alu instid0(VALU_DEP_3) | instskip(NEXT) | instid1(VALU_DEP_1)
	v_cmp_lt_u32_e64 s31, 0x7bff, v13
	s_or_b32 s36, s31, s36
	s_waitcnt lgkmcnt(0)
	v_add_co_u32 v2, s33, v6, v2
	s_delay_alu instid0(VALU_DEP_1)
	v_add_co_ci_u32_e64 v3, s33, v7, v3, s33
	s_and_not1_b32 exec_lo, exec_lo, s36
	s_cbranch_execz .LBB96_113
.LBB96_47:                              ; =>This Inner Loop Header: Depth=1
	ds_load_b64 v[6:7], v11
	ds_load_b32 v15, v12
	s_waitcnt lgkmcnt(0)
	s_barrier
	buffer_gl0_inv
	v_cmp_gt_i64_e64 s31, s[48:49], v[6:7]
	s_delay_alu instid0(VALU_DEP_1) | instskip(SKIP_1) | instid1(SALU_CYCLE_1)
	v_and_b32_e32 v8, s31, v1
	s_bcnt1_i32_b32 s33, s31
	v_mov_b32_e32 v4, s33
	s_delay_alu instid0(VALU_DEP_2)
	v_bcnt_u32_b32 v8, v8, 0
	ds_store_b64 v10, v[4:5]
	s_waitcnt lgkmcnt(0)
	s_barrier
	buffer_gl0_inv
	s_and_saveexec_b32 s33, s0
	s_cbranch_execnz .LBB96_80
; %bb.48:                               ;   in Loop: Header=BB96_47 Depth=1
	s_or_b32 exec_lo, exec_lo, s33
	s_and_saveexec_b32 s33, s1
	s_cbranch_execnz .LBB96_81
.LBB96_49:                              ;   in Loop: Header=BB96_47 Depth=1
	s_or_b32 exec_lo, exec_lo, s33
	s_and_saveexec_b32 s33, s2
	s_cbranch_execnz .LBB96_82
.LBB96_50:                              ;   in Loop: Header=BB96_47 Depth=1
	s_or_b32 exec_lo, exec_lo, s33
	s_and_saveexec_b32 s33, s3
	s_cbranch_execnz .LBB96_83
.LBB96_51:                              ;   in Loop: Header=BB96_47 Depth=1
	s_or_b32 exec_lo, exec_lo, s33
	s_and_saveexec_b32 s33, s4
	s_cbranch_execnz .LBB96_84
.LBB96_52:                              ;   in Loop: Header=BB96_47 Depth=1
	s_or_b32 exec_lo, exec_lo, s33
	s_and_saveexec_b32 s33, s5
	s_cbranch_execnz .LBB96_85
.LBB96_53:                              ;   in Loop: Header=BB96_47 Depth=1
	s_or_b32 exec_lo, exec_lo, s33
	s_and_saveexec_b32 s33, s6
	s_cbranch_execnz .LBB96_86
.LBB96_54:                              ;   in Loop: Header=BB96_47 Depth=1
	s_or_b32 exec_lo, exec_lo, s33
	s_and_saveexec_b32 s33, s7
	s_cbranch_execnz .LBB96_87
.LBB96_55:                              ;   in Loop: Header=BB96_47 Depth=1
	s_or_b32 exec_lo, exec_lo, s33
	s_and_saveexec_b32 s33, s8
	s_cbranch_execnz .LBB96_88
.LBB96_56:                              ;   in Loop: Header=BB96_47 Depth=1
	s_or_b32 exec_lo, exec_lo, s33
	s_and_saveexec_b32 s33, s9
	s_cbranch_execnz .LBB96_89
.LBB96_57:                              ;   in Loop: Header=BB96_47 Depth=1
	s_or_b32 exec_lo, exec_lo, s33
	s_and_saveexec_b32 s33, s10
	s_cbranch_execnz .LBB96_90
.LBB96_58:                              ;   in Loop: Header=BB96_47 Depth=1
	s_or_b32 exec_lo, exec_lo, s33
	s_and_saveexec_b32 s33, s11
	s_cbranch_execnz .LBB96_91
.LBB96_59:                              ;   in Loop: Header=BB96_47 Depth=1
	s_or_b32 exec_lo, exec_lo, s33
	s_and_saveexec_b32 s33, s12
	s_cbranch_execnz .LBB96_92
.LBB96_60:                              ;   in Loop: Header=BB96_47 Depth=1
	s_or_b32 exec_lo, exec_lo, s33
	s_and_saveexec_b32 s33, s13
	s_cbranch_execnz .LBB96_93
.LBB96_61:                              ;   in Loop: Header=BB96_47 Depth=1
	s_or_b32 exec_lo, exec_lo, s33
	s_and_saveexec_b32 s33, s14
	s_cbranch_execnz .LBB96_94
.LBB96_62:                              ;   in Loop: Header=BB96_47 Depth=1
	s_or_b32 exec_lo, exec_lo, s33
	s_and_saveexec_b32 s33, s15
	s_cbranch_execnz .LBB96_95
.LBB96_63:                              ;   in Loop: Header=BB96_47 Depth=1
	s_or_b32 exec_lo, exec_lo, s33
	s_and_saveexec_b32 s33, s16
	s_cbranch_execnz .LBB96_96
.LBB96_64:                              ;   in Loop: Header=BB96_47 Depth=1
	s_or_b32 exec_lo, exec_lo, s33
	s_and_saveexec_b32 s33, s17
	s_cbranch_execnz .LBB96_97
.LBB96_65:                              ;   in Loop: Header=BB96_47 Depth=1
	s_or_b32 exec_lo, exec_lo, s33
	s_and_saveexec_b32 s33, s18
	s_cbranch_execnz .LBB96_98
.LBB96_66:                              ;   in Loop: Header=BB96_47 Depth=1
	s_or_b32 exec_lo, exec_lo, s33
	s_and_saveexec_b32 s33, s19
	s_cbranch_execnz .LBB96_99
.LBB96_67:                              ;   in Loop: Header=BB96_47 Depth=1
	s_or_b32 exec_lo, exec_lo, s33
	s_and_saveexec_b32 s33, s20
	s_cbranch_execnz .LBB96_100
.LBB96_68:                              ;   in Loop: Header=BB96_47 Depth=1
	s_or_b32 exec_lo, exec_lo, s33
	s_and_saveexec_b32 s33, s21
	s_cbranch_execnz .LBB96_101
.LBB96_69:                              ;   in Loop: Header=BB96_47 Depth=1
	s_or_b32 exec_lo, exec_lo, s33
	s_and_saveexec_b32 s33, s22
	s_cbranch_execnz .LBB96_102
.LBB96_70:                              ;   in Loop: Header=BB96_47 Depth=1
	s_or_b32 exec_lo, exec_lo, s33
	s_and_saveexec_b32 s33, s23
	s_cbranch_execnz .LBB96_103
.LBB96_71:                              ;   in Loop: Header=BB96_47 Depth=1
	s_or_b32 exec_lo, exec_lo, s33
	s_and_saveexec_b32 s33, s24
	s_cbranch_execnz .LBB96_104
.LBB96_72:                              ;   in Loop: Header=BB96_47 Depth=1
	s_or_b32 exec_lo, exec_lo, s33
	s_and_saveexec_b32 s33, s25
	s_cbranch_execnz .LBB96_105
.LBB96_73:                              ;   in Loop: Header=BB96_47 Depth=1
	s_or_b32 exec_lo, exec_lo, s33
	s_and_saveexec_b32 s33, s26
	s_cbranch_execnz .LBB96_106
.LBB96_74:                              ;   in Loop: Header=BB96_47 Depth=1
	s_or_b32 exec_lo, exec_lo, s33
	s_and_saveexec_b32 s33, s27
	s_cbranch_execnz .LBB96_107
.LBB96_75:                              ;   in Loop: Header=BB96_47 Depth=1
	s_or_b32 exec_lo, exec_lo, s33
	s_and_saveexec_b32 s33, s28
	s_cbranch_execnz .LBB96_108
.LBB96_76:                              ;   in Loop: Header=BB96_47 Depth=1
	s_or_b32 exec_lo, exec_lo, s33
	s_and_saveexec_b32 s33, s29
	s_cbranch_execnz .LBB96_109
.LBB96_77:                              ;   in Loop: Header=BB96_47 Depth=1
	s_or_b32 exec_lo, exec_lo, s33
	s_and_saveexec_b32 s33, s30
	s_cbranch_execnz .LBB96_110
.LBB96_78:                              ;   in Loop: Header=BB96_47 Depth=1
	s_or_b32 exec_lo, exec_lo, s33
	v_ashrrev_i32_e32 v9, 31, v8
	s_and_saveexec_b32 s33, s31
	s_cbranch_execnz .LBB96_111
.LBB96_79:                              ;   in Loop: Header=BB96_47 Depth=1
	s_or_b32 exec_lo, exec_lo, s33
	s_and_saveexec_b32 s31, vcc_lo
	s_cbranch_execz .LBB96_46
	s_branch .LBB96_112
.LBB96_80:                              ;   in Loop: Header=BB96_47 Depth=1
	v_mov_b32_e32 v4, s37
	ds_load_b32 v4, v4
	s_waitcnt lgkmcnt(0)
	v_add_nc_u32_e32 v8, v4, v8
	s_or_b32 exec_lo, exec_lo, s33
	s_and_saveexec_b32 s33, s1
	s_cbranch_execz .LBB96_49
.LBB96_81:                              ;   in Loop: Header=BB96_47 Depth=1
	v_mov_b32_e32 v4, s38
	ds_load_b32 v4, v4
	s_waitcnt lgkmcnt(0)
	v_add_nc_u32_e32 v8, v8, v4
	s_or_b32 exec_lo, exec_lo, s33
	s_and_saveexec_b32 s33, s2
	s_cbranch_execz .LBB96_50
.LBB96_82:                              ;   in Loop: Header=BB96_47 Depth=1
	v_mov_b32_e32 v4, s39
	ds_load_b32 v4, v4
	s_waitcnt lgkmcnt(0)
	v_add_nc_u32_e32 v8, v8, v4
	s_or_b32 exec_lo, exec_lo, s33
	s_and_saveexec_b32 s33, s3
	s_cbranch_execz .LBB96_51
.LBB96_83:                              ;   in Loop: Header=BB96_47 Depth=1
	v_mov_b32_e32 v4, s40
	ds_load_b32 v4, v4
	s_waitcnt lgkmcnt(0)
	v_add_nc_u32_e32 v8, v8, v4
	s_or_b32 exec_lo, exec_lo, s33
	s_and_saveexec_b32 s33, s4
	s_cbranch_execz .LBB96_52
.LBB96_84:                              ;   in Loop: Header=BB96_47 Depth=1
	v_mov_b32_e32 v4, s41
	ds_load_b32 v4, v4
	s_waitcnt lgkmcnt(0)
	v_add_nc_u32_e32 v8, v8, v4
	s_or_b32 exec_lo, exec_lo, s33
	s_and_saveexec_b32 s33, s5
	s_cbranch_execz .LBB96_53
.LBB96_85:                              ;   in Loop: Header=BB96_47 Depth=1
	v_mov_b32_e32 v4, s44
	ds_load_b32 v4, v4
	s_waitcnt lgkmcnt(0)
	v_add_nc_u32_e32 v8, v8, v4
	s_or_b32 exec_lo, exec_lo, s33
	s_and_saveexec_b32 s33, s6
	s_cbranch_execz .LBB96_54
.LBB96_86:                              ;   in Loop: Header=BB96_47 Depth=1
	v_mov_b32_e32 v4, s45
	ds_load_b32 v4, v4
	s_waitcnt lgkmcnt(0)
	v_add_nc_u32_e32 v8, v8, v4
	s_or_b32 exec_lo, exec_lo, s33
	s_and_saveexec_b32 s33, s7
	s_cbranch_execz .LBB96_55
.LBB96_87:                              ;   in Loop: Header=BB96_47 Depth=1
	v_mov_b32_e32 v4, s47
	ds_load_b32 v4, v4
	s_waitcnt lgkmcnt(0)
	v_add_nc_u32_e32 v8, v8, v4
	s_or_b32 exec_lo, exec_lo, s33
	s_and_saveexec_b32 s33, s8
	s_cbranch_execz .LBB96_56
.LBB96_88:                              ;   in Loop: Header=BB96_47 Depth=1
	v_mov_b32_e32 v4, s52
	ds_load_b32 v4, v4
	s_waitcnt lgkmcnt(0)
	v_add_nc_u32_e32 v8, v8, v4
	s_or_b32 exec_lo, exec_lo, s33
	s_and_saveexec_b32 s33, s9
	s_cbranch_execz .LBB96_57
.LBB96_89:                              ;   in Loop: Header=BB96_47 Depth=1
	v_mov_b32_e32 v4, s53
	ds_load_b32 v4, v4
	s_waitcnt lgkmcnt(0)
	v_add_nc_u32_e32 v8, v8, v4
	s_or_b32 exec_lo, exec_lo, s33
	s_and_saveexec_b32 s33, s10
	s_cbranch_execz .LBB96_58
.LBB96_90:                              ;   in Loop: Header=BB96_47 Depth=1
	v_mov_b32_e32 v4, s54
	ds_load_b32 v4, v4
	s_waitcnt lgkmcnt(0)
	v_add_nc_u32_e32 v8, v8, v4
	s_or_b32 exec_lo, exec_lo, s33
	s_and_saveexec_b32 s33, s11
	s_cbranch_execz .LBB96_59
.LBB96_91:                              ;   in Loop: Header=BB96_47 Depth=1
	v_mov_b32_e32 v4, s55
	ds_load_b32 v4, v4
	s_waitcnt lgkmcnt(0)
	v_add_nc_u32_e32 v8, v8, v4
	s_or_b32 exec_lo, exec_lo, s33
	s_and_saveexec_b32 s33, s12
	s_cbranch_execz .LBB96_60
.LBB96_92:                              ;   in Loop: Header=BB96_47 Depth=1
	v_mov_b32_e32 v4, s56
	ds_load_b32 v4, v4
	s_waitcnt lgkmcnt(0)
	v_add_nc_u32_e32 v8, v8, v4
	s_or_b32 exec_lo, exec_lo, s33
	s_and_saveexec_b32 s33, s13
	s_cbranch_execz .LBB96_61
.LBB96_93:                              ;   in Loop: Header=BB96_47 Depth=1
	v_mov_b32_e32 v4, s57
	ds_load_b32 v4, v4
	s_waitcnt lgkmcnt(0)
	v_add_nc_u32_e32 v8, v8, v4
	s_or_b32 exec_lo, exec_lo, s33
	s_and_saveexec_b32 s33, s14
	s_cbranch_execz .LBB96_62
.LBB96_94:                              ;   in Loop: Header=BB96_47 Depth=1
	v_mov_b32_e32 v4, s58
	ds_load_b32 v4, v4
	s_waitcnt lgkmcnt(0)
	v_add_nc_u32_e32 v8, v8, v4
	s_or_b32 exec_lo, exec_lo, s33
	s_and_saveexec_b32 s33, s15
	s_cbranch_execz .LBB96_63
.LBB96_95:                              ;   in Loop: Header=BB96_47 Depth=1
	v_mov_b32_e32 v4, s59
	ds_load_b32 v4, v4
	s_waitcnt lgkmcnt(0)
	v_add_nc_u32_e32 v8, v8, v4
	s_or_b32 exec_lo, exec_lo, s33
	s_and_saveexec_b32 s33, s16
	s_cbranch_execz .LBB96_64
.LBB96_96:                              ;   in Loop: Header=BB96_47 Depth=1
	v_mov_b32_e32 v4, s60
	ds_load_b32 v4, v4
	s_waitcnt lgkmcnt(0)
	v_add_nc_u32_e32 v8, v8, v4
	s_or_b32 exec_lo, exec_lo, s33
	s_and_saveexec_b32 s33, s17
	s_cbranch_execz .LBB96_65
.LBB96_97:                              ;   in Loop: Header=BB96_47 Depth=1
	v_mov_b32_e32 v4, s61
	ds_load_b32 v4, v4
	s_waitcnt lgkmcnt(0)
	v_add_nc_u32_e32 v8, v8, v4
	s_or_b32 exec_lo, exec_lo, s33
	s_and_saveexec_b32 s33, s18
	s_cbranch_execz .LBB96_66
.LBB96_98:                              ;   in Loop: Header=BB96_47 Depth=1
	v_mov_b32_e32 v4, s62
	ds_load_b32 v4, v4
	s_waitcnt lgkmcnt(0)
	v_add_nc_u32_e32 v8, v8, v4
	s_or_b32 exec_lo, exec_lo, s33
	s_and_saveexec_b32 s33, s19
	s_cbranch_execz .LBB96_67
.LBB96_99:                              ;   in Loop: Header=BB96_47 Depth=1
	v_mov_b32_e32 v4, s63
	ds_load_b32 v4, v4
	s_waitcnt lgkmcnt(0)
	v_add_nc_u32_e32 v8, v8, v4
	s_or_b32 exec_lo, exec_lo, s33
	s_and_saveexec_b32 s33, s20
	s_cbranch_execz .LBB96_68
.LBB96_100:                             ;   in Loop: Header=BB96_47 Depth=1
	v_mov_b32_e32 v4, s64
	ds_load_b32 v4, v4
	s_waitcnt lgkmcnt(0)
	v_add_nc_u32_e32 v8, v8, v4
	s_or_b32 exec_lo, exec_lo, s33
	s_and_saveexec_b32 s33, s21
	s_cbranch_execz .LBB96_69
.LBB96_101:                             ;   in Loop: Header=BB96_47 Depth=1
	v_mov_b32_e32 v4, s65
	ds_load_b32 v4, v4
	s_waitcnt lgkmcnt(0)
	v_add_nc_u32_e32 v8, v8, v4
	s_or_b32 exec_lo, exec_lo, s33
	s_and_saveexec_b32 s33, s22
	s_cbranch_execz .LBB96_70
.LBB96_102:                             ;   in Loop: Header=BB96_47 Depth=1
	v_mov_b32_e32 v4, s66
	ds_load_b32 v4, v4
	s_waitcnt lgkmcnt(0)
	v_add_nc_u32_e32 v8, v8, v4
	s_or_b32 exec_lo, exec_lo, s33
	s_and_saveexec_b32 s33, s23
	s_cbranch_execz .LBB96_71
.LBB96_103:                             ;   in Loop: Header=BB96_47 Depth=1
	v_mov_b32_e32 v4, s67
	ds_load_b32 v4, v4
	s_waitcnt lgkmcnt(0)
	v_add_nc_u32_e32 v8, v8, v4
	s_or_b32 exec_lo, exec_lo, s33
	s_and_saveexec_b32 s33, s24
	s_cbranch_execz .LBB96_72
.LBB96_104:                             ;   in Loop: Header=BB96_47 Depth=1
	v_mov_b32_e32 v4, s68
	ds_load_b32 v4, v4
	s_waitcnt lgkmcnt(0)
	v_add_nc_u32_e32 v8, v8, v4
	s_or_b32 exec_lo, exec_lo, s33
	s_and_saveexec_b32 s33, s25
	s_cbranch_execz .LBB96_73
.LBB96_105:                             ;   in Loop: Header=BB96_47 Depth=1
	v_mov_b32_e32 v4, s69
	ds_load_b32 v4, v4
	s_waitcnt lgkmcnt(0)
	v_add_nc_u32_e32 v8, v8, v4
	s_or_b32 exec_lo, exec_lo, s33
	s_and_saveexec_b32 s33, s26
	s_cbranch_execz .LBB96_74
.LBB96_106:                             ;   in Loop: Header=BB96_47 Depth=1
	v_mov_b32_e32 v4, s70
	ds_load_b32 v4, v4
	s_waitcnt lgkmcnt(0)
	v_add_nc_u32_e32 v8, v8, v4
	s_or_b32 exec_lo, exec_lo, s33
	s_and_saveexec_b32 s33, s27
	s_cbranch_execz .LBB96_75
.LBB96_107:                             ;   in Loop: Header=BB96_47 Depth=1
	v_mov_b32_e32 v4, s72
	ds_load_b32 v4, v4
	s_waitcnt lgkmcnt(0)
	v_add_nc_u32_e32 v8, v8, v4
	s_or_b32 exec_lo, exec_lo, s33
	s_and_saveexec_b32 s33, s28
	s_cbranch_execz .LBB96_76
.LBB96_108:                             ;   in Loop: Header=BB96_47 Depth=1
	v_mov_b32_e32 v4, s73
	ds_load_b32 v4, v4
	s_waitcnt lgkmcnt(0)
	v_add_nc_u32_e32 v8, v8, v4
	s_or_b32 exec_lo, exec_lo, s33
	s_and_saveexec_b32 s33, s29
	s_cbranch_execz .LBB96_77
.LBB96_109:                             ;   in Loop: Header=BB96_47 Depth=1
	v_mov_b32_e32 v4, s74
	ds_load_b32 v4, v4
	s_waitcnt lgkmcnt(0)
	v_add_nc_u32_e32 v8, v8, v4
	s_or_b32 exec_lo, exec_lo, s33
	s_and_saveexec_b32 s33, s30
	s_cbranch_execz .LBB96_78
.LBB96_110:                             ;   in Loop: Header=BB96_47 Depth=1
	v_mov_b32_e32 v4, s75
	ds_load_b32 v4, v4
	s_waitcnt lgkmcnt(0)
	v_add_nc_u32_e32 v8, v8, v4
	s_or_b32 exec_lo, exec_lo, s33
	s_delay_alu instid0(VALU_DEP_1)
	v_ashrrev_i32_e32 v9, 31, v8
	s_and_saveexec_b32 s33, s31
	s_cbranch_execz .LBB96_79
.LBB96_111:                             ;   in Loop: Header=BB96_47 Depth=1
	v_add3_u32 v4, v2, -1, v8
	s_delay_alu instid0(VALU_DEP_1) | instskip(SKIP_1) | instid1(VALU_DEP_2)
	v_lshlrev_b32_e32 v16, 2, v4
	v_lshl_add_u32 v4, v4, 3, 0
	v_add3_u32 v16, 0, v16, 0x40000
	ds_store_b64 v4, v[6:7]
	ds_store_b32 v16, v15
	s_or_b32 exec_lo, exec_lo, s33
	s_and_saveexec_b32 s31, vcc_lo
	s_cbranch_execz .LBB96_46
.LBB96_112:                             ;   in Loop: Header=BB96_47 Depth=1
	v_mov_b32_e32 v4, s71
	ds_store_b64 v4, v[8:9]
	s_branch .LBB96_46
.LBB96_113:
	s_or_b32 exec_lo, exec_lo, s36
	s_lshl_b64 s[0:1], s[50:51], 3
	v_mov_b32_e32 v1, 0
	s_add_u32 s0, s42, s0
	s_addc_u32 s1, s43, s1
	s_mov_b32 s6, exec_lo
	s_load_b128 s[0:3], s[0:1], 0x0
	s_waitcnt lgkmcnt(0)
	s_sub_u32 s4, s2, s0
	s_subb_u32 s5, s3, s1
	s_delay_alu instid0(SALU_CYCLE_1)
	v_cmpx_gt_i64_e64 s[4:5], v[0:1]
	s_cbranch_execz .LBB96_123
; %bb.114:
	s_sub_u32 s8, s0, s46
	s_subb_u32 s9, s1, 0
	s_and_b32 s6, s4, 7
	s_sub_u32 s0, s0, s2
	s_subb_u32 s1, s1, s3
	s_mov_b32 s7, 0
	v_cmp_lt_u64_e64 s12, s[0:1], -7
	s_and_b32 s2, s4, -8
	s_cmp_lg_u64 s[6:7], 0
	s_mov_b32 s3, s5
	s_cselect_b32 s13, -1, 0
	s_mov_b32 s14, s7
	s_branch .LBB96_116
.LBB96_115:                             ;   in Loop: Header=BB96_116 Depth=1
	v_add_co_u32 v0, vcc_lo, 0x400, v0
	v_add_co_ci_u32_e32 v1, vcc_lo, 0, v1, vcc_lo
	s_waitcnt lgkmcnt(1)
	v_lshlrev_b64 v[2:3], 2, v[4:5]
	s_delay_alu instid0(VALU_DEP_2) | instskip(NEXT) | instid1(VALU_DEP_2)
	v_cmp_le_i64_e32 vcc_lo, s[4:5], v[0:1]
	v_add_co_u32 v2, s0, s34, v2
	s_delay_alu instid0(VALU_DEP_1)
	v_add_co_ci_u32_e64 v3, s0, s35, v3, s0
	s_or_b32 s14, vcc_lo, s14
	s_waitcnt lgkmcnt(0)
	global_store_b32 v[2:3], v6, off
	s_and_not1_b32 exec_lo, exec_lo, s14
	s_cbranch_execz .LBB96_123
.LBB96_116:                             ; =>This Loop Header: Depth=1
                                        ;     Child Loop BB96_118 Depth 2
                                        ;     Child Loop BB96_122 Depth 2
	v_lshlrev_b32_e32 v2, 2, v0
	v_lshl_add_u32 v3, v0, 3, 0
	s_and_not1_b32 vcc_lo, exec_lo, s12
	s_mov_b64 s[0:1], 0
	s_delay_alu instid0(VALU_DEP_2)
	v_add3_u32 v4, 0, v2, 0x40000
	ds_load_b64 v[2:3], v3
	ds_load_b32 v6, v4
	v_dual_mov_b32 v4, s8 :: v_dual_mov_b32 v5, s9
	s_cbranch_vccnz .LBB96_120
; %bb.117:                              ;   in Loop: Header=BB96_116 Depth=1
	v_dual_mov_b32 v4, s8 :: v_dual_mov_b32 v5, s9
	s_mov_b64 s[10:11], 0
	s_mov_b32 s1, 0
.LBB96_118:                             ;   Parent Loop BB96_116 Depth=1
                                        ; =>  This Inner Loop Header: Depth=2
	s_delay_alu instid0(SALU_CYCLE_1)
	v_mov_b32_e32 v19, s1
	s_add_u32 s10, s10, 8
	s_addc_u32 s11, s11, 0
	s_add_i32 s1, s1, 64
	s_cmp_eq_u64 s[2:3], s[10:11]
	ds_load_2addr_b64 v[7:10], v19 offset1:1
	ds_load_2addr_b64 v[11:14], v19 offset0:2 offset1:3
	ds_load_2addr_b64 v[15:18], v19 offset0:4 offset1:5
	;; [unrolled: 1-line block ×3, first 2 shown]
	s_waitcnt lgkmcnt(3)
	v_cmp_gt_i64_e32 vcc_lo, v[2:3], v[7:8]
	v_cndmask_b32_e64 v7, 0, 1, vcc_lo
	v_cmp_gt_i64_e32 vcc_lo, v[2:3], v[9:10]
	v_cndmask_b32_e64 v8, 0, 1, vcc_lo
	s_waitcnt lgkmcnt(2)
	v_cmp_gt_i64_e32 vcc_lo, v[2:3], v[11:12]
	v_cndmask_b32_e64 v9, 0, 1, vcc_lo
	v_cmp_gt_i64_e32 vcc_lo, v[2:3], v[13:14]
	v_cndmask_b32_e64 v10, 0, 1, vcc_lo
	s_waitcnt lgkmcnt(1)
	v_cmp_gt_i64_e32 vcc_lo, v[2:3], v[15:16]
	v_cndmask_b32_e64 v11, 0, 1, vcc_lo
	v_add_co_u32 v4, vcc_lo, v4, v7
	v_add_co_ci_u32_e32 v5, vcc_lo, 0, v5, vcc_lo
	v_cmp_gt_i64_e32 vcc_lo, v[2:3], v[17:18]
	s_delay_alu instid0(VALU_DEP_3) | instskip(NEXT) | instid1(VALU_DEP_1)
	v_add_co_u32 v4, s0, v4, v8
	v_add_co_ci_u32_e64 v5, s0, 0, v5, s0
	v_cndmask_b32_e64 v7, 0, 1, vcc_lo
	s_delay_alu instid0(VALU_DEP_3) | instskip(NEXT) | instid1(VALU_DEP_3)
	v_add_co_u32 v4, vcc_lo, v4, v9
	v_add_co_ci_u32_e32 v5, vcc_lo, 0, v5, vcc_lo
	s_waitcnt lgkmcnt(0)
	v_cmp_gt_i64_e32 vcc_lo, v[2:3], v[19:20]
	s_delay_alu instid0(VALU_DEP_3) | instskip(NEXT) | instid1(VALU_DEP_1)
	v_add_co_u32 v4, s0, v4, v10
	v_add_co_ci_u32_e64 v5, s0, 0, v5, s0
	v_cndmask_b32_e64 v8, 0, 1, vcc_lo
	s_delay_alu instid0(VALU_DEP_3) | instskip(NEXT) | instid1(VALU_DEP_3)
	v_add_co_u32 v4, vcc_lo, v4, v11
	v_add_co_ci_u32_e32 v5, vcc_lo, 0, v5, vcc_lo
	v_cmp_gt_i64_e32 vcc_lo, v[2:3], v[21:22]
	s_delay_alu instid0(VALU_DEP_3) | instskip(NEXT) | instid1(VALU_DEP_1)
	v_add_co_u32 v4, s0, v4, v7
	v_add_co_ci_u32_e64 v5, s0, 0, v5, s0
	v_cndmask_b32_e64 v7, 0, 1, vcc_lo
	s_delay_alu instid0(VALU_DEP_3) | instskip(NEXT) | instid1(VALU_DEP_3)
	v_add_co_u32 v4, vcc_lo, v4, v8
	v_add_co_ci_u32_e32 v5, vcc_lo, 0, v5, vcc_lo
	s_delay_alu instid0(VALU_DEP_2) | instskip(NEXT) | instid1(VALU_DEP_2)
	v_add_co_u32 v4, vcc_lo, v4, v7
	v_add_co_ci_u32_e32 v5, vcc_lo, 0, v5, vcc_lo
	s_cbranch_scc0 .LBB96_118
; %bb.119:                              ;   in Loop: Header=BB96_116 Depth=1
	s_mov_b64 s[0:1], s[2:3]
.LBB96_120:                             ;   in Loop: Header=BB96_116 Depth=1
	s_and_not1_b32 vcc_lo, exec_lo, s13
	s_cbranch_vccnz .LBB96_115
; %bb.121:                              ;   in Loop: Header=BB96_116 Depth=1
	s_lshl_b32 s0, s0, 3
	s_delay_alu instid0(SALU_CYCLE_1)
	s_add_i32 s10, s0, 0
	s_mov_b64 s[0:1], s[6:7]
.LBB96_122:                             ;   Parent Loop BB96_116 Depth=1
                                        ; =>  This Inner Loop Header: Depth=2
	v_mov_b32_e32 v7, s10
	s_add_i32 s10, s10, 8
	s_add_u32 s0, s0, -1
	s_addc_u32 s1, s1, -1
	s_delay_alu instid0(SALU_CYCLE_1) | instskip(SKIP_4) | instid1(VALU_DEP_1)
	s_cmp_lg_u64 s[0:1], 0
	ds_load_b64 v[7:8], v7
	s_waitcnt lgkmcnt(0)
	v_cmp_gt_i64_e32 vcc_lo, v[2:3], v[7:8]
	v_cndmask_b32_e64 v7, 0, 1, vcc_lo
	v_add_co_u32 v4, vcc_lo, v4, v7
	v_add_co_ci_u32_e32 v5, vcc_lo, 0, v5, vcc_lo
	s_cbranch_scc1 .LBB96_122
	s_branch .LBB96_115
.LBB96_123:
	s_nop 0
	s_sendmsg sendmsg(MSG_DEALLOC_VGPRS)
	s_endpgm
	.section	.rodata,"a",@progbits
	.p2align	6, 0x0
	.amdhsa_kernel _ZN9rocsparseL41csrgemm_numeric_fill_block_per_row_kernelILj1024ELj64ELj32768ELj137ELj32EllfEEvT5_PKS1_S3_NS_24const_host_device_scalarIT6_EEPKT4_S3_PKS5_S9_S3_SB_S6_S9_S3_SB_S9_S3_PS5_21rocsparse_index_base_SD_SD_SD_bbb
		.amdhsa_group_segment_fixed_size 0
		.amdhsa_private_segment_fixed_size 0
		.amdhsa_kernarg_size 156
		.amdhsa_user_sgpr_count 15
		.amdhsa_user_sgpr_dispatch_ptr 0
		.amdhsa_user_sgpr_queue_ptr 0
		.amdhsa_user_sgpr_kernarg_segment_ptr 1
		.amdhsa_user_sgpr_dispatch_id 0
		.amdhsa_user_sgpr_private_segment_size 0
		.amdhsa_wavefront_size32 1
		.amdhsa_uses_dynamic_stack 0
		.amdhsa_enable_private_segment 0
		.amdhsa_system_sgpr_workgroup_id_x 1
		.amdhsa_system_sgpr_workgroup_id_y 0
		.amdhsa_system_sgpr_workgroup_id_z 0
		.amdhsa_system_sgpr_workgroup_info 0
		.amdhsa_system_vgpr_workitem_id 0
		.amdhsa_next_free_vgpr 23
		.amdhsa_next_free_sgpr 76
		.amdhsa_reserve_vcc 1
		.amdhsa_float_round_mode_32 0
		.amdhsa_float_round_mode_16_64 0
		.amdhsa_float_denorm_mode_32 3
		.amdhsa_float_denorm_mode_16_64 3
		.amdhsa_dx10_clamp 1
		.amdhsa_ieee_mode 1
		.amdhsa_fp16_overflow 0
		.amdhsa_workgroup_processor_mode 1
		.amdhsa_memory_ordered 1
		.amdhsa_forward_progress 0
		.amdhsa_shared_vgpr_count 0
		.amdhsa_exception_fp_ieee_invalid_op 0
		.amdhsa_exception_fp_denorm_src 0
		.amdhsa_exception_fp_ieee_div_zero 0
		.amdhsa_exception_fp_ieee_overflow 0
		.amdhsa_exception_fp_ieee_underflow 0
		.amdhsa_exception_fp_ieee_inexact 0
		.amdhsa_exception_int_div_zero 0
	.end_amdhsa_kernel
	.section	.text._ZN9rocsparseL41csrgemm_numeric_fill_block_per_row_kernelILj1024ELj64ELj32768ELj137ELj32EllfEEvT5_PKS1_S3_NS_24const_host_device_scalarIT6_EEPKT4_S3_PKS5_S9_S3_SB_S6_S9_S3_SB_S9_S3_PS5_21rocsparse_index_base_SD_SD_SD_bbb,"axG",@progbits,_ZN9rocsparseL41csrgemm_numeric_fill_block_per_row_kernelILj1024ELj64ELj32768ELj137ELj32EllfEEvT5_PKS1_S3_NS_24const_host_device_scalarIT6_EEPKT4_S3_PKS5_S9_S3_SB_S6_S9_S3_SB_S9_S3_PS5_21rocsparse_index_base_SD_SD_SD_bbb,comdat
.Lfunc_end96:
	.size	_ZN9rocsparseL41csrgemm_numeric_fill_block_per_row_kernelILj1024ELj64ELj32768ELj137ELj32EllfEEvT5_PKS1_S3_NS_24const_host_device_scalarIT6_EEPKT4_S3_PKS5_S9_S3_SB_S6_S9_S3_SB_S9_S3_PS5_21rocsparse_index_base_SD_SD_SD_bbb, .Lfunc_end96-_ZN9rocsparseL41csrgemm_numeric_fill_block_per_row_kernelILj1024ELj64ELj32768ELj137ELj32EllfEEvT5_PKS1_S3_NS_24const_host_device_scalarIT6_EEPKT4_S3_PKS5_S9_S3_SB_S6_S9_S3_SB_S9_S3_PS5_21rocsparse_index_base_SD_SD_SD_bbb
                                        ; -- End function
	.section	.AMDGPU.csdata,"",@progbits
; Kernel info:
; codeLenInByte = 4836
; NumSgprs: 78
; NumVgprs: 23
; ScratchSize: 0
; MemoryBound: 0
; FloatMode: 240
; IeeeMode: 1
; LDSByteSize: 0 bytes/workgroup (compile time only)
; SGPRBlocks: 9
; VGPRBlocks: 2
; NumSGPRsForWavesPerEU: 78
; NumVGPRsForWavesPerEU: 23
; Occupancy: 16
; WaveLimiterHint : 1
; COMPUTE_PGM_RSRC2:SCRATCH_EN: 0
; COMPUTE_PGM_RSRC2:USER_SGPR: 15
; COMPUTE_PGM_RSRC2:TRAP_HANDLER: 0
; COMPUTE_PGM_RSRC2:TGID_X_EN: 1
; COMPUTE_PGM_RSRC2:TGID_Y_EN: 0
; COMPUTE_PGM_RSRC2:TGID_Z_EN: 0
; COMPUTE_PGM_RSRC2:TIDIG_COMP_CNT: 0
	.section	.text._ZN9rocsparseL41csrgemm_numeric_fill_block_per_row_kernelILj1024ELj64ELj32768ELj137ELj64EllfEEvT5_PKS1_S3_NS_24const_host_device_scalarIT6_EEPKT4_S3_PKS5_S9_S3_SB_S6_S9_S3_SB_S9_S3_PS5_21rocsparse_index_base_SD_SD_SD_bbb,"axG",@progbits,_ZN9rocsparseL41csrgemm_numeric_fill_block_per_row_kernelILj1024ELj64ELj32768ELj137ELj64EllfEEvT5_PKS1_S3_NS_24const_host_device_scalarIT6_EEPKT4_S3_PKS5_S9_S3_SB_S6_S9_S3_SB_S9_S3_PS5_21rocsparse_index_base_SD_SD_SD_bbb,comdat
	.globl	_ZN9rocsparseL41csrgemm_numeric_fill_block_per_row_kernelILj1024ELj64ELj32768ELj137ELj64EllfEEvT5_PKS1_S3_NS_24const_host_device_scalarIT6_EEPKT4_S3_PKS5_S9_S3_SB_S6_S9_S3_SB_S9_S3_PS5_21rocsparse_index_base_SD_SD_SD_bbb ; -- Begin function _ZN9rocsparseL41csrgemm_numeric_fill_block_per_row_kernelILj1024ELj64ELj32768ELj137ELj64EllfEEvT5_PKS1_S3_NS_24const_host_device_scalarIT6_EEPKT4_S3_PKS5_S9_S3_SB_S6_S9_S3_SB_S9_S3_PS5_21rocsparse_index_base_SD_SD_SD_bbb
	.p2align	8
	.type	_ZN9rocsparseL41csrgemm_numeric_fill_block_per_row_kernelILj1024ELj64ELj32768ELj137ELj64EllfEEvT5_PKS1_S3_NS_24const_host_device_scalarIT6_EEPKT4_S3_PKS5_S9_S3_SB_S6_S9_S3_SB_S9_S3_PS5_21rocsparse_index_base_SD_SD_SD_bbb,@function
_ZN9rocsparseL41csrgemm_numeric_fill_block_per_row_kernelILj1024ELj64ELj32768ELj137ELj64EllfEEvT5_PKS1_S3_NS_24const_host_device_scalarIT6_EEPKT4_S3_PKS5_S9_S3_SB_S6_S9_S3_SB_S9_S3_PS5_21rocsparse_index_base_SD_SD_SD_bbb: ; @_ZN9rocsparseL41csrgemm_numeric_fill_block_per_row_kernelILj1024ELj64ELj32768ELj137ELj64EllfEEvT5_PKS1_S3_NS_24const_host_device_scalarIT6_EEPKT4_S3_PKS5_S9_S3_SB_S6_S9_S3_SB_S9_S3_PS5_21rocsparse_index_base_SD_SD_SD_bbb
; %bb.0:
	s_clause 0x3
	s_load_b32 s3, s[0:1], 0x98
	s_load_b128 s[20:23], s[0:1], 0x88
	s_load_b64 s[4:5], s[0:1], 0x18
	s_load_b64 s[36:37], s[0:1], 0x50
	s_mov_b32 s2, s15
	s_waitcnt lgkmcnt(0)
	s_bitcmp1_b32 s3, 0
	s_cselect_b32 s38, -1, 0
	s_bitcmp1_b32 s3, 16
	s_cselect_b32 s39, -1, 0
	s_xor_b32 s6, s38, -1
	s_delay_alu instid0(SALU_CYCLE_1) | instskip(NEXT) | instid1(SALU_CYCLE_1)
	s_or_b32 s6, s6, s39
	s_and_b32 vcc_lo, exec_lo, s6
	s_cbranch_vccnz .LBB97_2
; %bb.1:
	s_load_b32 s4, s[4:5], 0x0
	s_waitcnt lgkmcnt(0)
	v_mov_b32_e32 v16, s4
	s_branch .LBB97_3
.LBB97_2:
	v_cndmask_b32_e64 v16, 0, s4, s38
.LBB97_3:
	s_clause 0x4
	s_load_b64 s[34:35], s[0:1], 0x80
	s_load_b256 s[12:19], s[0:1], 0x58
	s_load_b128 s[24:27], s[0:1], 0x40
	s_load_b128 s[28:31], s[0:1], 0x8
	s_load_b256 s[4:11], s[0:1], 0x20
	s_bitcmp1_b32 s3, 8
	s_cselect_b32 s33, -1, 0
	s_delay_alu instid0(SALU_CYCLE_1) | instskip(NEXT) | instid1(SALU_CYCLE_1)
	s_xor_b32 s3, s33, -1
	s_or_b32 s3, s3, s39
	s_delay_alu instid0(SALU_CYCLE_1)
	s_and_b32 vcc_lo, exec_lo, s3
	s_cbranch_vccnz .LBB97_5
; %bb.4:
	s_load_b32 s3, s[36:37], 0x0
	s_waitcnt lgkmcnt(0)
	v_mov_b32_e32 v14, s3
	s_branch .LBB97_6
.LBB97_5:
	v_cndmask_b32_e64 v14, 0, s36, s33
.LBB97_6:
	s_load_b64 s[36:37], s[0:1], 0x0
	v_lshl_add_u32 v11, v0, 3, 0
	v_lshlrev_b32_e32 v1, 2, v0
	v_or_b32_e32 v13, 0xfffffc00, v0
	v_mov_b32_e32 v3, 0
	s_mov_b32 s0, 0
	v_mov_b32_e32 v4, v11
	v_add3_u32 v12, v1, 0, 0x40000
	s_delay_alu instid0(VALU_DEP_1)
	v_dual_mov_b32 v6, v13 :: v_dual_mov_b32 v5, v12
	s_waitcnt lgkmcnt(0)
	v_dual_mov_b32 v1, s36 :: v_dual_mov_b32 v2, s37
.LBB97_7:                               ; =>This Inner Loop Header: Depth=1
	s_delay_alu instid0(VALU_DEP_2)
	v_add_nc_u32_e32 v6, 0x400, v6
	ds_store_b64 v4, v[1:2]
	ds_store_b32 v5, v3
	v_add_nc_u32_e32 v5, 0x1000, v5
	v_add_nc_u32_e32 v4, 0x2000, v4
	v_cmp_lt_u32_e32 vcc_lo, 0x7bff, v6
	s_or_b32 s0, vcc_lo, s0
	s_delay_alu instid0(SALU_CYCLE_1)
	s_and_not1_b32 exec_lo, exec_lo, s0
	s_cbranch_execnz .LBB97_7
; %bb.8:
	s_or_b32 exec_lo, exec_lo, s0
	s_waitcnt lgkmcnt(0)
	s_barrier
	buffer_gl0_inv
	s_load_b64 s[0:1], s[28:29], 0x0
	s_mov_b32 s3, 0
	v_lshrrev_b32_e32 v15, 6, v0
	s_waitcnt lgkmcnt(0)
	s_lshl_b64 s[0:1], s[0:1], 3
	s_delay_alu instid0(SALU_CYCLE_1) | instskip(SKIP_2) | instid1(SALU_CYCLE_1)
	s_add_u32 s28, s30, s0
	s_addc_u32 s29, s31, s1
	s_lshl_b64 s[0:1], s[2:3], 3
	s_add_u32 s0, s28, s0
	s_addc_u32 s1, s29, s1
	s_and_b32 vcc_lo, exec_lo, s38
	s_load_b64 s[28:29], s[0:1], 0x0
	s_cbranch_vccz .LBB97_28
; %bb.9:
	s_waitcnt lgkmcnt(0)
	s_lshl_b64 s[0:1], s[28:29], 3
	s_delay_alu instid0(SALU_CYCLE_1)
	s_add_u32 s0, s4, s0
	s_addc_u32 s1, s5, s1
	v_sub_co_u32 v1, s4, v15, s20
	s_load_b128 s[0:3], s[0:1], 0x0
	v_sub_co_ci_u32_e64 v2, null, 0, 0, s4
	s_waitcnt lgkmcnt(0)
	s_delay_alu instid0(VALU_DEP_2) | instskip(NEXT) | instid1(VALU_DEP_2)
	v_add_co_u32 v1, vcc_lo, s0, v1
	v_add_co_ci_u32_e32 v2, vcc_lo, s1, v2, vcc_lo
	s_sub_u32 s0, s2, s20
	s_subb_u32 s1, s3, 0
	s_mov_b32 s2, exec_lo
	s_delay_alu instid0(VALU_DEP_1)
	v_cmpx_gt_i64_e64 s[0:1], v[1:2]
	s_cbranch_execz .LBB97_27
; %bb.10:
	v_and_b32_e32 v3, 63, v0
	s_mov_b32 s4, s21
	s_delay_alu instid0(VALU_DEP_1) | instskip(NEXT) | instid1(VALU_DEP_1)
	v_sub_co_u32 v17, s3, v3, s21
	v_sub_co_ci_u32_e64 v18, null, 0, 0, s3
	s_mov_b32 s3, 0
	s_branch .LBB97_12
.LBB97_11:                              ;   in Loop: Header=BB97_12 Depth=1
	s_or_b32 exec_lo, exec_lo, s5
	v_add_co_u32 v1, vcc_lo, v1, 16
	v_add_co_ci_u32_e32 v2, vcc_lo, 0, v2, vcc_lo
	s_delay_alu instid0(VALU_DEP_1) | instskip(SKIP_1) | instid1(SALU_CYCLE_1)
	v_cmp_le_i64_e32 vcc_lo, s[0:1], v[1:2]
	s_or_b32 s3, vcc_lo, s3
	s_and_not1_b32 exec_lo, exec_lo, s3
	s_cbranch_execz .LBB97_27
.LBB97_12:                              ; =>This Loop Header: Depth=1
                                        ;     Child Loop BB97_15 Depth 2
                                        ;       Child Loop BB97_17 Depth 3
	v_lshlrev_b64 v[3:4], 3, v[1:2]
	s_mov_b32 s5, exec_lo
	s_delay_alu instid0(VALU_DEP_1) | instskip(NEXT) | instid1(VALU_DEP_2)
	v_add_co_u32 v3, vcc_lo, s6, v3
	v_add_co_ci_u32_e32 v4, vcc_lo, s7, v4, vcc_lo
	global_load_b64 v[3:4], v[3:4], off
	s_waitcnt vmcnt(0)
	v_sub_co_u32 v3, vcc_lo, v3, s20
	v_subrev_co_ci_u32_e32 v4, vcc_lo, 0, v4, vcc_lo
	s_delay_alu instid0(VALU_DEP_1) | instskip(NEXT) | instid1(VALU_DEP_1)
	v_lshlrev_b64 v[3:4], 3, v[3:4]
	v_add_co_u32 v3, vcc_lo, s10, v3
	s_delay_alu instid0(VALU_DEP_2)
	v_add_co_ci_u32_e32 v4, vcc_lo, s11, v4, vcc_lo
	global_load_b128 v[5:8], v[3:4], off
	s_waitcnt vmcnt(0)
	v_sub_co_u32 v3, vcc_lo, v7, s4
	v_subrev_co_ci_u32_e32 v4, vcc_lo, 0, v8, vcc_lo
	v_add_co_u32 v5, vcc_lo, v5, v17
	v_add_co_ci_u32_e32 v6, vcc_lo, v6, v18, vcc_lo
	s_delay_alu instid0(VALU_DEP_1)
	v_cmpx_lt_i64_e64 v[5:6], v[3:4]
	s_cbranch_execz .LBB97_11
; %bb.13:                               ;   in Loop: Header=BB97_12 Depth=1
	v_lshlrev_b64 v[7:8], 2, v[1:2]
	s_mov_b32 s21, 0
	s_delay_alu instid0(VALU_DEP_1) | instskip(NEXT) | instid1(VALU_DEP_2)
	v_add_co_u32 v7, vcc_lo, s8, v7
	v_add_co_ci_u32_e32 v8, vcc_lo, s9, v8, vcc_lo
	global_load_b32 v7, v[7:8], off
	s_waitcnt vmcnt(0)
	v_mul_f32_e32 v19, v16, v7
	s_branch .LBB97_15
.LBB97_14:                              ;   in Loop: Header=BB97_15 Depth=2
	s_or_b32 exec_lo, exec_lo, s30
	v_add_co_u32 v5, vcc_lo, v5, 64
	v_add_co_ci_u32_e32 v6, vcc_lo, 0, v6, vcc_lo
	s_delay_alu instid0(VALU_DEP_1) | instskip(SKIP_1) | instid1(SALU_CYCLE_1)
	v_cmp_ge_i64_e32 vcc_lo, v[5:6], v[3:4]
	s_or_b32 s21, vcc_lo, s21
	s_and_not1_b32 exec_lo, exec_lo, s21
	s_cbranch_execz .LBB97_11
.LBB97_15:                              ;   Parent Loop BB97_12 Depth=1
                                        ; =>  This Loop Header: Depth=2
                                        ;       Child Loop BB97_17 Depth 3
	v_lshlrev_b64 v[7:8], 3, v[5:6]
	v_lshlrev_b64 v[9:10], 2, v[5:6]
	s_mov_b32 s30, 0
	s_delay_alu instid0(VALU_DEP_2) | instskip(NEXT) | instid1(VALU_DEP_3)
	v_add_co_u32 v7, vcc_lo, s24, v7
	v_add_co_ci_u32_e32 v8, vcc_lo, s25, v8, vcc_lo
	s_delay_alu instid0(VALU_DEP_3) | instskip(NEXT) | instid1(VALU_DEP_4)
	v_add_co_u32 v9, vcc_lo, s26, v9
	v_add_co_ci_u32_e32 v10, vcc_lo, s27, v10, vcc_lo
	global_load_b64 v[7:8], v[7:8], off
	global_load_b32 v9, v[9:10], off
	s_waitcnt vmcnt(1)
	v_sub_co_u32 v7, vcc_lo, v7, s4
	v_subrev_co_ci_u32_e32 v8, vcc_lo, 0, v8, vcc_lo
	s_delay_alu instid0(VALU_DEP_2) | instskip(SKIP_1) | instid1(VALU_DEP_1)
	v_mul_lo_u32 v10, 0x89, v7
	s_waitcnt vmcnt(0)
	v_dual_mul_f32 v20, v19, v9 :: v_dual_and_b32 v21, 0x7fff, v10
	s_branch .LBB97_17
.LBB97_16:                              ;   in Loop: Header=BB97_17 Depth=3
	s_or_b32 exec_lo, exec_lo, s31
	s_xor_b32 s31, s38, -1
	s_delay_alu instid0(SALU_CYCLE_1) | instskip(NEXT) | instid1(SALU_CYCLE_1)
	s_and_b32 s31, exec_lo, s31
	s_or_b32 s30, s31, s30
	s_delay_alu instid0(SALU_CYCLE_1)
	s_and_not1_b32 exec_lo, exec_lo, s30
	s_cbranch_execz .LBB97_14
.LBB97_17:                              ;   Parent Loop BB97_12 Depth=1
                                        ;     Parent Loop BB97_15 Depth=2
                                        ; =>    This Inner Loop Header: Depth=3
	s_delay_alu instid0(VALU_DEP_1)
	v_lshl_add_u32 v22, v21, 3, 0
	s_mov_b32 s31, exec_lo
                                        ; implicit-def: $sgpr38
	ds_load_b64 v[9:10], v22
	s_waitcnt lgkmcnt(0)
	v_cmpx_ne_u64_e64 v[9:10], v[7:8]
	s_xor_b32 s31, exec_lo, s31
	s_cbranch_execz .LBB97_25
; %bb.18:                               ;   in Loop: Header=BB97_17 Depth=3
	s_mov_b32 s39, exec_lo
                                        ; implicit-def: $sgpr38
	v_cmpx_ne_u64_e64 s[36:37], v[9:10]
	s_xor_b32 s39, exec_lo, s39
; %bb.19:                               ;   in Loop: Header=BB97_17 Depth=3
	v_add_nc_u32_e32 v9, 1, v21
	s_mov_b32 s38, -1
                                        ; implicit-def: $vgpr22
	s_delay_alu instid0(VALU_DEP_1)
	v_and_b32_e32 v21, 0x7fff, v9
; %bb.20:                               ;   in Loop: Header=BB97_17 Depth=3
	s_and_not1_saveexec_b32 s39, s39
	s_cbranch_execz .LBB97_24
; %bb.21:                               ;   in Loop: Header=BB97_17 Depth=3
	v_dual_mov_b32 v9, s36 :: v_dual_mov_b32 v10, s37
	s_mov_b32 s40, -1
	s_mov_b32 s41, exec_lo
	ds_cmpstore_rtn_b64 v[9:10], v22, v[7:8], v[9:10]
	s_waitcnt lgkmcnt(0)
	v_cmpx_eq_u64_e64 s[36:37], v[9:10]
	s_cbranch_execz .LBB97_23
; %bb.22:                               ;   in Loop: Header=BB97_17 Depth=3
	v_lshlrev_b32_e32 v9, 2, v21
	s_xor_b32 s40, exec_lo, -1
	s_delay_alu instid0(VALU_DEP_1)
	v_add3_u32 v9, 0, v9, 0x40000
	ds_add_f32 v9, v20
.LBB97_23:                              ;   in Loop: Header=BB97_17 Depth=3
	s_or_b32 exec_lo, exec_lo, s41
	s_delay_alu instid0(SALU_CYCLE_1) | instskip(SKIP_1) | instid1(SALU_CYCLE_1)
	s_and_not1_b32 s38, s38, exec_lo
	s_and_b32 s40, s40, exec_lo
	s_or_b32 s38, s38, s40
.LBB97_24:                              ;   in Loop: Header=BB97_17 Depth=3
	s_or_b32 exec_lo, exec_lo, s39
	s_delay_alu instid0(SALU_CYCLE_1)
	s_and_b32 s38, s38, exec_lo
.LBB97_25:                              ;   in Loop: Header=BB97_17 Depth=3
	s_and_not1_saveexec_b32 s31, s31
	s_cbranch_execz .LBB97_16
; %bb.26:                               ;   in Loop: Header=BB97_17 Depth=3
	v_lshlrev_b32_e32 v9, 2, v21
	s_and_not1_b32 s38, s38, exec_lo
	s_delay_alu instid0(VALU_DEP_1)
	v_add3_u32 v9, 0, v9, 0x40000
	ds_add_f32 v9, v20
	s_branch .LBB97_16
.LBB97_27:
	s_or_b32 exec_lo, exec_lo, s2
.LBB97_28:
	s_delay_alu instid0(SALU_CYCLE_1)
	s_and_not1_b32 vcc_lo, exec_lo, s33
	s_cbranch_vccnz .LBB97_45
; %bb.29:
	s_waitcnt lgkmcnt(0)
	s_lshl_b64 s[0:1], s[28:29], 3
	v_sub_co_u32 v1, s4, v0, s23
	s_add_u32 s0, s12, s0
	s_addc_u32 s1, s13, s1
	v_sub_co_ci_u32_e64 v2, null, 0, 0, s4
	s_load_b128 s[0:3], s[0:1], 0x0
	s_waitcnt lgkmcnt(0)
	v_add_co_u32 v1, vcc_lo, s0, v1
	s_delay_alu instid0(VALU_DEP_2)
	v_add_co_ci_u32_e32 v2, vcc_lo, s1, v2, vcc_lo
	s_sub_u32 s0, s2, s23
	s_subb_u32 s1, s3, 0
	s_mov_b32 s2, 0
	s_mov_b32 s3, exec_lo
	v_cmpx_gt_i64_e64 s[0:1], v[1:2]
	s_cbranch_execz .LBB97_44
; %bb.30:
	s_mov_b32 s4, s23
	s_branch .LBB97_32
.LBB97_31:                              ;   in Loop: Header=BB97_32 Depth=1
	s_or_b32 exec_lo, exec_lo, s5
	v_add_co_u32 v1, vcc_lo, 0x400, v1
	v_add_co_ci_u32_e32 v2, vcc_lo, 0, v2, vcc_lo
	s_delay_alu instid0(VALU_DEP_1) | instskip(SKIP_1) | instid1(SALU_CYCLE_1)
	v_cmp_le_i64_e32 vcc_lo, s[0:1], v[1:2]
	s_or_b32 s2, vcc_lo, s2
	s_and_not1_b32 exec_lo, exec_lo, s2
	s_cbranch_execz .LBB97_44
.LBB97_32:                              ; =>This Loop Header: Depth=1
                                        ;     Child Loop BB97_34 Depth 2
	v_lshlrev_b64 v[3:4], 3, v[1:2]
	v_lshlrev_b64 v[5:6], 2, v[1:2]
	s_mov_b32 s5, 0
	s_delay_alu instid0(VALU_DEP_2) | instskip(NEXT) | instid1(VALU_DEP_3)
	v_add_co_u32 v3, vcc_lo, s14, v3
	v_add_co_ci_u32_e32 v4, vcc_lo, s15, v4, vcc_lo
	s_delay_alu instid0(VALU_DEP_3) | instskip(NEXT) | instid1(VALU_DEP_4)
	v_add_co_u32 v5, vcc_lo, s16, v5
	v_add_co_ci_u32_e32 v6, vcc_lo, s17, v6, vcc_lo
	global_load_b64 v[3:4], v[3:4], off
	global_load_b32 v5, v[5:6], off
	s_waitcnt vmcnt(1)
	v_sub_co_u32 v3, vcc_lo, v3, s4
	v_subrev_co_ci_u32_e32 v4, vcc_lo, 0, v4, vcc_lo
	s_delay_alu instid0(VALU_DEP_2) | instskip(SKIP_1) | instid1(VALU_DEP_1)
	v_mul_lo_u32 v6, 0x89, v3
	s_waitcnt vmcnt(0)
	v_dual_mul_f32 v7, v14, v5 :: v_dual_and_b32 v8, 0x7fff, v6
	s_branch .LBB97_34
.LBB97_33:                              ;   in Loop: Header=BB97_34 Depth=2
	s_or_b32 exec_lo, exec_lo, s6
	s_xor_b32 s6, s7, -1
	s_delay_alu instid0(SALU_CYCLE_1) | instskip(NEXT) | instid1(SALU_CYCLE_1)
	s_and_b32 s6, exec_lo, s6
	s_or_b32 s5, s6, s5
	s_delay_alu instid0(SALU_CYCLE_1)
	s_and_not1_b32 exec_lo, exec_lo, s5
	s_cbranch_execz .LBB97_31
.LBB97_34:                              ;   Parent Loop BB97_32 Depth=1
                                        ; =>  This Inner Loop Header: Depth=2
	s_delay_alu instid0(VALU_DEP_1)
	v_lshl_add_u32 v9, v8, 3, 0
	s_mov_b32 s6, exec_lo
                                        ; implicit-def: $sgpr7
	ds_load_b64 v[5:6], v9
	s_waitcnt lgkmcnt(0)
	v_cmpx_ne_u64_e64 v[5:6], v[3:4]
	s_xor_b32 s6, exec_lo, s6
	s_cbranch_execz .LBB97_42
; %bb.35:                               ;   in Loop: Header=BB97_34 Depth=2
	s_mov_b32 s8, exec_lo
                                        ; implicit-def: $sgpr7
	v_cmpx_ne_u64_e64 s[36:37], v[5:6]
	s_xor_b32 s8, exec_lo, s8
; %bb.36:                               ;   in Loop: Header=BB97_34 Depth=2
	v_add_nc_u32_e32 v5, 1, v8
	s_mov_b32 s7, -1
                                        ; implicit-def: $vgpr9
	s_delay_alu instid0(VALU_DEP_1)
	v_and_b32_e32 v8, 0x7fff, v5
; %bb.37:                               ;   in Loop: Header=BB97_34 Depth=2
	s_and_not1_saveexec_b32 s8, s8
	s_cbranch_execz .LBB97_41
; %bb.38:                               ;   in Loop: Header=BB97_34 Depth=2
	v_dual_mov_b32 v5, s36 :: v_dual_mov_b32 v6, s37
	s_mov_b32 s9, -1
	s_mov_b32 s10, exec_lo
	ds_cmpstore_rtn_b64 v[5:6], v9, v[3:4], v[5:6]
	s_waitcnt lgkmcnt(0)
	v_cmpx_eq_u64_e64 s[36:37], v[5:6]
	s_cbranch_execz .LBB97_40
; %bb.39:                               ;   in Loop: Header=BB97_34 Depth=2
	v_lshlrev_b32_e32 v5, 2, v8
	s_xor_b32 s9, exec_lo, -1
	s_delay_alu instid0(VALU_DEP_1)
	v_add3_u32 v5, 0, v5, 0x40000
	ds_add_f32 v5, v7
.LBB97_40:                              ;   in Loop: Header=BB97_34 Depth=2
	s_or_b32 exec_lo, exec_lo, s10
	s_delay_alu instid0(SALU_CYCLE_1) | instskip(SKIP_1) | instid1(SALU_CYCLE_1)
	s_and_not1_b32 s7, s7, exec_lo
	s_and_b32 s9, s9, exec_lo
	s_or_b32 s7, s7, s9
.LBB97_41:                              ;   in Loop: Header=BB97_34 Depth=2
	s_or_b32 exec_lo, exec_lo, s8
	s_delay_alu instid0(SALU_CYCLE_1)
	s_and_b32 s7, s7, exec_lo
.LBB97_42:                              ;   in Loop: Header=BB97_34 Depth=2
	s_and_not1_saveexec_b32 s6, s6
	s_cbranch_execz .LBB97_33
; %bb.43:                               ;   in Loop: Header=BB97_34 Depth=2
	v_lshlrev_b32_e32 v5, 2, v8
	s_and_not1_b32 s7, s7, exec_lo
	s_delay_alu instid0(VALU_DEP_1)
	v_add3_u32 v5, 0, v5, 0x40000
	ds_add_f32 v5, v7
	s_branch .LBB97_33
.LBB97_44:
	s_or_b32 exec_lo, exec_lo, s3
.LBB97_45:
	v_mbcnt_lo_u32_b32 v1, -1, 0
	v_dual_mov_b32 v5, 0 :: v_dual_lshlrev_b32 v2, 3, v15
	s_add_i32 s39, 0, 0x60078
	v_cmp_eq_u32_e32 vcc_lo, 0x3ff, v0
	s_delay_alu instid0(VALU_DEP_3) | instskip(NEXT) | instid1(VALU_DEP_3)
	v_xor_b32_e32 v1, 63, v1
	v_add3_u32 v10, 0, 0x60000, v2
	v_cmp_lt_u32_e64 s0, 63, v0
	v_cmp_lt_u32_e64 s1, 0x7f, v0
	;; [unrolled: 1-line block ×3, first 2 shown]
	v_lshrrev_b64 v[1:2], v1, -1
	v_mov_b32_e32 v2, 0
	v_cmp_lt_u32_e64 s3, 0xff, v0
	v_cmp_lt_u32_e64 s4, 0x13f, v0
	;; [unrolled: 1-line block ×12, first 2 shown]
	v_dual_mov_b32 v3, 0 :: v_dual_mov_b32 v14, s39
	s_mov_b32 s17, 0
	s_add_i32 s20, 0, 0x60000
	s_add_i32 s21, 0, 0x60008
	;; [unrolled: 1-line block ×15, first 2 shown]
	s_waitcnt lgkmcnt(0)
	s_barrier
	buffer_gl0_inv
	s_branch .LBB97_47
.LBB97_46:                              ;   in Loop: Header=BB97_47 Depth=1
	s_or_b32 exec_lo, exec_lo, s15
	s_waitcnt lgkmcnt(0)
	s_barrier
	buffer_gl0_inv
	ds_load_b64 v[6:7], v14
	v_add_nc_u32_e32 v13, 0x400, v13
	v_add_nc_u32_e32 v12, 0x1000, v12
	;; [unrolled: 1-line block ×3, first 2 shown]
	s_delay_alu instid0(VALU_DEP_3) | instskip(NEXT) | instid1(VALU_DEP_1)
	v_cmp_lt_u32_e64 s15, 0x7bff, v13
	s_or_b32 s17, s15, s17
	s_waitcnt lgkmcnt(0)
	v_add_co_u32 v2, s16, v6, v2
	s_delay_alu instid0(VALU_DEP_1)
	v_add_co_ci_u32_e64 v3, s16, v7, v3, s16
	s_and_not1_b32 exec_lo, exec_lo, s17
	s_cbranch_execz .LBB97_81
.LBB97_47:                              ; =>This Inner Loop Header: Depth=1
	ds_load_b64 v[6:7], v11
	ds_load_b32 v15, v12
	s_waitcnt lgkmcnt(0)
	s_barrier
	buffer_gl0_inv
	v_cmp_gt_i64_e64 s15, s[36:37], v[6:7]
	s_delay_alu instid0(VALU_DEP_1) | instskip(SKIP_1) | instid1(SALU_CYCLE_1)
	v_and_b32_e32 v8, s15, v1
	s_bcnt1_i32_b32 s16, s15
	v_mov_b32_e32 v4, s16
	s_delay_alu instid0(VALU_DEP_2)
	v_bcnt_u32_b32 v8, v8, 0
	ds_store_b64 v10, v[4:5]
	s_waitcnt lgkmcnt(0)
	s_barrier
	buffer_gl0_inv
	s_and_saveexec_b32 s16, s0
	s_cbranch_execnz .LBB97_64
; %bb.48:                               ;   in Loop: Header=BB97_47 Depth=1
	s_or_b32 exec_lo, exec_lo, s16
	s_and_saveexec_b32 s16, s1
	s_cbranch_execnz .LBB97_65
.LBB97_49:                              ;   in Loop: Header=BB97_47 Depth=1
	s_or_b32 exec_lo, exec_lo, s16
	s_and_saveexec_b32 s16, s2
	s_cbranch_execnz .LBB97_66
.LBB97_50:                              ;   in Loop: Header=BB97_47 Depth=1
	s_or_b32 exec_lo, exec_lo, s16
	s_and_saveexec_b32 s16, s3
	s_cbranch_execnz .LBB97_67
.LBB97_51:                              ;   in Loop: Header=BB97_47 Depth=1
	s_or_b32 exec_lo, exec_lo, s16
	s_and_saveexec_b32 s16, s4
	s_cbranch_execnz .LBB97_68
.LBB97_52:                              ;   in Loop: Header=BB97_47 Depth=1
	s_or_b32 exec_lo, exec_lo, s16
	s_and_saveexec_b32 s16, s5
	s_cbranch_execnz .LBB97_69
.LBB97_53:                              ;   in Loop: Header=BB97_47 Depth=1
	s_or_b32 exec_lo, exec_lo, s16
	s_and_saveexec_b32 s16, s6
	s_cbranch_execnz .LBB97_70
.LBB97_54:                              ;   in Loop: Header=BB97_47 Depth=1
	s_or_b32 exec_lo, exec_lo, s16
	s_and_saveexec_b32 s16, s7
	s_cbranch_execnz .LBB97_71
.LBB97_55:                              ;   in Loop: Header=BB97_47 Depth=1
	s_or_b32 exec_lo, exec_lo, s16
	s_and_saveexec_b32 s16, s8
	s_cbranch_execnz .LBB97_72
.LBB97_56:                              ;   in Loop: Header=BB97_47 Depth=1
	s_or_b32 exec_lo, exec_lo, s16
	s_and_saveexec_b32 s16, s9
	s_cbranch_execnz .LBB97_73
.LBB97_57:                              ;   in Loop: Header=BB97_47 Depth=1
	s_or_b32 exec_lo, exec_lo, s16
	s_and_saveexec_b32 s16, s10
	s_cbranch_execnz .LBB97_74
.LBB97_58:                              ;   in Loop: Header=BB97_47 Depth=1
	s_or_b32 exec_lo, exec_lo, s16
	s_and_saveexec_b32 s16, s11
	s_cbranch_execnz .LBB97_75
.LBB97_59:                              ;   in Loop: Header=BB97_47 Depth=1
	s_or_b32 exec_lo, exec_lo, s16
	s_and_saveexec_b32 s16, s12
	s_cbranch_execnz .LBB97_76
.LBB97_60:                              ;   in Loop: Header=BB97_47 Depth=1
	s_or_b32 exec_lo, exec_lo, s16
	s_and_saveexec_b32 s16, s13
	s_cbranch_execnz .LBB97_77
.LBB97_61:                              ;   in Loop: Header=BB97_47 Depth=1
	s_or_b32 exec_lo, exec_lo, s16
	s_and_saveexec_b32 s16, s14
	s_cbranch_execnz .LBB97_78
.LBB97_62:                              ;   in Loop: Header=BB97_47 Depth=1
	s_or_b32 exec_lo, exec_lo, s16
	v_ashrrev_i32_e32 v9, 31, v8
	s_and_saveexec_b32 s16, s15
	s_cbranch_execnz .LBB97_79
.LBB97_63:                              ;   in Loop: Header=BB97_47 Depth=1
	s_or_b32 exec_lo, exec_lo, s16
	s_and_saveexec_b32 s15, vcc_lo
	s_cbranch_execz .LBB97_46
	s_branch .LBB97_80
.LBB97_64:                              ;   in Loop: Header=BB97_47 Depth=1
	v_mov_b32_e32 v4, s20
	ds_load_b32 v4, v4
	s_waitcnt lgkmcnt(0)
	v_add_nc_u32_e32 v8, v4, v8
	s_or_b32 exec_lo, exec_lo, s16
	s_and_saveexec_b32 s16, s1
	s_cbranch_execz .LBB97_49
.LBB97_65:                              ;   in Loop: Header=BB97_47 Depth=1
	v_mov_b32_e32 v4, s21
	ds_load_b32 v4, v4
	s_waitcnt lgkmcnt(0)
	v_add_nc_u32_e32 v8, v8, v4
	s_or_b32 exec_lo, exec_lo, s16
	s_and_saveexec_b32 s16, s2
	s_cbranch_execz .LBB97_50
.LBB97_66:                              ;   in Loop: Header=BB97_47 Depth=1
	v_mov_b32_e32 v4, s23
	ds_load_b32 v4, v4
	s_waitcnt lgkmcnt(0)
	v_add_nc_u32_e32 v8, v8, v4
	s_or_b32 exec_lo, exec_lo, s16
	s_and_saveexec_b32 s16, s3
	s_cbranch_execz .LBB97_51
.LBB97_67:                              ;   in Loop: Header=BB97_47 Depth=1
	v_mov_b32_e32 v4, s24
	ds_load_b32 v4, v4
	s_waitcnt lgkmcnt(0)
	v_add_nc_u32_e32 v8, v8, v4
	s_or_b32 exec_lo, exec_lo, s16
	s_and_saveexec_b32 s16, s4
	s_cbranch_execz .LBB97_52
.LBB97_68:                              ;   in Loop: Header=BB97_47 Depth=1
	v_mov_b32_e32 v4, s25
	ds_load_b32 v4, v4
	s_waitcnt lgkmcnt(0)
	v_add_nc_u32_e32 v8, v8, v4
	s_or_b32 exec_lo, exec_lo, s16
	s_and_saveexec_b32 s16, s5
	s_cbranch_execz .LBB97_53
.LBB97_69:                              ;   in Loop: Header=BB97_47 Depth=1
	v_mov_b32_e32 v4, s26
	ds_load_b32 v4, v4
	s_waitcnt lgkmcnt(0)
	v_add_nc_u32_e32 v8, v8, v4
	s_or_b32 exec_lo, exec_lo, s16
	s_and_saveexec_b32 s16, s6
	s_cbranch_execz .LBB97_54
.LBB97_70:                              ;   in Loop: Header=BB97_47 Depth=1
	v_mov_b32_e32 v4, s27
	ds_load_b32 v4, v4
	s_waitcnt lgkmcnt(0)
	v_add_nc_u32_e32 v8, v8, v4
	s_or_b32 exec_lo, exec_lo, s16
	s_and_saveexec_b32 s16, s7
	s_cbranch_execz .LBB97_55
.LBB97_71:                              ;   in Loop: Header=BB97_47 Depth=1
	v_mov_b32_e32 v4, s30
	ds_load_b32 v4, v4
	s_waitcnt lgkmcnt(0)
	v_add_nc_u32_e32 v8, v8, v4
	s_or_b32 exec_lo, exec_lo, s16
	s_and_saveexec_b32 s16, s8
	s_cbranch_execz .LBB97_56
.LBB97_72:                              ;   in Loop: Header=BB97_47 Depth=1
	v_mov_b32_e32 v4, s31
	ds_load_b32 v4, v4
	s_waitcnt lgkmcnt(0)
	v_add_nc_u32_e32 v8, v8, v4
	s_or_b32 exec_lo, exec_lo, s16
	s_and_saveexec_b32 s16, s9
	s_cbranch_execz .LBB97_57
.LBB97_73:                              ;   in Loop: Header=BB97_47 Depth=1
	v_mov_b32_e32 v4, s33
	ds_load_b32 v4, v4
	s_waitcnt lgkmcnt(0)
	v_add_nc_u32_e32 v8, v8, v4
	s_or_b32 exec_lo, exec_lo, s16
	s_and_saveexec_b32 s16, s10
	s_cbranch_execz .LBB97_58
.LBB97_74:                              ;   in Loop: Header=BB97_47 Depth=1
	v_mov_b32_e32 v4, s38
	ds_load_b32 v4, v4
	s_waitcnt lgkmcnt(0)
	v_add_nc_u32_e32 v8, v8, v4
	s_or_b32 exec_lo, exec_lo, s16
	s_and_saveexec_b32 s16, s11
	s_cbranch_execz .LBB97_59
.LBB97_75:                              ;   in Loop: Header=BB97_47 Depth=1
	v_mov_b32_e32 v4, s40
	ds_load_b32 v4, v4
	s_waitcnt lgkmcnt(0)
	v_add_nc_u32_e32 v8, v8, v4
	s_or_b32 exec_lo, exec_lo, s16
	s_and_saveexec_b32 s16, s12
	s_cbranch_execz .LBB97_60
.LBB97_76:                              ;   in Loop: Header=BB97_47 Depth=1
	v_mov_b32_e32 v4, s41
	ds_load_b32 v4, v4
	s_waitcnt lgkmcnt(0)
	v_add_nc_u32_e32 v8, v8, v4
	s_or_b32 exec_lo, exec_lo, s16
	s_and_saveexec_b32 s16, s13
	s_cbranch_execz .LBB97_61
.LBB97_77:                              ;   in Loop: Header=BB97_47 Depth=1
	v_mov_b32_e32 v4, s42
	ds_load_b32 v4, v4
	s_waitcnt lgkmcnt(0)
	v_add_nc_u32_e32 v8, v8, v4
	s_or_b32 exec_lo, exec_lo, s16
	s_and_saveexec_b32 s16, s14
	s_cbranch_execz .LBB97_62
.LBB97_78:                              ;   in Loop: Header=BB97_47 Depth=1
	v_mov_b32_e32 v4, s43
	ds_load_b32 v4, v4
	s_waitcnt lgkmcnt(0)
	v_add_nc_u32_e32 v8, v8, v4
	s_or_b32 exec_lo, exec_lo, s16
	s_delay_alu instid0(VALU_DEP_1)
	v_ashrrev_i32_e32 v9, 31, v8
	s_and_saveexec_b32 s16, s15
	s_cbranch_execz .LBB97_63
.LBB97_79:                              ;   in Loop: Header=BB97_47 Depth=1
	v_add3_u32 v4, v2, -1, v8
	s_delay_alu instid0(VALU_DEP_1) | instskip(SKIP_1) | instid1(VALU_DEP_2)
	v_lshlrev_b32_e32 v16, 2, v4
	v_lshl_add_u32 v4, v4, 3, 0
	v_add3_u32 v16, 0, v16, 0x40000
	ds_store_b64 v4, v[6:7]
	ds_store_b32 v16, v15
	s_or_b32 exec_lo, exec_lo, s16
	s_and_saveexec_b32 s15, vcc_lo
	s_cbranch_execz .LBB97_46
.LBB97_80:                              ;   in Loop: Header=BB97_47 Depth=1
	v_mov_b32_e32 v4, s39
	ds_store_b64 v4, v[8:9]
	s_branch .LBB97_46
.LBB97_81:
	s_or_b32 exec_lo, exec_lo, s17
	s_lshl_b64 s[0:1], s[28:29], 3
	v_mov_b32_e32 v1, 0
	s_add_u32 s0, s18, s0
	s_addc_u32 s1, s19, s1
	s_mov_b32 s6, exec_lo
	s_load_b128 s[0:3], s[0:1], 0x0
	s_waitcnt lgkmcnt(0)
	s_sub_u32 s4, s2, s0
	s_subb_u32 s5, s3, s1
	s_delay_alu instid0(SALU_CYCLE_1)
	v_cmpx_gt_i64_e64 s[4:5], v[0:1]
	s_cbranch_execz .LBB97_91
; %bb.82:
	s_sub_u32 s8, s0, s22
	s_subb_u32 s9, s1, 0
	s_and_b32 s6, s4, 7
	s_sub_u32 s0, s0, s2
	s_subb_u32 s1, s1, s3
	s_mov_b32 s7, 0
	v_cmp_lt_u64_e64 s12, s[0:1], -7
	s_and_b32 s2, s4, -8
	s_cmp_lg_u64 s[6:7], 0
	s_mov_b32 s3, s5
	s_cselect_b32 s13, -1, 0
	s_mov_b32 s14, s7
	s_branch .LBB97_84
.LBB97_83:                              ;   in Loop: Header=BB97_84 Depth=1
	v_add_co_u32 v0, vcc_lo, 0x400, v0
	v_add_co_ci_u32_e32 v1, vcc_lo, 0, v1, vcc_lo
	s_waitcnt lgkmcnt(1)
	v_lshlrev_b64 v[2:3], 2, v[4:5]
	s_delay_alu instid0(VALU_DEP_2) | instskip(NEXT) | instid1(VALU_DEP_2)
	v_cmp_le_i64_e32 vcc_lo, s[4:5], v[0:1]
	v_add_co_u32 v2, s0, s34, v2
	s_delay_alu instid0(VALU_DEP_1)
	v_add_co_ci_u32_e64 v3, s0, s35, v3, s0
	s_or_b32 s14, vcc_lo, s14
	s_waitcnt lgkmcnt(0)
	global_store_b32 v[2:3], v6, off
	s_and_not1_b32 exec_lo, exec_lo, s14
	s_cbranch_execz .LBB97_91
.LBB97_84:                              ; =>This Loop Header: Depth=1
                                        ;     Child Loop BB97_86 Depth 2
                                        ;     Child Loop BB97_90 Depth 2
	v_lshlrev_b32_e32 v2, 2, v0
	v_lshl_add_u32 v3, v0, 3, 0
	s_and_not1_b32 vcc_lo, exec_lo, s12
	s_mov_b64 s[0:1], 0
	s_delay_alu instid0(VALU_DEP_2)
	v_add3_u32 v4, 0, v2, 0x40000
	ds_load_b64 v[2:3], v3
	ds_load_b32 v6, v4
	v_dual_mov_b32 v4, s8 :: v_dual_mov_b32 v5, s9
	s_cbranch_vccnz .LBB97_88
; %bb.85:                               ;   in Loop: Header=BB97_84 Depth=1
	v_dual_mov_b32 v4, s8 :: v_dual_mov_b32 v5, s9
	s_mov_b64 s[10:11], 0
	s_mov_b32 s1, 0
.LBB97_86:                              ;   Parent Loop BB97_84 Depth=1
                                        ; =>  This Inner Loop Header: Depth=2
	s_delay_alu instid0(SALU_CYCLE_1)
	v_mov_b32_e32 v19, s1
	s_add_u32 s10, s10, 8
	s_addc_u32 s11, s11, 0
	s_add_i32 s1, s1, 64
	s_cmp_eq_u64 s[2:3], s[10:11]
	ds_load_2addr_b64 v[7:10], v19 offset1:1
	ds_load_2addr_b64 v[11:14], v19 offset0:2 offset1:3
	ds_load_2addr_b64 v[15:18], v19 offset0:4 offset1:5
	;; [unrolled: 1-line block ×3, first 2 shown]
	s_waitcnt lgkmcnt(3)
	v_cmp_gt_i64_e32 vcc_lo, v[2:3], v[7:8]
	v_cndmask_b32_e64 v7, 0, 1, vcc_lo
	v_cmp_gt_i64_e32 vcc_lo, v[2:3], v[9:10]
	v_cndmask_b32_e64 v8, 0, 1, vcc_lo
	s_waitcnt lgkmcnt(2)
	v_cmp_gt_i64_e32 vcc_lo, v[2:3], v[11:12]
	v_cndmask_b32_e64 v9, 0, 1, vcc_lo
	v_cmp_gt_i64_e32 vcc_lo, v[2:3], v[13:14]
	v_cndmask_b32_e64 v10, 0, 1, vcc_lo
	s_waitcnt lgkmcnt(1)
	v_cmp_gt_i64_e32 vcc_lo, v[2:3], v[15:16]
	v_cndmask_b32_e64 v11, 0, 1, vcc_lo
	v_add_co_u32 v4, vcc_lo, v4, v7
	v_add_co_ci_u32_e32 v5, vcc_lo, 0, v5, vcc_lo
	v_cmp_gt_i64_e32 vcc_lo, v[2:3], v[17:18]
	s_delay_alu instid0(VALU_DEP_3) | instskip(NEXT) | instid1(VALU_DEP_1)
	v_add_co_u32 v4, s0, v4, v8
	v_add_co_ci_u32_e64 v5, s0, 0, v5, s0
	v_cndmask_b32_e64 v7, 0, 1, vcc_lo
	s_delay_alu instid0(VALU_DEP_3) | instskip(NEXT) | instid1(VALU_DEP_3)
	v_add_co_u32 v4, vcc_lo, v4, v9
	v_add_co_ci_u32_e32 v5, vcc_lo, 0, v5, vcc_lo
	s_waitcnt lgkmcnt(0)
	v_cmp_gt_i64_e32 vcc_lo, v[2:3], v[19:20]
	s_delay_alu instid0(VALU_DEP_3) | instskip(NEXT) | instid1(VALU_DEP_1)
	v_add_co_u32 v4, s0, v4, v10
	v_add_co_ci_u32_e64 v5, s0, 0, v5, s0
	v_cndmask_b32_e64 v8, 0, 1, vcc_lo
	s_delay_alu instid0(VALU_DEP_3) | instskip(NEXT) | instid1(VALU_DEP_3)
	v_add_co_u32 v4, vcc_lo, v4, v11
	v_add_co_ci_u32_e32 v5, vcc_lo, 0, v5, vcc_lo
	v_cmp_gt_i64_e32 vcc_lo, v[2:3], v[21:22]
	s_delay_alu instid0(VALU_DEP_3) | instskip(NEXT) | instid1(VALU_DEP_1)
	v_add_co_u32 v4, s0, v4, v7
	v_add_co_ci_u32_e64 v5, s0, 0, v5, s0
	v_cndmask_b32_e64 v7, 0, 1, vcc_lo
	s_delay_alu instid0(VALU_DEP_3) | instskip(NEXT) | instid1(VALU_DEP_3)
	v_add_co_u32 v4, vcc_lo, v4, v8
	v_add_co_ci_u32_e32 v5, vcc_lo, 0, v5, vcc_lo
	s_delay_alu instid0(VALU_DEP_2) | instskip(NEXT) | instid1(VALU_DEP_2)
	v_add_co_u32 v4, vcc_lo, v4, v7
	v_add_co_ci_u32_e32 v5, vcc_lo, 0, v5, vcc_lo
	s_cbranch_scc0 .LBB97_86
; %bb.87:                               ;   in Loop: Header=BB97_84 Depth=1
	s_mov_b64 s[0:1], s[2:3]
.LBB97_88:                              ;   in Loop: Header=BB97_84 Depth=1
	s_and_not1_b32 vcc_lo, exec_lo, s13
	s_cbranch_vccnz .LBB97_83
; %bb.89:                               ;   in Loop: Header=BB97_84 Depth=1
	s_lshl_b32 s0, s0, 3
	s_delay_alu instid0(SALU_CYCLE_1)
	s_add_i32 s10, s0, 0
	s_mov_b64 s[0:1], s[6:7]
.LBB97_90:                              ;   Parent Loop BB97_84 Depth=1
                                        ; =>  This Inner Loop Header: Depth=2
	v_mov_b32_e32 v7, s10
	s_add_i32 s10, s10, 8
	s_add_u32 s0, s0, -1
	s_addc_u32 s1, s1, -1
	s_delay_alu instid0(SALU_CYCLE_1) | instskip(SKIP_4) | instid1(VALU_DEP_1)
	s_cmp_lg_u64 s[0:1], 0
	ds_load_b64 v[7:8], v7
	s_waitcnt lgkmcnt(0)
	v_cmp_gt_i64_e32 vcc_lo, v[2:3], v[7:8]
	v_cndmask_b32_e64 v7, 0, 1, vcc_lo
	v_add_co_u32 v4, vcc_lo, v4, v7
	v_add_co_ci_u32_e32 v5, vcc_lo, 0, v5, vcc_lo
	s_cbranch_scc1 .LBB97_90
	s_branch .LBB97_83
.LBB97_91:
	s_nop 0
	s_sendmsg sendmsg(MSG_DEALLOC_VGPRS)
	s_endpgm
	.section	.rodata,"a",@progbits
	.p2align	6, 0x0
	.amdhsa_kernel _ZN9rocsparseL41csrgemm_numeric_fill_block_per_row_kernelILj1024ELj64ELj32768ELj137ELj64EllfEEvT5_PKS1_S3_NS_24const_host_device_scalarIT6_EEPKT4_S3_PKS5_S9_S3_SB_S6_S9_S3_SB_S9_S3_PS5_21rocsparse_index_base_SD_SD_SD_bbb
		.amdhsa_group_segment_fixed_size 0
		.amdhsa_private_segment_fixed_size 0
		.amdhsa_kernarg_size 156
		.amdhsa_user_sgpr_count 15
		.amdhsa_user_sgpr_dispatch_ptr 0
		.amdhsa_user_sgpr_queue_ptr 0
		.amdhsa_user_sgpr_kernarg_segment_ptr 1
		.amdhsa_user_sgpr_dispatch_id 0
		.amdhsa_user_sgpr_private_segment_size 0
		.amdhsa_wavefront_size32 1
		.amdhsa_uses_dynamic_stack 0
		.amdhsa_enable_private_segment 0
		.amdhsa_system_sgpr_workgroup_id_x 1
		.amdhsa_system_sgpr_workgroup_id_y 0
		.amdhsa_system_sgpr_workgroup_id_z 0
		.amdhsa_system_sgpr_workgroup_info 0
		.amdhsa_system_vgpr_workitem_id 0
		.amdhsa_next_free_vgpr 23
		.amdhsa_next_free_sgpr 44
		.amdhsa_reserve_vcc 1
		.amdhsa_float_round_mode_32 0
		.amdhsa_float_round_mode_16_64 0
		.amdhsa_float_denorm_mode_32 3
		.amdhsa_float_denorm_mode_16_64 3
		.amdhsa_dx10_clamp 1
		.amdhsa_ieee_mode 1
		.amdhsa_fp16_overflow 0
		.amdhsa_workgroup_processor_mode 1
		.amdhsa_memory_ordered 1
		.amdhsa_forward_progress 0
		.amdhsa_shared_vgpr_count 0
		.amdhsa_exception_fp_ieee_invalid_op 0
		.amdhsa_exception_fp_denorm_src 0
		.amdhsa_exception_fp_ieee_div_zero 0
		.amdhsa_exception_fp_ieee_overflow 0
		.amdhsa_exception_fp_ieee_underflow 0
		.amdhsa_exception_fp_ieee_inexact 0
		.amdhsa_exception_int_div_zero 0
	.end_amdhsa_kernel
	.section	.text._ZN9rocsparseL41csrgemm_numeric_fill_block_per_row_kernelILj1024ELj64ELj32768ELj137ELj64EllfEEvT5_PKS1_S3_NS_24const_host_device_scalarIT6_EEPKT4_S3_PKS5_S9_S3_SB_S6_S9_S3_SB_S9_S3_PS5_21rocsparse_index_base_SD_SD_SD_bbb,"axG",@progbits,_ZN9rocsparseL41csrgemm_numeric_fill_block_per_row_kernelILj1024ELj64ELj32768ELj137ELj64EllfEEvT5_PKS1_S3_NS_24const_host_device_scalarIT6_EEPKT4_S3_PKS5_S9_S3_SB_S6_S9_S3_SB_S9_S3_PS5_21rocsparse_index_base_SD_SD_SD_bbb,comdat
.Lfunc_end97:
	.size	_ZN9rocsparseL41csrgemm_numeric_fill_block_per_row_kernelILj1024ELj64ELj32768ELj137ELj64EllfEEvT5_PKS1_S3_NS_24const_host_device_scalarIT6_EEPKT4_S3_PKS5_S9_S3_SB_S6_S9_S3_SB_S9_S3_PS5_21rocsparse_index_base_SD_SD_SD_bbb, .Lfunc_end97-_ZN9rocsparseL41csrgemm_numeric_fill_block_per_row_kernelILj1024ELj64ELj32768ELj137ELj64EllfEEvT5_PKS1_S3_NS_24const_host_device_scalarIT6_EEPKT4_S3_PKS5_S9_S3_SB_S6_S9_S3_SB_S9_S3_PS5_21rocsparse_index_base_SD_SD_SD_bbb
                                        ; -- End function
	.section	.AMDGPU.csdata,"",@progbits
; Kernel info:
; codeLenInByte = 3808
; NumSgprs: 46
; NumVgprs: 23
; ScratchSize: 0
; MemoryBound: 0
; FloatMode: 240
; IeeeMode: 1
; LDSByteSize: 0 bytes/workgroup (compile time only)
; SGPRBlocks: 5
; VGPRBlocks: 2
; NumSGPRsForWavesPerEU: 46
; NumVGPRsForWavesPerEU: 23
; Occupancy: 16
; WaveLimiterHint : 1
; COMPUTE_PGM_RSRC2:SCRATCH_EN: 0
; COMPUTE_PGM_RSRC2:USER_SGPR: 15
; COMPUTE_PGM_RSRC2:TRAP_HANDLER: 0
; COMPUTE_PGM_RSRC2:TGID_X_EN: 1
; COMPUTE_PGM_RSRC2:TGID_Y_EN: 0
; COMPUTE_PGM_RSRC2:TGID_Z_EN: 0
; COMPUTE_PGM_RSRC2:TIDIG_COMP_CNT: 0
	.section	.text._ZN9rocsparseL51csrgemm_numeric_fill_block_per_row_multipass_kernelILj512ELj16ELj2048ELj32EllfEEvT4_PKS1_S3_NS_24const_host_device_scalarIT5_EEPKT3_S3_PKS5_S9_S3_SB_S6_S9_S3_SB_S9_S3_PS5_PS7_21rocsparse_index_base_SE_SE_SE_bbb,"axG",@progbits,_ZN9rocsparseL51csrgemm_numeric_fill_block_per_row_multipass_kernelILj512ELj16ELj2048ELj32EllfEEvT4_PKS1_S3_NS_24const_host_device_scalarIT5_EEPKT3_S3_PKS5_S9_S3_SB_S6_S9_S3_SB_S9_S3_PS5_PS7_21rocsparse_index_base_SE_SE_SE_bbb,comdat
	.globl	_ZN9rocsparseL51csrgemm_numeric_fill_block_per_row_multipass_kernelILj512ELj16ELj2048ELj32EllfEEvT4_PKS1_S3_NS_24const_host_device_scalarIT5_EEPKT3_S3_PKS5_S9_S3_SB_S6_S9_S3_SB_S9_S3_PS5_PS7_21rocsparse_index_base_SE_SE_SE_bbb ; -- Begin function _ZN9rocsparseL51csrgemm_numeric_fill_block_per_row_multipass_kernelILj512ELj16ELj2048ELj32EllfEEvT4_PKS1_S3_NS_24const_host_device_scalarIT5_EEPKT3_S3_PKS5_S9_S3_SB_S6_S9_S3_SB_S9_S3_PS5_PS7_21rocsparse_index_base_SE_SE_SE_bbb
	.p2align	8
	.type	_ZN9rocsparseL51csrgemm_numeric_fill_block_per_row_multipass_kernelILj512ELj16ELj2048ELj32EllfEEvT4_PKS1_S3_NS_24const_host_device_scalarIT5_EEPKT3_S3_PKS5_S9_S3_SB_S6_S9_S3_SB_S9_S3_PS5_PS7_21rocsparse_index_base_SE_SE_SE_bbb,@function
_ZN9rocsparseL51csrgemm_numeric_fill_block_per_row_multipass_kernelILj512ELj16ELj2048ELj32EllfEEvT4_PKS1_S3_NS_24const_host_device_scalarIT5_EEPKT3_S3_PKS5_S9_S3_SB_S6_S9_S3_SB_S9_S3_PS5_PS7_21rocsparse_index_base_SE_SE_SE_bbb: ; @_ZN9rocsparseL51csrgemm_numeric_fill_block_per_row_multipass_kernelILj512ELj16ELj2048ELj32EllfEEvT4_PKS1_S3_NS_24const_host_device_scalarIT5_EEPKT3_S3_PKS5_S9_S3_SB_S6_S9_S3_SB_S9_S3_PS5_PS7_21rocsparse_index_base_SE_SE_SE_bbb
; %bb.0:
	s_clause 0x4
	s_load_b32 s3, s[0:1], 0xa0
	s_load_b128 s[4:7], s[0:1], 0x8
	s_load_b64 s[8:9], s[0:1], 0x18
	s_load_b128 s[28:31], s[0:1], 0x90
	s_load_b64 s[10:11], s[0:1], 0x50
	s_mov_b32 s2, s15
	s_waitcnt lgkmcnt(0)
	s_bitcmp1_b32 s3, 0
	s_cselect_b32 s18, -1, 0
	s_bitcmp1_b32 s3, 16
	s_cselect_b32 s12, -1, 0
	s_xor_b32 s13, s18, -1
	s_delay_alu instid0(SALU_CYCLE_1) | instskip(NEXT) | instid1(SALU_CYCLE_1)
	s_or_b32 s13, s13, s12
	s_and_b32 vcc_lo, exec_lo, s13
	s_cbranch_vccnz .LBB98_2
; %bb.1:
	s_load_b32 s8, s[8:9], 0x0
	s_waitcnt lgkmcnt(0)
	v_mov_b32_e32 v32, s8
	s_branch .LBB98_3
.LBB98_2:
	v_cndmask_b32_e64 v32, 0, s8, s18
.LBB98_3:
	s_load_b64 s[8:9], s[0:1], 0x20
	s_bitcmp1_b32 s3, 8
	s_cselect_b32 s33, -1, 0
	s_delay_alu instid0(SALU_CYCLE_1) | instskip(NEXT) | instid1(SALU_CYCLE_1)
	s_xor_b32 s3, s33, -1
	s_or_b32 s3, s3, s12
	s_delay_alu instid0(SALU_CYCLE_1)
	s_and_b32 vcc_lo, exec_lo, s3
	s_cbranch_vccnz .LBB98_5
; %bb.4:
	s_load_b32 s3, s[10:11], 0x0
	s_waitcnt lgkmcnt(0)
	v_mov_b32_e32 v33, s3
	s_branch .LBB98_6
.LBB98_5:
	v_cndmask_b32_e64 v33, 0, s10, s33
.LBB98_6:
	s_load_b64 s[4:5], s[4:5], 0x0
	s_mov_b32 s3, 0
	s_mov_b64 s[34:35], 0
	s_waitcnt lgkmcnt(0)
	s_lshl_b64 s[4:5], s[4:5], 3
	s_delay_alu instid0(SALU_CYCLE_1) | instskip(SKIP_2) | instid1(SALU_CYCLE_1)
	s_add_u32 s4, s6, s4
	s_addc_u32 s5, s7, s5
	s_lshl_b64 s[2:3], s[2:3], 3
	s_add_u32 s2, s4, s2
	s_addc_u32 s3, s5, s3
	s_and_not1_b32 vcc_lo, exec_lo, s18
	s_load_b64 s[4:5], s[2:3], 0x0
	s_mov_b64 s[2:3], 0
	s_cbranch_vccz .LBB98_9
; %bb.7:
	s_and_not1_b32 vcc_lo, exec_lo, s18
	s_cbranch_vccz .LBB98_10
.LBB98_8:
	s_load_b64 s[48:49], s[0:1], 0x0
	s_waitcnt lgkmcnt(0)
	v_cmp_lt_i64_e64 s6, s[48:49], 1
	s_delay_alu instid0(VALU_DEP_1)
	s_and_b32 vcc_lo, exec_lo, s6
	s_cbranch_vccz .LBB98_11
	s_branch .LBB98_65
.LBB98_9:
	s_waitcnt lgkmcnt(0)
	s_lshl_b64 s[2:3], s[4:5], 3
	s_delay_alu instid0(SALU_CYCLE_1)
	s_add_u32 s2, s8, s2
	s_addc_u32 s3, s9, s3
	s_load_b64 s[2:3], s[2:3], 0x0
	s_waitcnt lgkmcnt(0)
	s_sub_u32 s2, s2, s28
	s_subb_u32 s3, s3, 0
	s_and_not1_b32 vcc_lo, exec_lo, s18
	s_cbranch_vccnz .LBB98_8
.LBB98_10:
	s_waitcnt lgkmcnt(0)
	s_lshl_b64 s[6:7], s[4:5], 3
	s_delay_alu instid0(SALU_CYCLE_1)
	s_add_u32 s6, s8, s6
	s_addc_u32 s7, s9, s7
	s_load_b64 s[6:7], s[6:7], 0x8
	s_waitcnt lgkmcnt(0)
	s_sub_u32 s34, s6, s28
	s_subb_u32 s35, s7, 0
	s_load_b64 s[48:49], s[0:1], 0x0
	s_waitcnt lgkmcnt(0)
	v_cmp_lt_i64_e64 s6, s[48:49], 1
	s_delay_alu instid0(VALU_DEP_1)
	s_and_b32 vcc_lo, exec_lo, s6
	s_cbranch_vccnz .LBB98_65
.LBB98_11:
	s_clause 0x3
	s_load_b256 s[20:27], s[0:1], 0x58
	s_load_b128 s[44:47], s[0:1], 0x80
	s_load_b64 s[50:51], s[0:1], 0x48
	s_load_b256 s[36:43], s[0:1], 0x28
	v_mbcnt_lo_u32_b32 v3, -1, 0
	v_lshrrev_b32_e32 v1, 4, v0
	s_lshl_b64 s[4:5], s[4:5], 3
	v_sub_co_u32 v36, s1, v0, s31
	s_delay_alu instid0(VALU_DEP_3) | instskip(SKIP_3) | instid1(VALU_DEP_4)
	v_xor_b32_e32 v4, 8, v3
	v_xor_b32_e32 v6, 4, v3
	v_sub_co_ci_u32_e64 v37, null, 0, 0, s1
	v_add_co_u32 v1, s1, s2, v1
	v_cmp_gt_i32_e32 vcc_lo, 32, v4
	v_add_co_ci_u32_e64 v2, null, s3, 0, s1
	v_xor_b32_e32 v7, 2, v3
	v_xor_b32_e32 v8, 1, v3
	s_waitcnt lgkmcnt(0)
	s_add_u32 s6, s26, s4
	s_addc_u32 s7, s27, s5
	v_cndmask_b32_e32 v4, v3, v4, vcc_lo
	s_load_b64 s[2:3], s[6:7], 0x0
	v_cmp_gt_i32_e32 vcc_lo, 32, v6
	v_xor_b32_e32 v9, 63, v3
	v_lshrrev_b32_e32 v5, 3, v0
	v_dual_mov_b32 v35, 0 :: v_dual_and_b32 v34, 15, v0
	v_cndmask_b32_e32 v6, v3, v6, vcc_lo
	v_cmp_gt_i32_e32 vcc_lo, 32, v7
	s_delay_alu instid0(VALU_DEP_4)
	v_and_b32_e32 v42, 60, v5
	v_cmp_eq_u32_e64 s0, 0, v0
	v_cmp_eq_u32_e64 s1, 15, v34
	v_cmp_gt_u32_e64 s6, 0x80, v0
	v_cndmask_b32_e32 v7, v3, v7, vcc_lo
	v_cmp_gt_i32_e32 vcc_lo, 32, v8
	v_cmp_gt_u32_e64 s7, 0xa0, v0
	v_cmp_gt_u32_e64 s8, 0xc0, v0
	;; [unrolled: 1-line block ×4, first 2 shown]
	v_cndmask_b32_e32 v3, v3, v8, vcc_lo
	v_cmp_gt_i64_e32 vcc_lo, s[34:35], v[1:2]
	s_waitcnt lgkmcnt(0)
	s_sub_u32 s26, s2, s30
	s_subb_u32 s27, s3, 0
	s_add_u32 s20, s20, s4
	v_lshlrev_b32_e32 v41, 2, v3
	v_lshlrev_b32_e32 v39, 2, v6
	;; [unrolled: 1-line block ×4, first 2 shown]
	v_lshrrev_b64 v[3:4], v9, -1
	v_mov_b32_e32 v6, 0
	v_mov_b32_e32 v8, 0x800
	v_dual_mov_b32 v4, s26 :: v_dual_mov_b32 v5, s27
	s_addc_u32 s21, s21, s5
	v_cmp_eq_u32_e64 s2, 0x1ff, v0
	v_cmp_gt_u32_e64 s3, 32, v0
	v_cmp_gt_u32_e64 s4, 64, v0
	v_cmp_gt_u32_e64 s5, 0x60, v0
	v_cmp_gt_u32_e64 s11, 0x120, v0
	v_cmp_gt_u32_e64 s12, 0x140, v0
	v_cmp_gt_u32_e64 s13, 0x160, v0
	v_cmp_gt_u32_e64 s14, 0x180, v0
	v_cmp_gt_u32_e64 s15, 0x1a0, v0
	v_cmp_gt_u32_e64 s16, 0x1c0, v0
	v_cmp_gt_u32_e64 s17, 0x1e0, v0
	v_or_b32_e32 v43, 0xfffffe00, v0
	v_dual_mov_b32 v9, 0 :: v_dual_lshlrev_b32 v0, 2, v0
	v_dual_mov_b32 v7, 0 :: v_dual_mov_b32 v44, 1
	s_and_b32 s30, s18, vcc_lo
	s_mov_b32 s52, s31
	s_add_u32 s31, s40, 8
	s_addc_u32 s53, s41, 0
	s_branch .LBB98_13
.LBB98_12:                              ;   in Loop: Header=BB98_13 Depth=1
	s_or_b32 exec_lo, exec_lo, s19
	ds_load_b64 v[6:7], v35 offset:10240
	s_waitcnt lgkmcnt(0)
	s_barrier
	buffer_gl0_inv
	v_cmp_le_i64_e32 vcc_lo, s[48:49], v[6:7]
	v_add_co_u32 v8, s18, 0x800, v6
	s_delay_alu instid0(VALU_DEP_1)
	v_add_co_ci_u32_e64 v9, s18, 0, v7, s18
	s_cbranch_vccnz .LBB98_65
.LBB98_13:                              ; =>This Loop Header: Depth=1
                                        ;     Child Loop BB98_14 Depth 2
                                        ;     Child Loop BB98_20 Depth 2
                                        ;       Child Loop BB98_28 Depth 3
                                        ;     Child Loop BB98_44 Depth 2
                                        ;     Child Loop BB98_56 Depth 2
	;; [unrolled: 1-line block ×3, first 2 shown]
	v_dual_mov_b32 v10, v0 :: v_dual_mov_b32 v11, v43
	s_mov_b32 s18, 0
.LBB98_14:                              ;   Parent Loop BB98_13 Depth=1
                                        ; =>  This Inner Loop Header: Depth=2
	ds_store_b8 v11, v35 offset:8704
	v_add_nc_u32_e32 v11, 0x200, v11
	ds_store_b32 v10, v35
	v_add_nc_u32_e32 v10, 0x800, v10
	v_cmp_lt_u32_e32 vcc_lo, 0x5ff, v11
	s_or_b32 s18, vcc_lo, s18
	s_delay_alu instid0(SALU_CYCLE_1)
	s_and_not1_b32 exec_lo, exec_lo, s18
	s_cbranch_execnz .LBB98_14
; %bb.15:                               ;   in Loop: Header=BB98_13 Depth=1
	s_or_b32 exec_lo, exec_lo, s18
	s_and_saveexec_b32 s18, s0
	s_cbranch_execz .LBB98_17
; %bb.16:                               ;   in Loop: Header=BB98_13 Depth=1
	v_dual_mov_b32 v10, s48 :: v_dual_mov_b32 v11, s49
	ds_store_b64 v35, v[10:11] offset:10240
.LBB98_17:                              ;   in Loop: Header=BB98_13 Depth=1
	s_or_b32 exec_lo, exec_lo, s18
	v_dual_mov_b32 v10, s48 :: v_dual_mov_b32 v11, s49
	s_waitcnt lgkmcnt(0)
	s_barrier
	buffer_gl0_inv
	s_and_saveexec_b32 s26, s30
	s_cbranch_execz .LBB98_40
; %bb.18:                               ;   in Loop: Header=BB98_13 Depth=1
	v_cmp_ne_u64_e64 s18, 0, v[6:7]
	v_dual_mov_b32 v10, s48 :: v_dual_mov_b32 v11, s49
	v_dual_mov_b32 v13, v2 :: v_dual_mov_b32 v12, v1
	s_mov_b32 s27, 0
	s_branch .LBB98_20
.LBB98_19:                              ;   in Loop: Header=BB98_20 Depth=2
	s_or_b32 exec_lo, exec_lo, s54
	v_add_co_u32 v12, vcc_lo, v12, 32
	v_add_co_ci_u32_e32 v13, vcc_lo, 0, v13, vcc_lo
	s_delay_alu instid0(VALU_DEP_1) | instskip(SKIP_1) | instid1(SALU_CYCLE_1)
	v_cmp_le_i64_e32 vcc_lo, s[34:35], v[12:13]
	s_or_b32 s27, vcc_lo, s27
	s_and_not1_b32 exec_lo, exec_lo, s27
	s_cbranch_execz .LBB98_39
.LBB98_20:                              ;   Parent Loop BB98_13 Depth=1
                                        ; =>  This Loop Header: Depth=2
                                        ;       Child Loop BB98_28 Depth 3
	s_delay_alu instid0(VALU_DEP_1) | instskip(SKIP_2) | instid1(VALU_DEP_2)
	v_lshlrev_b64 v[14:15], 3, v[12:13]
	v_lshlrev_b64 v[16:17], 2, v[12:13]
	s_waitcnt lgkmcnt(0)
	v_add_co_u32 v18, vcc_lo, s36, v14
	s_delay_alu instid0(VALU_DEP_3) | instskip(NEXT) | instid1(VALU_DEP_3)
	v_add_co_ci_u32_e32 v19, vcc_lo, s37, v15, vcc_lo
	v_add_co_u32 v16, vcc_lo, s38, v16
	s_delay_alu instid0(VALU_DEP_4)
	v_add_co_ci_u32_e32 v17, vcc_lo, s39, v17, vcc_lo
	s_and_b32 vcc_lo, exec_lo, s18
	global_load_b64 v[18:19], v[18:19], off
	global_load_b32 v20, v[16:17], off
	s_cbranch_vccz .LBB98_22
; %bb.21:                               ;   in Loop: Header=BB98_20 Depth=2
	v_add_co_u32 v16, vcc_lo, s46, v14
	v_add_co_ci_u32_e32 v17, vcc_lo, s47, v15, vcc_lo
	s_mov_b32 s19, 0
	global_load_b64 v[16:17], v[16:17], off
	s_branch .LBB98_23
.LBB98_22:                              ;   in Loop: Header=BB98_20 Depth=2
	s_mov_b32 s19, -1
                                        ; implicit-def: $vgpr16_vgpr17
.LBB98_23:                              ;   in Loop: Header=BB98_20 Depth=2
	s_waitcnt vmcnt(1)
	v_sub_co_u32 v18, vcc_lo, v18, s28
	v_subrev_co_ci_u32_e32 v19, vcc_lo, 0, v19, vcc_lo
	s_and_not1_b32 vcc_lo, exec_lo, s19
	s_delay_alu instid0(VALU_DEP_1)
	v_lshlrev_b64 v[18:19], 3, v[18:19]
	s_cbranch_vccnz .LBB98_25
; %bb.24:                               ;   in Loop: Header=BB98_20 Depth=2
	s_waitcnt vmcnt(0)
	s_delay_alu instid0(VALU_DEP_1) | instskip(NEXT) | instid1(VALU_DEP_2)
	v_add_co_u32 v16, vcc_lo, s40, v18
	v_add_co_ci_u32_e32 v17, vcc_lo, s41, v19, vcc_lo
	global_load_b64 v[16:17], v[16:17], off
	s_waitcnt vmcnt(0)
	v_sub_co_u32 v16, vcc_lo, v16, s29
	v_subrev_co_ci_u32_e32 v17, vcc_lo, 0, v17, vcc_lo
.LBB98_25:                              ;   in Loop: Header=BB98_20 Depth=2
	s_delay_alu instid0(VALU_DEP_1) | instskip(NEXT) | instid1(VALU_DEP_2)
	v_add_co_u32 v18, vcc_lo, s31, v18
	v_add_co_ci_u32_e32 v19, vcc_lo, s53, v19, vcc_lo
	s_mov_b32 s54, exec_lo
	global_load_b64 v[18:19], v[18:19], off
	s_waitcnt vmcnt(0)
	v_sub_co_u32 v18, vcc_lo, v18, s29
	v_subrev_co_ci_u32_e32 v19, vcc_lo, 0, v19, vcc_lo
	v_add_co_u32 v16, vcc_lo, v16, v34
	v_add_co_ci_u32_e32 v17, vcc_lo, 0, v17, vcc_lo
	s_delay_alu instid0(VALU_DEP_1)
	v_cmpx_lt_i64_e64 v[16:17], v[18:19]
	s_cbranch_execz .LBB98_37
; %bb.26:                               ;   in Loop: Header=BB98_20 Depth=2
	v_lshlrev_b64 v[21:22], 3, v[16:17]
	v_lshlrev_b64 v[23:24], 2, v[16:17]
	v_mul_f32_e32 v45, v32, v20
	v_dual_mov_b32 v27, v17 :: v_dual_mov_b32 v26, v16
	s_mov_b32 s56, 0
	s_delay_alu instid0(VALU_DEP_4)
	v_add_co_u32 v20, vcc_lo, s42, v21
	v_add_co_ci_u32_e32 v21, vcc_lo, s43, v22, vcc_lo
	v_add_co_u32 v22, vcc_lo, s50, v23
	v_add_co_ci_u32_e32 v23, vcc_lo, s51, v24, vcc_lo
                                        ; implicit-def: $sgpr55
                                        ; implicit-def: $sgpr57
	s_branch .LBB98_28
.LBB98_27:                              ;   in Loop: Header=BB98_28 Depth=3
	s_or_b32 exec_lo, exec_lo, s58
	s_delay_alu instid0(SALU_CYCLE_1) | instskip(SKIP_4) | instid1(SALU_CYCLE_1)
	s_and_b32 s19, exec_lo, s59
	v_dual_mov_b32 v26, v30 :: v_dual_mov_b32 v27, v31
	s_or_b32 s56, s19, s56
	s_and_not1_b32 s19, s55, exec_lo
	s_and_b32 s55, s57, exec_lo
	s_or_b32 s55, s19, s55
	s_and_not1_b32 exec_lo, exec_lo, s56
	s_cbranch_execz .LBB98_34
.LBB98_28:                              ;   Parent Loop BB98_13 Depth=1
                                        ;     Parent Loop BB98_20 Depth=2
                                        ; =>    This Inner Loop Header: Depth=3
	global_load_b64 v[24:25], v[20:21], off
	s_waitcnt vmcnt(0)
	v_sub_co_u32 v24, vcc_lo, v24, s29
	v_subrev_co_ci_u32_e32 v25, vcc_lo, 0, v25, vcc_lo
	s_delay_alu instid0(VALU_DEP_1)
	v_cmp_lt_i64_e32 vcc_lo, v[24:25], v[8:9]
	v_cmp_lt_i64_e64 s19, v[24:25], v[6:7]
	s_xor_b32 s58, vcc_lo, -1
	s_delay_alu instid0(VALU_DEP_1) | instid1(SALU_CYCLE_1)
	s_or_b32 s59, s19, s58
	s_mov_b32 s19, 0
                                        ; implicit-def: $sgpr58
	s_and_saveexec_b32 s60, s59
	s_delay_alu instid0(SALU_CYCLE_1)
	s_xor_b32 s59, exec_lo, s60
; %bb.29:                               ;   in Loop: Header=BB98_28 Depth=3
	s_mov_b32 s58, -1
	s_and_b32 s19, vcc_lo, exec_lo
; %bb.30:                               ;   in Loop: Header=BB98_28 Depth=3
	s_and_not1_saveexec_b32 s59, s59
	s_cbranch_execz .LBB98_32
; %bb.31:                               ;   in Loop: Header=BB98_28 Depth=3
	global_load_b32 v28, v[22:23], off
	v_sub_nc_u32_e32 v29, v24, v6
	s_or_b32 s19, s19, exec_lo
	s_delay_alu instid0(VALU_DEP_1)
	v_lshlrev_b32_e32 v30, 2, v29
	ds_store_b8 v29, v44 offset:8192
	s_waitcnt vmcnt(0)
	v_mul_f32_e32 v28, v45, v28
	ds_add_f32 v30, v28
.LBB98_32:                              ;   in Loop: Header=BB98_28 Depth=3
	s_or_b32 exec_lo, exec_lo, s59
	v_dual_mov_b32 v29, v27 :: v_dual_mov_b32 v28, v26
	s_and_not1_b32 s57, s57, exec_lo
	s_and_b32 s58, s58, exec_lo
	s_mov_b32 s59, -1
	s_or_b32 s57, s57, s58
                                        ; implicit-def: $vgpr30_vgpr31
	s_and_saveexec_b32 s58, s19
	s_cbranch_execz .LBB98_27
; %bb.33:                               ;   in Loop: Header=BB98_28 Depth=3
	v_add_co_u32 v30, vcc_lo, v26, 16
	v_add_co_ci_u32_e32 v31, vcc_lo, 0, v27, vcc_lo
	v_add_co_u32 v20, vcc_lo, 0x80, v20
	v_add_co_ci_u32_e32 v21, vcc_lo, 0, v21, vcc_lo
	s_delay_alu instid0(VALU_DEP_3) | instskip(SKIP_1) | instid1(VALU_DEP_1)
	v_cmp_ge_i64_e32 vcc_lo, v[30:31], v[18:19]
	v_add_co_u32 v22, s19, v22, 64
	v_add_co_ci_u32_e64 v23, s19, 0, v23, s19
	v_dual_mov_b32 v29, v27 :: v_dual_mov_b32 v28, v26
	s_and_not1_b32 s57, s57, exec_lo
	s_or_not1_b32 s59, vcc_lo, exec_lo
	s_branch .LBB98_27
.LBB98_34:                              ;   in Loop: Header=BB98_20 Depth=2
	s_or_b32 exec_lo, exec_lo, s56
	s_and_saveexec_b32 s19, s55
	s_delay_alu instid0(SALU_CYCLE_1)
	s_xor_b32 s19, exec_lo, s19
; %bb.35:                               ;   in Loop: Header=BB98_20 Depth=2
	v_cmp_lt_i64_e32 vcc_lo, v[24:25], v[10:11]
	v_dual_mov_b32 v16, v28 :: v_dual_mov_b32 v17, v29
	v_dual_cndmask_b32 v11, v11, v25 :: v_dual_cndmask_b32 v10, v10, v24
; %bb.36:                               ;   in Loop: Header=BB98_20 Depth=2
	s_or_b32 exec_lo, exec_lo, s19
.LBB98_37:                              ;   in Loop: Header=BB98_20 Depth=2
	s_delay_alu instid0(SALU_CYCLE_1)
	s_or_b32 exec_lo, exec_lo, s54
	ds_bpermute_b32 v18, v38, v16
	ds_bpermute_b32 v19, v38, v17
	s_waitcnt lgkmcnt(0)
	v_cmp_lt_i64_e32 vcc_lo, v[18:19], v[16:17]
	v_dual_cndmask_b32 v17, v17, v19 :: v_dual_cndmask_b32 v16, v16, v18
	ds_bpermute_b32 v19, v39, v17
	ds_bpermute_b32 v18, v39, v16
	s_waitcnt lgkmcnt(0)
	v_cmp_lt_i64_e32 vcc_lo, v[18:19], v[16:17]
	v_dual_cndmask_b32 v17, v17, v19 :: v_dual_cndmask_b32 v16, v16, v18
	;; [unrolled: 5-line block ×3, first 2 shown]
	ds_bpermute_b32 v19, v41, v17
	ds_bpermute_b32 v18, v41, v16
	s_and_saveexec_b32 s54, s1
	s_cbranch_execz .LBB98_19
; %bb.38:                               ;   in Loop: Header=BB98_20 Depth=2
	s_waitcnt lgkmcnt(0)
	v_cmp_lt_i64_e32 vcc_lo, v[18:19], v[16:17]
	v_add_co_u32 v14, s19, s46, v14
	s_delay_alu instid0(VALU_DEP_1)
	v_add_co_ci_u32_e64 v15, s19, s47, v15, s19
	v_dual_cndmask_b32 v17, v17, v19 :: v_dual_cndmask_b32 v16, v16, v18
	global_store_b64 v[14:15], v[16:17], off
	s_branch .LBB98_19
.LBB98_39:                              ;   in Loop: Header=BB98_13 Depth=1
	s_or_b32 exec_lo, exec_lo, s27
.LBB98_40:                              ;   in Loop: Header=BB98_13 Depth=1
	s_delay_alu instid0(SALU_CYCLE_1) | instskip(NEXT) | instid1(SALU_CYCLE_1)
	s_or_b32 exec_lo, exec_lo, s26
	s_and_not1_b32 vcc_lo, exec_lo, s33
	s_cbranch_vccnz .LBB98_54
; %bb.41:                               ;   in Loop: Header=BB98_13 Depth=1
	s_load_b128 s[56:59], s[20:21], 0x0
	s_mov_b32 s19, exec_lo
	s_waitcnt lgkmcnt(0)
	v_add_co_u32 v12, vcc_lo, s56, v36
	v_add_co_ci_u32_e32 v13, vcc_lo, s57, v37, vcc_lo
	s_sub_u32 s26, s58, s52
	s_subb_u32 s27, s59, 0
	s_delay_alu instid0(VALU_DEP_1) | instid1(SALU_CYCLE_1)
	v_cmpx_gt_i64_e64 s[26:27], v[12:13]
	s_cbranch_execz .LBB98_53
; %bb.42:                               ;   in Loop: Header=BB98_13 Depth=1
	v_lshlrev_b64 v[14:15], 3, v[12:13]
	v_lshlrev_b64 v[16:17], 2, v[12:13]
	s_mov_b32 s54, 0
                                        ; implicit-def: $sgpr55
                                        ; implicit-def: $sgpr56
	s_delay_alu instid0(VALU_DEP_2) | instskip(NEXT) | instid1(VALU_DEP_3)
	v_add_co_u32 v14, vcc_lo, s22, v14
	v_add_co_ci_u32_e32 v15, vcc_lo, s23, v15, vcc_lo
	s_delay_alu instid0(VALU_DEP_3) | instskip(NEXT) | instid1(VALU_DEP_4)
	v_add_co_u32 v16, vcc_lo, s24, v16
	v_add_co_ci_u32_e32 v17, vcc_lo, s25, v17, vcc_lo
	s_branch .LBB98_44
.LBB98_43:                              ;   in Loop: Header=BB98_44 Depth=2
	s_or_b32 exec_lo, exec_lo, s57
	s_delay_alu instid0(SALU_CYCLE_1) | instskip(NEXT) | instid1(SALU_CYCLE_1)
	s_and_b32 s18, exec_lo, s58
	s_or_b32 s54, s18, s54
	s_and_not1_b32 s18, s55, exec_lo
	s_and_b32 s55, s56, exec_lo
	s_delay_alu instid0(SALU_CYCLE_1)
	s_or_b32 s55, s18, s55
	s_and_not1_b32 exec_lo, exec_lo, s54
	s_cbranch_execz .LBB98_50
.LBB98_44:                              ;   Parent Loop BB98_13 Depth=1
                                        ; =>  This Inner Loop Header: Depth=2
	global_load_b64 v[18:19], v[14:15], off
	s_waitcnt vmcnt(0)
	v_sub_co_u32 v18, vcc_lo, v18, s52
	v_subrev_co_ci_u32_e32 v19, vcc_lo, 0, v19, vcc_lo
	s_delay_alu instid0(VALU_DEP_1)
	v_cmp_lt_i64_e32 vcc_lo, v[18:19], v[8:9]
	v_cmp_lt_i64_e64 s18, v[18:19], v[6:7]
	s_xor_b32 s57, vcc_lo, -1
	s_delay_alu instid0(VALU_DEP_1) | instid1(SALU_CYCLE_1)
	s_or_b32 s58, s18, s57
	s_mov_b32 s18, 0
                                        ; implicit-def: $sgpr57
	s_and_saveexec_b32 s59, s58
	s_delay_alu instid0(SALU_CYCLE_1)
	s_xor_b32 s58, exec_lo, s59
; %bb.45:                               ;   in Loop: Header=BB98_44 Depth=2
	s_mov_b32 s57, -1
	s_and_b32 s18, vcc_lo, exec_lo
; %bb.46:                               ;   in Loop: Header=BB98_44 Depth=2
	s_and_not1_saveexec_b32 s58, s58
	s_cbranch_execz .LBB98_48
; %bb.47:                               ;   in Loop: Header=BB98_44 Depth=2
	global_load_b32 v20, v[16:17], off
	v_sub_nc_u32_e32 v21, v18, v6
	s_or_b32 s18, s18, exec_lo
	s_delay_alu instid0(VALU_DEP_1)
	v_lshlrev_b32_e32 v22, 2, v21
	ds_store_b8 v21, v44 offset:8192
	s_waitcnt vmcnt(0)
	v_mul_f32_e32 v20, v33, v20
	ds_add_f32 v22, v20
.LBB98_48:                              ;   in Loop: Header=BB98_44 Depth=2
	s_or_b32 exec_lo, exec_lo, s58
	s_delay_alu instid0(SALU_CYCLE_1)
	s_and_not1_b32 s56, s56, exec_lo
	s_and_b32 s57, s57, exec_lo
	s_mov_b32 s58, -1
	s_or_b32 s56, s56, s57
	s_and_saveexec_b32 s57, s18
	s_cbranch_execz .LBB98_43
; %bb.49:                               ;   in Loop: Header=BB98_44 Depth=2
	v_add_co_u32 v12, vcc_lo, 0x200, v12
	v_add_co_ci_u32_e32 v13, vcc_lo, 0, v13, vcc_lo
	v_add_co_u32 v14, vcc_lo, 0x1000, v14
	v_add_co_ci_u32_e32 v15, vcc_lo, 0, v15, vcc_lo
	s_delay_alu instid0(VALU_DEP_3) | instskip(SKIP_1) | instid1(VALU_DEP_1)
	v_cmp_le_i64_e32 vcc_lo, s[26:27], v[12:13]
	v_add_co_u32 v16, s18, 0x800, v16
	v_add_co_ci_u32_e64 v17, s18, 0, v17, s18
	s_and_not1_b32 s56, s56, exec_lo
	s_or_not1_b32 s58, vcc_lo, exec_lo
	s_branch .LBB98_43
.LBB98_50:                              ;   in Loop: Header=BB98_13 Depth=1
	s_or_b32 exec_lo, exec_lo, s54
	s_and_saveexec_b32 s18, s55
	s_delay_alu instid0(SALU_CYCLE_1)
	s_xor_b32 s18, exec_lo, s18
; %bb.51:                               ;   in Loop: Header=BB98_13 Depth=1
	v_cmp_lt_i64_e32 vcc_lo, v[18:19], v[10:11]
	v_dual_cndmask_b32 v11, v11, v19 :: v_dual_cndmask_b32 v10, v10, v18
; %bb.52:                               ;   in Loop: Header=BB98_13 Depth=1
	s_or_b32 exec_lo, exec_lo, s18
.LBB98_53:                              ;   in Loop: Header=BB98_13 Depth=1
	s_delay_alu instid0(SALU_CYCLE_1)
	s_or_b32 exec_lo, exec_lo, s19
.LBB98_54:                              ;   in Loop: Header=BB98_13 Depth=1
	ds_bpermute_b32 v6, v38, v10
	ds_bpermute_b32 v7, v38, v11
	s_waitcnt lgkmcnt(0)
	v_cmp_lt_i64_e32 vcc_lo, v[6:7], v[10:11]
	v_dual_cndmask_b32 v7, v11, v7 :: v_dual_cndmask_b32 v6, v10, v6
	ds_bpermute_b32 v9, v39, v7
	ds_bpermute_b32 v8, v39, v6
	s_waitcnt lgkmcnt(0)
	v_cmp_lt_i64_e32 vcc_lo, v[8:9], v[6:7]
	v_dual_cndmask_b32 v7, v7, v9 :: v_dual_cndmask_b32 v6, v6, v8
	;; [unrolled: 5-line block ×3, first 2 shown]
	ds_bpermute_b32 v9, v41, v7
	ds_bpermute_b32 v8, v41, v6
	s_and_saveexec_b32 s26, s1
	s_cbranch_execz .LBB98_59
; %bb.55:                               ;   in Loop: Header=BB98_13 Depth=1
	s_waitcnt lgkmcnt(0)
	v_cmp_lt_i64_e32 vcc_lo, v[8:9], v[6:7]
	s_mov_b32 s27, exec_lo
	s_mov_b64 s[18:19], -1
	v_dual_cndmask_b32 v7, v7, v9 :: v_dual_cndmask_b32 v6, v6, v8
.LBB98_56:                              ;   Parent Loop BB98_13 Depth=1
                                        ; =>  This Inner Loop Header: Depth=2
	s_ctz_i32_b32 s56, s27
	s_delay_alu instid0(VALU_DEP_1) | instid1(SALU_CYCLE_1)
	v_readlane_b32 s55, v7, s56
	s_delay_alu instid0(VALU_DEP_2) | instskip(NEXT) | instid1(VALU_DEP_1)
	v_readlane_b32 s54, v6, s56
	v_cmp_lt_u64_e64 s57, s[18:19], s[54:55]
	s_delay_alu instid0(VALU_DEP_1) | instskip(SKIP_3) | instid1(SALU_CYCLE_1)
	s_and_b32 s57, s57, exec_lo
	s_cselect_b32 s19, s19, s55
	s_cselect_b32 s18, s18, s54
	s_lshl_b32 s54, 1, s56
	s_and_not1_b32 s27, s27, s54
	s_delay_alu instid0(SALU_CYCLE_1)
	s_cmp_lg_u32 s27, 0
	s_cbranch_scc1 .LBB98_56
; %bb.57:                               ;   in Loop: Header=BB98_13 Depth=1
	v_mbcnt_lo_u32_b32 v6, exec_lo, 0
	s_mov_b32 s27, exec_lo
	s_delay_alu instid0(VALU_DEP_1)
	v_cmpx_eq_u32_e32 0, v6
	s_xor_b32 s27, exec_lo, s27
	s_cbranch_execz .LBB98_59
; %bb.58:                               ;   in Loop: Header=BB98_13 Depth=1
	v_dual_mov_b32 v6, s18 :: v_dual_mov_b32 v7, s19
	ds_min_u64 v35, v[6:7] offset:10240
.LBB98_59:                              ;   in Loop: Header=BB98_13 Depth=1
	s_or_b32 exec_lo, exec_lo, s26
	s_waitcnt lgkmcnt(0)
	v_dual_mov_b32 v8, v0 :: v_dual_mov_b32 v9, v43
	s_mov_b32 s19, 0
	s_waitcnt_vscnt null, 0x0
	s_barrier
	buffer_gl0_inv
	s_branch .LBB98_61
.LBB98_60:                              ;   in Loop: Header=BB98_61 Depth=2
	s_or_b32 exec_lo, exec_lo, s18
	s_waitcnt lgkmcnt(0)
	s_waitcnt_vscnt null, 0x0
	s_barrier
	buffer_gl0_inv
	ds_load_b32 v6, v35 offset:60
	v_add_nc_u32_e32 v9, 0x200, v9
	v_add_nc_u32_e32 v8, 0x800, v8
	s_delay_alu instid0(VALU_DEP_2) | instskip(SKIP_4) | instid1(VALU_DEP_1)
	v_cmp_lt_u32_e32 vcc_lo, 0x5ff, v9
	s_or_b32 s19, vcc_lo, s19
	s_waitcnt lgkmcnt(0)
	v_ashrrev_i32_e32 v7, 31, v6
	v_add_co_u32 v4, s18, v4, v6
	v_add_co_ci_u32_e64 v5, s18, v5, v7, s18
	s_and_not1_b32 exec_lo, exec_lo, s19
	s_cbranch_execz .LBB98_12
.LBB98_61:                              ;   Parent Loop BB98_13 Depth=1
                                        ; =>  This Inner Loop Header: Depth=2
	ds_load_u8 v6, v9 offset:8704
	ds_load_b32 v10, v8
	s_waitcnt lgkmcnt(0)
	s_barrier
	buffer_gl0_inv
	v_cmp_ne_u16_e32 vcc_lo, 0, v6
	s_bcnt1_i32_b32 s18, vcc_lo
	s_delay_alu instid0(SALU_CYCLE_1)
	v_mov_b32_e32 v7, s18
	s_mov_b32 s18, exec_lo
	ds_store_b32 v42, v7
	s_waitcnt lgkmcnt(0)
	s_barrier
	buffer_gl0_inv
	ds_load_b128 v[11:14], v35
	ds_load_b128 v[15:18], v35 offset:16
	v_and_b32_e32 v7, vcc_lo, v3
	ds_load_b128 v[19:22], v35 offset:32
	s_waitcnt lgkmcnt(2)
	v_cndmask_b32_e64 v11, v11, 0, s3
	v_cndmask_b32_e64 v23, v12, 0, s4
	v_cndmask_b32_e64 v24, v13, 0, s5
	v_cndmask_b32_e64 v14, v14, 0, s6
	s_waitcnt lgkmcnt(1)
	v_cndmask_b32_e64 v15, v15, 0, s7
	v_bcnt_u32_b32 v7, v7, v11
	ds_load_b96 v[11:13], v35 offset:48
	v_cndmask_b32_e64 v16, v16, 0, s8
	v_cndmask_b32_e64 v17, v17, 0, s9
	v_add3_u32 v7, v7, v23, v24
	s_delay_alu instid0(VALU_DEP_1) | instskip(SKIP_3) | instid1(VALU_DEP_3)
	v_add3_u32 v7, v7, v14, v15
	v_cndmask_b32_e64 v14, v18, 0, s10
	s_waitcnt lgkmcnt(1)
	v_cndmask_b32_e64 v15, v19, 0, s11
	v_add3_u32 v7, v7, v16, v17
	v_cndmask_b32_e64 v16, v20, 0, s12
	v_cndmask_b32_e64 v17, v21, 0, s13
	s_delay_alu instid0(VALU_DEP_3)
	v_add3_u32 v7, v7, v14, v15
	v_cndmask_b32_e64 v14, v22, 0, s14
	s_waitcnt lgkmcnt(0)
	v_cndmask_b32_e64 v11, v11, 0, s15
	v_cndmask_b32_e64 v12, v12, 0, s16
	;; [unrolled: 1-line block ×3, first 2 shown]
	v_add3_u32 v7, v7, v16, v17
	s_delay_alu instid0(VALU_DEP_1) | instskip(SKIP_1) | instid1(VALU_DEP_2)
	v_add3_u32 v7, v7, v14, v11
	v_and_b32_e32 v11, 1, v6
	v_add3_u32 v6, v7, v12, v13
	s_delay_alu instid0(VALU_DEP_2)
	v_cmpx_eq_u32_e32 1, v11
	s_cbranch_execz .LBB98_63
; %bb.62:                               ;   in Loop: Header=BB98_61 Depth=2
	s_delay_alu instid0(VALU_DEP_2) | instskip(SKIP_1) | instid1(VALU_DEP_2)
	v_ashrrev_i32_e32 v7, 31, v6
	v_lshlrev_b64 v[11:12], 2, v[4:5]
	v_lshlrev_b64 v[13:14], 2, v[6:7]
	s_delay_alu instid0(VALU_DEP_2) | instskip(NEXT) | instid1(VALU_DEP_3)
	v_add_co_u32 v7, vcc_lo, s44, v11
	v_add_co_ci_u32_e32 v12, vcc_lo, s45, v12, vcc_lo
	s_delay_alu instid0(VALU_DEP_2) | instskip(NEXT) | instid1(VALU_DEP_2)
	v_add_co_u32 v11, vcc_lo, v7, v13
	v_add_co_ci_u32_e32 v12, vcc_lo, v12, v14, vcc_lo
	global_store_b32 v[11:12], v10, off offset:-4
.LBB98_63:                              ;   in Loop: Header=BB98_61 Depth=2
	s_or_b32 exec_lo, exec_lo, s18
	s_and_saveexec_b32 s18, s2
	s_cbranch_execz .LBB98_60
; %bb.64:                               ;   in Loop: Header=BB98_61 Depth=2
	ds_store_b32 v35, v6 offset:60
	s_branch .LBB98_60
.LBB98_65:
	s_endpgm
	.section	.rodata,"a",@progbits
	.p2align	6, 0x0
	.amdhsa_kernel _ZN9rocsparseL51csrgemm_numeric_fill_block_per_row_multipass_kernelILj512ELj16ELj2048ELj32EllfEEvT4_PKS1_S3_NS_24const_host_device_scalarIT5_EEPKT3_S3_PKS5_S9_S3_SB_S6_S9_S3_SB_S9_S3_PS5_PS7_21rocsparse_index_base_SE_SE_SE_bbb
		.amdhsa_group_segment_fixed_size 10248
		.amdhsa_private_segment_fixed_size 0
		.amdhsa_kernarg_size 164
		.amdhsa_user_sgpr_count 15
		.amdhsa_user_sgpr_dispatch_ptr 0
		.amdhsa_user_sgpr_queue_ptr 0
		.amdhsa_user_sgpr_kernarg_segment_ptr 1
		.amdhsa_user_sgpr_dispatch_id 0
		.amdhsa_user_sgpr_private_segment_size 0
		.amdhsa_wavefront_size32 1
		.amdhsa_uses_dynamic_stack 0
		.amdhsa_enable_private_segment 0
		.amdhsa_system_sgpr_workgroup_id_x 1
		.amdhsa_system_sgpr_workgroup_id_y 0
		.amdhsa_system_sgpr_workgroup_id_z 0
		.amdhsa_system_sgpr_workgroup_info 0
		.amdhsa_system_vgpr_workitem_id 0
		.amdhsa_next_free_vgpr 46
		.amdhsa_next_free_sgpr 61
		.amdhsa_reserve_vcc 1
		.amdhsa_float_round_mode_32 0
		.amdhsa_float_round_mode_16_64 0
		.amdhsa_float_denorm_mode_32 3
		.amdhsa_float_denorm_mode_16_64 3
		.amdhsa_dx10_clamp 1
		.amdhsa_ieee_mode 1
		.amdhsa_fp16_overflow 0
		.amdhsa_workgroup_processor_mode 1
		.amdhsa_memory_ordered 1
		.amdhsa_forward_progress 0
		.amdhsa_shared_vgpr_count 0
		.amdhsa_exception_fp_ieee_invalid_op 0
		.amdhsa_exception_fp_denorm_src 0
		.amdhsa_exception_fp_ieee_div_zero 0
		.amdhsa_exception_fp_ieee_overflow 0
		.amdhsa_exception_fp_ieee_underflow 0
		.amdhsa_exception_fp_ieee_inexact 0
		.amdhsa_exception_int_div_zero 0
	.end_amdhsa_kernel
	.section	.text._ZN9rocsparseL51csrgemm_numeric_fill_block_per_row_multipass_kernelILj512ELj16ELj2048ELj32EllfEEvT4_PKS1_S3_NS_24const_host_device_scalarIT5_EEPKT3_S3_PKS5_S9_S3_SB_S6_S9_S3_SB_S9_S3_PS5_PS7_21rocsparse_index_base_SE_SE_SE_bbb,"axG",@progbits,_ZN9rocsparseL51csrgemm_numeric_fill_block_per_row_multipass_kernelILj512ELj16ELj2048ELj32EllfEEvT4_PKS1_S3_NS_24const_host_device_scalarIT5_EEPKT3_S3_PKS5_S9_S3_SB_S6_S9_S3_SB_S9_S3_PS5_PS7_21rocsparse_index_base_SE_SE_SE_bbb,comdat
.Lfunc_end98:
	.size	_ZN9rocsparseL51csrgemm_numeric_fill_block_per_row_multipass_kernelILj512ELj16ELj2048ELj32EllfEEvT4_PKS1_S3_NS_24const_host_device_scalarIT5_EEPKT3_S3_PKS5_S9_S3_SB_S6_S9_S3_SB_S9_S3_PS5_PS7_21rocsparse_index_base_SE_SE_SE_bbb, .Lfunc_end98-_ZN9rocsparseL51csrgemm_numeric_fill_block_per_row_multipass_kernelILj512ELj16ELj2048ELj32EllfEEvT4_PKS1_S3_NS_24const_host_device_scalarIT5_EEPKT3_S3_PKS5_S9_S3_SB_S6_S9_S3_SB_S9_S3_PS5_PS7_21rocsparse_index_base_SE_SE_SE_bbb
                                        ; -- End function
	.section	.AMDGPU.csdata,"",@progbits
; Kernel info:
; codeLenInByte = 3268
; NumSgprs: 63
; NumVgprs: 46
; ScratchSize: 0
; MemoryBound: 0
; FloatMode: 240
; IeeeMode: 1
; LDSByteSize: 10248 bytes/workgroup (compile time only)
; SGPRBlocks: 7
; VGPRBlocks: 5
; NumSGPRsForWavesPerEU: 63
; NumVGPRsForWavesPerEU: 46
; Occupancy: 16
; WaveLimiterHint : 1
; COMPUTE_PGM_RSRC2:SCRATCH_EN: 0
; COMPUTE_PGM_RSRC2:USER_SGPR: 15
; COMPUTE_PGM_RSRC2:TRAP_HANDLER: 0
; COMPUTE_PGM_RSRC2:TGID_X_EN: 1
; COMPUTE_PGM_RSRC2:TGID_Y_EN: 0
; COMPUTE_PGM_RSRC2:TGID_Z_EN: 0
; COMPUTE_PGM_RSRC2:TIDIG_COMP_CNT: 0
	.section	.text._ZN9rocsparseL51csrgemm_numeric_fill_block_per_row_multipass_kernelILj512ELj16ELj2048ELj64EllfEEvT4_PKS1_S3_NS_24const_host_device_scalarIT5_EEPKT3_S3_PKS5_S9_S3_SB_S6_S9_S3_SB_S9_S3_PS5_PS7_21rocsparse_index_base_SE_SE_SE_bbb,"axG",@progbits,_ZN9rocsparseL51csrgemm_numeric_fill_block_per_row_multipass_kernelILj512ELj16ELj2048ELj64EllfEEvT4_PKS1_S3_NS_24const_host_device_scalarIT5_EEPKT3_S3_PKS5_S9_S3_SB_S6_S9_S3_SB_S9_S3_PS5_PS7_21rocsparse_index_base_SE_SE_SE_bbb,comdat
	.globl	_ZN9rocsparseL51csrgemm_numeric_fill_block_per_row_multipass_kernelILj512ELj16ELj2048ELj64EllfEEvT4_PKS1_S3_NS_24const_host_device_scalarIT5_EEPKT3_S3_PKS5_S9_S3_SB_S6_S9_S3_SB_S9_S3_PS5_PS7_21rocsparse_index_base_SE_SE_SE_bbb ; -- Begin function _ZN9rocsparseL51csrgemm_numeric_fill_block_per_row_multipass_kernelILj512ELj16ELj2048ELj64EllfEEvT4_PKS1_S3_NS_24const_host_device_scalarIT5_EEPKT3_S3_PKS5_S9_S3_SB_S6_S9_S3_SB_S9_S3_PS5_PS7_21rocsparse_index_base_SE_SE_SE_bbb
	.p2align	8
	.type	_ZN9rocsparseL51csrgemm_numeric_fill_block_per_row_multipass_kernelILj512ELj16ELj2048ELj64EllfEEvT4_PKS1_S3_NS_24const_host_device_scalarIT5_EEPKT3_S3_PKS5_S9_S3_SB_S6_S9_S3_SB_S9_S3_PS5_PS7_21rocsparse_index_base_SE_SE_SE_bbb,@function
_ZN9rocsparseL51csrgemm_numeric_fill_block_per_row_multipass_kernelILj512ELj16ELj2048ELj64EllfEEvT4_PKS1_S3_NS_24const_host_device_scalarIT5_EEPKT3_S3_PKS5_S9_S3_SB_S6_S9_S3_SB_S9_S3_PS5_PS7_21rocsparse_index_base_SE_SE_SE_bbb: ; @_ZN9rocsparseL51csrgemm_numeric_fill_block_per_row_multipass_kernelILj512ELj16ELj2048ELj64EllfEEvT4_PKS1_S3_NS_24const_host_device_scalarIT5_EEPKT3_S3_PKS5_S9_S3_SB_S6_S9_S3_SB_S9_S3_PS5_PS7_21rocsparse_index_base_SE_SE_SE_bbb
; %bb.0:
	s_clause 0x4
	s_load_b32 s3, s[0:1], 0xa0
	s_load_b128 s[4:7], s[0:1], 0x8
	s_load_b64 s[8:9], s[0:1], 0x18
	s_load_b128 s[28:31], s[0:1], 0x90
	s_load_b64 s[10:11], s[0:1], 0x50
	s_mov_b32 s2, s15
	s_waitcnt lgkmcnt(0)
	s_bitcmp1_b32 s3, 0
	s_cselect_b32 s45, -1, 0
	s_bitcmp1_b32 s3, 16
	s_cselect_b32 s12, -1, 0
	s_xor_b32 s13, s45, -1
	s_delay_alu instid0(SALU_CYCLE_1) | instskip(NEXT) | instid1(SALU_CYCLE_1)
	s_or_b32 s13, s13, s12
	s_and_b32 vcc_lo, exec_lo, s13
	s_cbranch_vccnz .LBB99_2
; %bb.1:
	s_load_b32 s8, s[8:9], 0x0
	s_waitcnt lgkmcnt(0)
	v_mov_b32_e32 v32, s8
	s_branch .LBB99_3
.LBB99_2:
	v_cndmask_b32_e64 v32, 0, s8, s45
.LBB99_3:
	s_load_b64 s[8:9], s[0:1], 0x20
	s_bitcmp1_b32 s3, 8
	s_cselect_b32 s33, -1, 0
	s_delay_alu instid0(SALU_CYCLE_1) | instskip(NEXT) | instid1(SALU_CYCLE_1)
	s_xor_b32 s3, s33, -1
	s_or_b32 s3, s3, s12
	s_delay_alu instid0(SALU_CYCLE_1)
	s_and_b32 vcc_lo, exec_lo, s3
	s_cbranch_vccnz .LBB99_5
; %bb.4:
	s_load_b32 s3, s[10:11], 0x0
	s_waitcnt lgkmcnt(0)
	v_mov_b32_e32 v33, s3
	s_branch .LBB99_6
.LBB99_5:
	v_cndmask_b32_e64 v33, 0, s10, s33
.LBB99_6:
	s_load_b64 s[4:5], s[4:5], 0x0
	s_mov_b32 s3, 0
	s_mov_b64 s[34:35], 0
	s_waitcnt lgkmcnt(0)
	s_lshl_b64 s[4:5], s[4:5], 3
	s_delay_alu instid0(SALU_CYCLE_1) | instskip(SKIP_2) | instid1(SALU_CYCLE_1)
	s_add_u32 s4, s6, s4
	s_addc_u32 s5, s7, s5
	s_lshl_b64 s[2:3], s[2:3], 3
	s_add_u32 s2, s4, s2
	s_addc_u32 s3, s5, s3
	s_and_not1_b32 vcc_lo, exec_lo, s45
	s_load_b64 s[4:5], s[2:3], 0x0
	s_mov_b64 s[2:3], 0
	s_cbranch_vccz .LBB99_9
; %bb.7:
	s_and_not1_b32 vcc_lo, exec_lo, s45
	s_cbranch_vccz .LBB99_10
.LBB99_8:
	s_load_b64 s[40:41], s[0:1], 0x0
	s_waitcnt lgkmcnt(0)
	v_cmp_lt_i64_e64 s6, s[40:41], 1
	s_delay_alu instid0(VALU_DEP_1)
	s_and_b32 vcc_lo, exec_lo, s6
	s_cbranch_vccz .LBB99_11
	s_branch .LBB99_65
.LBB99_9:
	s_waitcnt lgkmcnt(0)
	s_lshl_b64 s[2:3], s[4:5], 3
	s_delay_alu instid0(SALU_CYCLE_1)
	s_add_u32 s2, s8, s2
	s_addc_u32 s3, s9, s3
	s_load_b64 s[2:3], s[2:3], 0x0
	s_waitcnt lgkmcnt(0)
	s_sub_u32 s2, s2, s28
	s_subb_u32 s3, s3, 0
	s_and_not1_b32 vcc_lo, exec_lo, s45
	s_cbranch_vccnz .LBB99_8
.LBB99_10:
	s_waitcnt lgkmcnt(0)
	s_lshl_b64 s[6:7], s[4:5], 3
	s_delay_alu instid0(SALU_CYCLE_1)
	s_add_u32 s6, s8, s6
	s_addc_u32 s7, s9, s7
	s_load_b64 s[6:7], s[6:7], 0x8
	s_waitcnt lgkmcnt(0)
	s_sub_u32 s34, s6, s28
	s_subb_u32 s35, s7, 0
	s_load_b64 s[40:41], s[0:1], 0x0
	s_waitcnt lgkmcnt(0)
	v_cmp_lt_i64_e64 s6, s[40:41], 1
	s_delay_alu instid0(VALU_DEP_1)
	s_and_b32 vcc_lo, exec_lo, s6
	s_cbranch_vccnz .LBB99_65
.LBB99_11:
	s_clause 0x3
	s_load_b256 s[12:19], s[0:1], 0x58
	s_load_b128 s[36:39], s[0:1], 0x80
	s_load_b64 s[42:43], s[0:1], 0x48
	s_load_b256 s[20:27], s[0:1], 0x28
	v_mbcnt_lo_u32_b32 v3, -1, 0
	v_lshrrev_b32_e32 v5, 4, v0
	v_sub_co_u32 v36, s1, v0, s31
	s_lshl_b64 s[4:5], s[4:5], 3
	s_delay_alu instid0(VALU_DEP_3) | instskip(SKIP_2) | instid1(VALU_DEP_1)
	v_xor_b32_e32 v4, 8, v3
	v_sub_co_ci_u32_e64 v37, null, 0, 0, s1
	v_add_co_u32 v1, s1, s2, v5
	v_add_co_ci_u32_e64 v2, null, s3, 0, s1
	v_xor_b32_e32 v6, 4, v3
	v_xor_b32_e32 v7, 2, v3
	;; [unrolled: 1-line block ×4, first 2 shown]
	s_waitcnt lgkmcnt(0)
	s_add_u32 s2, s18, s4
	s_addc_u32 s3, s19, s5
	v_dual_mov_b32 v35, 0 :: v_dual_and_b32 v34, 15, v0
	s_load_b64 s[6:7], s[2:3], 0x0
	v_cmp_gt_i32_e64 s2, 32, v4
	v_cmp_gt_i64_e32 vcc_lo, s[34:35], v[1:2]
	v_cmp_eq_u32_e64 s0, 0, v0
	v_cmp_eq_u32_e64 s1, 15, v34
	v_cmp_gt_u32_e64 s3, 64, v0
	v_cndmask_b32_e64 v10, v3, v4, s2
	v_cmp_gt_i32_e64 s2, 32, v6
	v_cmp_gt_u32_e64 s8, 0x180, v0
	v_cmp_gt_u32_e64 s9, 0x1c0, v0
	v_or_b32_e32 v43, 0xfffffe00, v0
	v_lshlrev_b32_e32 v38, 2, v10
	v_cndmask_b32_e64 v6, v3, v6, s2
	v_cmp_gt_i32_e64 s2, 32, v7
	v_mov_b32_e32 v44, 1
	s_mov_b32 s44, s31
	s_delay_alu instid0(VALU_DEP_3) | instskip(NEXT) | instid1(VALU_DEP_3)
	v_lshlrev_b32_e32 v39, 2, v6
	v_cndmask_b32_e64 v7, v3, v7, s2
	v_cmp_gt_i32_e64 s2, 32, v8
	s_waitcnt lgkmcnt(0)
	s_sub_u32 s10, s6, s30
	s_subb_u32 s11, s7, 0
	s_add_u32 s12, s12, s4
	v_lshlrev_b32_e32 v40, 2, v7
	v_cndmask_b32_e64 v8, v3, v8, s2
	v_lshrrev_b64 v[3:4], v9, -1
	v_and_b32_e32 v42, 28, v5
	v_mov_b32_e32 v6, 0
	v_dual_mov_b32 v4, s10 :: v_dual_mov_b32 v5, s11
	v_dual_mov_b32 v8, 0x800 :: v_dual_lshlrev_b32 v41, 2, v8
	s_addc_u32 s13, s13, s5
	v_cmp_eq_u32_e64 s2, 0x1ff, v0
	v_cmp_gt_u32_e64 s4, 0x80, v0
	v_cmp_gt_u32_e64 s5, 0xc0, v0
	;; [unrolled: 1-line block ×4, first 2 shown]
	v_dual_mov_b32 v7, 0 :: v_dual_lshlrev_b32 v0, 2, v0
	v_mov_b32_e32 v9, 0
	s_and_b32 s30, s45, vcc_lo
	s_add_u32 s31, s24, 8
	s_addc_u32 s45, s25, 0
	s_branch .LBB99_13
.LBB99_12:                              ;   in Loop: Header=BB99_13 Depth=1
	s_or_b32 exec_lo, exec_lo, s11
	ds_load_b64 v[6:7], v35 offset:10240
	s_waitcnt lgkmcnt(0)
	s_barrier
	buffer_gl0_inv
	v_cmp_le_i64_e32 vcc_lo, s[40:41], v[6:7]
	v_add_co_u32 v8, s10, 0x800, v6
	s_delay_alu instid0(VALU_DEP_1)
	v_add_co_ci_u32_e64 v9, s10, 0, v7, s10
	s_cbranch_vccnz .LBB99_65
.LBB99_13:                              ; =>This Loop Header: Depth=1
                                        ;     Child Loop BB99_14 Depth 2
                                        ;     Child Loop BB99_20 Depth 2
                                        ;       Child Loop BB99_28 Depth 3
                                        ;     Child Loop BB99_44 Depth 2
                                        ;     Child Loop BB99_56 Depth 2
	;; [unrolled: 1-line block ×3, first 2 shown]
	v_dual_mov_b32 v10, v0 :: v_dual_mov_b32 v11, v43
	s_mov_b32 s10, 0
.LBB99_14:                              ;   Parent Loop BB99_13 Depth=1
                                        ; =>  This Inner Loop Header: Depth=2
	ds_store_b8 v11, v35 offset:8704
	v_add_nc_u32_e32 v11, 0x200, v11
	ds_store_b32 v10, v35
	v_add_nc_u32_e32 v10, 0x800, v10
	v_cmp_lt_u32_e32 vcc_lo, 0x5ff, v11
	s_or_b32 s10, vcc_lo, s10
	s_delay_alu instid0(SALU_CYCLE_1)
	s_and_not1_b32 exec_lo, exec_lo, s10
	s_cbranch_execnz .LBB99_14
; %bb.15:                               ;   in Loop: Header=BB99_13 Depth=1
	s_or_b32 exec_lo, exec_lo, s10
	s_and_saveexec_b32 s10, s0
	s_cbranch_execz .LBB99_17
; %bb.16:                               ;   in Loop: Header=BB99_13 Depth=1
	v_dual_mov_b32 v10, s40 :: v_dual_mov_b32 v11, s41
	ds_store_b64 v35, v[10:11] offset:10240
.LBB99_17:                              ;   in Loop: Header=BB99_13 Depth=1
	s_or_b32 exec_lo, exec_lo, s10
	v_dual_mov_b32 v10, s40 :: v_dual_mov_b32 v11, s41
	s_waitcnt lgkmcnt(0)
	s_barrier
	buffer_gl0_inv
	s_and_saveexec_b32 s18, s30
	s_cbranch_execz .LBB99_40
; %bb.18:                               ;   in Loop: Header=BB99_13 Depth=1
	v_cmp_ne_u64_e64 s10, 0, v[6:7]
	v_dual_mov_b32 v10, s40 :: v_dual_mov_b32 v11, s41
	v_dual_mov_b32 v13, v2 :: v_dual_mov_b32 v12, v1
	s_mov_b32 s19, 0
	s_branch .LBB99_20
.LBB99_19:                              ;   in Loop: Header=BB99_20 Depth=2
	s_or_b32 exec_lo, exec_lo, s46
	v_add_co_u32 v12, vcc_lo, v12, 32
	v_add_co_ci_u32_e32 v13, vcc_lo, 0, v13, vcc_lo
	s_delay_alu instid0(VALU_DEP_1) | instskip(SKIP_1) | instid1(SALU_CYCLE_1)
	v_cmp_le_i64_e32 vcc_lo, s[34:35], v[12:13]
	s_or_b32 s19, vcc_lo, s19
	s_and_not1_b32 exec_lo, exec_lo, s19
	s_cbranch_execz .LBB99_39
.LBB99_20:                              ;   Parent Loop BB99_13 Depth=1
                                        ; =>  This Loop Header: Depth=2
                                        ;       Child Loop BB99_28 Depth 3
	s_delay_alu instid0(VALU_DEP_1) | instskip(SKIP_2) | instid1(VALU_DEP_2)
	v_lshlrev_b64 v[14:15], 3, v[12:13]
	v_lshlrev_b64 v[16:17], 2, v[12:13]
	s_waitcnt lgkmcnt(0)
	v_add_co_u32 v18, vcc_lo, s20, v14
	s_delay_alu instid0(VALU_DEP_3) | instskip(NEXT) | instid1(VALU_DEP_3)
	v_add_co_ci_u32_e32 v19, vcc_lo, s21, v15, vcc_lo
	v_add_co_u32 v16, vcc_lo, s22, v16
	s_delay_alu instid0(VALU_DEP_4)
	v_add_co_ci_u32_e32 v17, vcc_lo, s23, v17, vcc_lo
	s_and_b32 vcc_lo, exec_lo, s10
	global_load_b64 v[18:19], v[18:19], off
	global_load_b32 v20, v[16:17], off
	s_cbranch_vccz .LBB99_22
; %bb.21:                               ;   in Loop: Header=BB99_20 Depth=2
	v_add_co_u32 v16, vcc_lo, s38, v14
	v_add_co_ci_u32_e32 v17, vcc_lo, s39, v15, vcc_lo
	s_mov_b32 s11, 0
	global_load_b64 v[16:17], v[16:17], off
	s_branch .LBB99_23
.LBB99_22:                              ;   in Loop: Header=BB99_20 Depth=2
	s_mov_b32 s11, -1
                                        ; implicit-def: $vgpr16_vgpr17
.LBB99_23:                              ;   in Loop: Header=BB99_20 Depth=2
	s_waitcnt vmcnt(1)
	v_sub_co_u32 v18, vcc_lo, v18, s28
	v_subrev_co_ci_u32_e32 v19, vcc_lo, 0, v19, vcc_lo
	s_and_not1_b32 vcc_lo, exec_lo, s11
	s_delay_alu instid0(VALU_DEP_1)
	v_lshlrev_b64 v[18:19], 3, v[18:19]
	s_cbranch_vccnz .LBB99_25
; %bb.24:                               ;   in Loop: Header=BB99_20 Depth=2
	s_waitcnt vmcnt(0)
	s_delay_alu instid0(VALU_DEP_1) | instskip(NEXT) | instid1(VALU_DEP_2)
	v_add_co_u32 v16, vcc_lo, s24, v18
	v_add_co_ci_u32_e32 v17, vcc_lo, s25, v19, vcc_lo
	global_load_b64 v[16:17], v[16:17], off
	s_waitcnt vmcnt(0)
	v_sub_co_u32 v16, vcc_lo, v16, s29
	v_subrev_co_ci_u32_e32 v17, vcc_lo, 0, v17, vcc_lo
.LBB99_25:                              ;   in Loop: Header=BB99_20 Depth=2
	s_delay_alu instid0(VALU_DEP_1) | instskip(NEXT) | instid1(VALU_DEP_2)
	v_add_co_u32 v18, vcc_lo, s31, v18
	v_add_co_ci_u32_e32 v19, vcc_lo, s45, v19, vcc_lo
	s_mov_b32 s46, exec_lo
	global_load_b64 v[18:19], v[18:19], off
	s_waitcnt vmcnt(0)
	v_sub_co_u32 v18, vcc_lo, v18, s29
	v_subrev_co_ci_u32_e32 v19, vcc_lo, 0, v19, vcc_lo
	v_add_co_u32 v16, vcc_lo, v16, v34
	v_add_co_ci_u32_e32 v17, vcc_lo, 0, v17, vcc_lo
	s_delay_alu instid0(VALU_DEP_1)
	v_cmpx_lt_i64_e64 v[16:17], v[18:19]
	s_cbranch_execz .LBB99_37
; %bb.26:                               ;   in Loop: Header=BB99_20 Depth=2
	v_lshlrev_b64 v[21:22], 3, v[16:17]
	v_lshlrev_b64 v[23:24], 2, v[16:17]
	v_mul_f32_e32 v45, v32, v20
	v_dual_mov_b32 v27, v17 :: v_dual_mov_b32 v26, v16
	s_mov_b32 s48, 0
	s_delay_alu instid0(VALU_DEP_4)
	v_add_co_u32 v20, vcc_lo, s26, v21
	v_add_co_ci_u32_e32 v21, vcc_lo, s27, v22, vcc_lo
	v_add_co_u32 v22, vcc_lo, s42, v23
	v_add_co_ci_u32_e32 v23, vcc_lo, s43, v24, vcc_lo
                                        ; implicit-def: $sgpr47
                                        ; implicit-def: $sgpr49
	s_branch .LBB99_28
.LBB99_27:                              ;   in Loop: Header=BB99_28 Depth=3
	s_or_b32 exec_lo, exec_lo, s50
	s_delay_alu instid0(SALU_CYCLE_1) | instskip(SKIP_4) | instid1(SALU_CYCLE_1)
	s_and_b32 s11, exec_lo, s51
	v_dual_mov_b32 v26, v30 :: v_dual_mov_b32 v27, v31
	s_or_b32 s48, s11, s48
	s_and_not1_b32 s11, s47, exec_lo
	s_and_b32 s47, s49, exec_lo
	s_or_b32 s47, s11, s47
	s_and_not1_b32 exec_lo, exec_lo, s48
	s_cbranch_execz .LBB99_34
.LBB99_28:                              ;   Parent Loop BB99_13 Depth=1
                                        ;     Parent Loop BB99_20 Depth=2
                                        ; =>    This Inner Loop Header: Depth=3
	global_load_b64 v[24:25], v[20:21], off
	s_waitcnt vmcnt(0)
	v_sub_co_u32 v24, vcc_lo, v24, s29
	v_subrev_co_ci_u32_e32 v25, vcc_lo, 0, v25, vcc_lo
	s_delay_alu instid0(VALU_DEP_1)
	v_cmp_lt_i64_e32 vcc_lo, v[24:25], v[8:9]
	v_cmp_lt_i64_e64 s11, v[24:25], v[6:7]
	s_xor_b32 s50, vcc_lo, -1
	s_delay_alu instid0(VALU_DEP_1) | instid1(SALU_CYCLE_1)
	s_or_b32 s51, s11, s50
	s_mov_b32 s11, 0
                                        ; implicit-def: $sgpr50
	s_and_saveexec_b32 s52, s51
	s_delay_alu instid0(SALU_CYCLE_1)
	s_xor_b32 s51, exec_lo, s52
; %bb.29:                               ;   in Loop: Header=BB99_28 Depth=3
	s_mov_b32 s50, -1
	s_and_b32 s11, vcc_lo, exec_lo
; %bb.30:                               ;   in Loop: Header=BB99_28 Depth=3
	s_and_not1_saveexec_b32 s51, s51
	s_cbranch_execz .LBB99_32
; %bb.31:                               ;   in Loop: Header=BB99_28 Depth=3
	global_load_b32 v28, v[22:23], off
	v_sub_nc_u32_e32 v29, v24, v6
	s_or_b32 s11, s11, exec_lo
	s_delay_alu instid0(VALU_DEP_1)
	v_lshlrev_b32_e32 v30, 2, v29
	ds_store_b8 v29, v44 offset:8192
	s_waitcnt vmcnt(0)
	v_mul_f32_e32 v28, v45, v28
	ds_add_f32 v30, v28
.LBB99_32:                              ;   in Loop: Header=BB99_28 Depth=3
	s_or_b32 exec_lo, exec_lo, s51
	v_dual_mov_b32 v29, v27 :: v_dual_mov_b32 v28, v26
	s_and_not1_b32 s49, s49, exec_lo
	s_and_b32 s50, s50, exec_lo
	s_mov_b32 s51, -1
	s_or_b32 s49, s49, s50
                                        ; implicit-def: $vgpr30_vgpr31
	s_and_saveexec_b32 s50, s11
	s_cbranch_execz .LBB99_27
; %bb.33:                               ;   in Loop: Header=BB99_28 Depth=3
	v_add_co_u32 v30, vcc_lo, v26, 16
	v_add_co_ci_u32_e32 v31, vcc_lo, 0, v27, vcc_lo
	v_add_co_u32 v20, vcc_lo, 0x80, v20
	v_add_co_ci_u32_e32 v21, vcc_lo, 0, v21, vcc_lo
	s_delay_alu instid0(VALU_DEP_3) | instskip(SKIP_1) | instid1(VALU_DEP_1)
	v_cmp_ge_i64_e32 vcc_lo, v[30:31], v[18:19]
	v_add_co_u32 v22, s11, v22, 64
	v_add_co_ci_u32_e64 v23, s11, 0, v23, s11
	v_dual_mov_b32 v29, v27 :: v_dual_mov_b32 v28, v26
	s_and_not1_b32 s49, s49, exec_lo
	s_or_not1_b32 s51, vcc_lo, exec_lo
	s_branch .LBB99_27
.LBB99_34:                              ;   in Loop: Header=BB99_20 Depth=2
	s_or_b32 exec_lo, exec_lo, s48
	s_and_saveexec_b32 s11, s47
	s_delay_alu instid0(SALU_CYCLE_1)
	s_xor_b32 s11, exec_lo, s11
; %bb.35:                               ;   in Loop: Header=BB99_20 Depth=2
	v_cmp_lt_i64_e32 vcc_lo, v[24:25], v[10:11]
	v_dual_mov_b32 v16, v28 :: v_dual_mov_b32 v17, v29
	v_dual_cndmask_b32 v11, v11, v25 :: v_dual_cndmask_b32 v10, v10, v24
; %bb.36:                               ;   in Loop: Header=BB99_20 Depth=2
	s_or_b32 exec_lo, exec_lo, s11
.LBB99_37:                              ;   in Loop: Header=BB99_20 Depth=2
	s_delay_alu instid0(SALU_CYCLE_1)
	s_or_b32 exec_lo, exec_lo, s46
	ds_bpermute_b32 v18, v38, v16
	ds_bpermute_b32 v19, v38, v17
	s_waitcnt lgkmcnt(0)
	v_cmp_lt_i64_e32 vcc_lo, v[18:19], v[16:17]
	v_dual_cndmask_b32 v17, v17, v19 :: v_dual_cndmask_b32 v16, v16, v18
	ds_bpermute_b32 v19, v39, v17
	ds_bpermute_b32 v18, v39, v16
	s_waitcnt lgkmcnt(0)
	v_cmp_lt_i64_e32 vcc_lo, v[18:19], v[16:17]
	v_dual_cndmask_b32 v17, v17, v19 :: v_dual_cndmask_b32 v16, v16, v18
	;; [unrolled: 5-line block ×3, first 2 shown]
	ds_bpermute_b32 v19, v41, v17
	ds_bpermute_b32 v18, v41, v16
	s_and_saveexec_b32 s46, s1
	s_cbranch_execz .LBB99_19
; %bb.38:                               ;   in Loop: Header=BB99_20 Depth=2
	s_waitcnt lgkmcnt(0)
	v_cmp_lt_i64_e32 vcc_lo, v[18:19], v[16:17]
	v_add_co_u32 v14, s11, s38, v14
	s_delay_alu instid0(VALU_DEP_1)
	v_add_co_ci_u32_e64 v15, s11, s39, v15, s11
	v_dual_cndmask_b32 v17, v17, v19 :: v_dual_cndmask_b32 v16, v16, v18
	global_store_b64 v[14:15], v[16:17], off
	s_branch .LBB99_19
.LBB99_39:                              ;   in Loop: Header=BB99_13 Depth=1
	s_or_b32 exec_lo, exec_lo, s19
.LBB99_40:                              ;   in Loop: Header=BB99_13 Depth=1
	s_delay_alu instid0(SALU_CYCLE_1) | instskip(NEXT) | instid1(SALU_CYCLE_1)
	s_or_b32 exec_lo, exec_lo, s18
	s_and_not1_b32 vcc_lo, exec_lo, s33
	s_cbranch_vccnz .LBB99_54
; %bb.41:                               ;   in Loop: Header=BB99_13 Depth=1
	s_load_b128 s[48:51], s[12:13], 0x0
	s_mov_b32 s11, exec_lo
	s_waitcnt lgkmcnt(0)
	v_add_co_u32 v12, vcc_lo, s48, v36
	v_add_co_ci_u32_e32 v13, vcc_lo, s49, v37, vcc_lo
	s_sub_u32 s18, s50, s44
	s_subb_u32 s19, s51, 0
	s_delay_alu instid0(VALU_DEP_1) | instid1(SALU_CYCLE_1)
	v_cmpx_gt_i64_e64 s[18:19], v[12:13]
	s_cbranch_execz .LBB99_53
; %bb.42:                               ;   in Loop: Header=BB99_13 Depth=1
	v_lshlrev_b64 v[14:15], 3, v[12:13]
	v_lshlrev_b64 v[16:17], 2, v[12:13]
	s_mov_b32 s46, 0
                                        ; implicit-def: $sgpr47
                                        ; implicit-def: $sgpr48
	s_delay_alu instid0(VALU_DEP_2) | instskip(NEXT) | instid1(VALU_DEP_3)
	v_add_co_u32 v14, vcc_lo, s14, v14
	v_add_co_ci_u32_e32 v15, vcc_lo, s15, v15, vcc_lo
	s_delay_alu instid0(VALU_DEP_3) | instskip(NEXT) | instid1(VALU_DEP_4)
	v_add_co_u32 v16, vcc_lo, s16, v16
	v_add_co_ci_u32_e32 v17, vcc_lo, s17, v17, vcc_lo
	s_branch .LBB99_44
.LBB99_43:                              ;   in Loop: Header=BB99_44 Depth=2
	s_or_b32 exec_lo, exec_lo, s49
	s_delay_alu instid0(SALU_CYCLE_1) | instskip(NEXT) | instid1(SALU_CYCLE_1)
	s_and_b32 s10, exec_lo, s50
	s_or_b32 s46, s10, s46
	s_and_not1_b32 s10, s47, exec_lo
	s_and_b32 s47, s48, exec_lo
	s_delay_alu instid0(SALU_CYCLE_1)
	s_or_b32 s47, s10, s47
	s_and_not1_b32 exec_lo, exec_lo, s46
	s_cbranch_execz .LBB99_50
.LBB99_44:                              ;   Parent Loop BB99_13 Depth=1
                                        ; =>  This Inner Loop Header: Depth=2
	global_load_b64 v[18:19], v[14:15], off
	s_waitcnt vmcnt(0)
	v_sub_co_u32 v18, vcc_lo, v18, s44
	v_subrev_co_ci_u32_e32 v19, vcc_lo, 0, v19, vcc_lo
	s_delay_alu instid0(VALU_DEP_1)
	v_cmp_lt_i64_e32 vcc_lo, v[18:19], v[8:9]
	v_cmp_lt_i64_e64 s10, v[18:19], v[6:7]
	s_xor_b32 s49, vcc_lo, -1
	s_delay_alu instid0(VALU_DEP_1) | instid1(SALU_CYCLE_1)
	s_or_b32 s50, s10, s49
	s_mov_b32 s10, 0
                                        ; implicit-def: $sgpr49
	s_and_saveexec_b32 s51, s50
	s_delay_alu instid0(SALU_CYCLE_1)
	s_xor_b32 s50, exec_lo, s51
; %bb.45:                               ;   in Loop: Header=BB99_44 Depth=2
	s_mov_b32 s49, -1
	s_and_b32 s10, vcc_lo, exec_lo
; %bb.46:                               ;   in Loop: Header=BB99_44 Depth=2
	s_and_not1_saveexec_b32 s50, s50
	s_cbranch_execz .LBB99_48
; %bb.47:                               ;   in Loop: Header=BB99_44 Depth=2
	global_load_b32 v20, v[16:17], off
	v_sub_nc_u32_e32 v21, v18, v6
	s_or_b32 s10, s10, exec_lo
	s_delay_alu instid0(VALU_DEP_1)
	v_lshlrev_b32_e32 v22, 2, v21
	ds_store_b8 v21, v44 offset:8192
	s_waitcnt vmcnt(0)
	v_mul_f32_e32 v20, v33, v20
	ds_add_f32 v22, v20
.LBB99_48:                              ;   in Loop: Header=BB99_44 Depth=2
	s_or_b32 exec_lo, exec_lo, s50
	s_delay_alu instid0(SALU_CYCLE_1)
	s_and_not1_b32 s48, s48, exec_lo
	s_and_b32 s49, s49, exec_lo
	s_mov_b32 s50, -1
	s_or_b32 s48, s48, s49
	s_and_saveexec_b32 s49, s10
	s_cbranch_execz .LBB99_43
; %bb.49:                               ;   in Loop: Header=BB99_44 Depth=2
	v_add_co_u32 v12, vcc_lo, 0x200, v12
	v_add_co_ci_u32_e32 v13, vcc_lo, 0, v13, vcc_lo
	v_add_co_u32 v14, vcc_lo, 0x1000, v14
	v_add_co_ci_u32_e32 v15, vcc_lo, 0, v15, vcc_lo
	s_delay_alu instid0(VALU_DEP_3) | instskip(SKIP_1) | instid1(VALU_DEP_1)
	v_cmp_le_i64_e32 vcc_lo, s[18:19], v[12:13]
	v_add_co_u32 v16, s10, 0x800, v16
	v_add_co_ci_u32_e64 v17, s10, 0, v17, s10
	s_and_not1_b32 s48, s48, exec_lo
	s_or_not1_b32 s50, vcc_lo, exec_lo
	s_branch .LBB99_43
.LBB99_50:                              ;   in Loop: Header=BB99_13 Depth=1
	s_or_b32 exec_lo, exec_lo, s46
	s_and_saveexec_b32 s10, s47
	s_delay_alu instid0(SALU_CYCLE_1)
	s_xor_b32 s10, exec_lo, s10
; %bb.51:                               ;   in Loop: Header=BB99_13 Depth=1
	v_cmp_lt_i64_e32 vcc_lo, v[18:19], v[10:11]
	v_dual_cndmask_b32 v11, v11, v19 :: v_dual_cndmask_b32 v10, v10, v18
; %bb.52:                               ;   in Loop: Header=BB99_13 Depth=1
	s_or_b32 exec_lo, exec_lo, s10
.LBB99_53:                              ;   in Loop: Header=BB99_13 Depth=1
	s_delay_alu instid0(SALU_CYCLE_1)
	s_or_b32 exec_lo, exec_lo, s11
.LBB99_54:                              ;   in Loop: Header=BB99_13 Depth=1
	ds_bpermute_b32 v6, v38, v10
	ds_bpermute_b32 v7, v38, v11
	s_waitcnt lgkmcnt(0)
	v_cmp_lt_i64_e32 vcc_lo, v[6:7], v[10:11]
	v_dual_cndmask_b32 v7, v11, v7 :: v_dual_cndmask_b32 v6, v10, v6
	ds_bpermute_b32 v9, v39, v7
	ds_bpermute_b32 v8, v39, v6
	s_waitcnt lgkmcnt(0)
	v_cmp_lt_i64_e32 vcc_lo, v[8:9], v[6:7]
	v_dual_cndmask_b32 v7, v7, v9 :: v_dual_cndmask_b32 v6, v6, v8
	;; [unrolled: 5-line block ×3, first 2 shown]
	ds_bpermute_b32 v9, v41, v7
	ds_bpermute_b32 v8, v41, v6
	s_and_saveexec_b32 s18, s1
	s_cbranch_execz .LBB99_59
; %bb.55:                               ;   in Loop: Header=BB99_13 Depth=1
	s_waitcnt lgkmcnt(0)
	v_cmp_lt_i64_e32 vcc_lo, v[8:9], v[6:7]
	s_mov_b32 s19, exec_lo
	s_mov_b64 s[10:11], -1
	v_dual_cndmask_b32 v7, v7, v9 :: v_dual_cndmask_b32 v6, v6, v8
.LBB99_56:                              ;   Parent Loop BB99_13 Depth=1
                                        ; =>  This Inner Loop Header: Depth=2
	s_ctz_i32_b32 s48, s19
	s_delay_alu instid0(VALU_DEP_1) | instid1(SALU_CYCLE_1)
	v_readlane_b32 s47, v7, s48
	s_delay_alu instid0(VALU_DEP_2) | instskip(NEXT) | instid1(VALU_DEP_1)
	v_readlane_b32 s46, v6, s48
	v_cmp_lt_u64_e64 s49, s[10:11], s[46:47]
	s_delay_alu instid0(VALU_DEP_1) | instskip(SKIP_3) | instid1(SALU_CYCLE_1)
	s_and_b32 s49, s49, exec_lo
	s_cselect_b32 s11, s11, s47
	s_cselect_b32 s10, s10, s46
	s_lshl_b32 s46, 1, s48
	s_and_not1_b32 s19, s19, s46
	s_delay_alu instid0(SALU_CYCLE_1)
	s_cmp_lg_u32 s19, 0
	s_cbranch_scc1 .LBB99_56
; %bb.57:                               ;   in Loop: Header=BB99_13 Depth=1
	v_mbcnt_lo_u32_b32 v6, exec_lo, 0
	s_mov_b32 s19, exec_lo
	s_delay_alu instid0(VALU_DEP_1)
	v_cmpx_eq_u32_e32 0, v6
	s_xor_b32 s19, exec_lo, s19
	s_cbranch_execz .LBB99_59
; %bb.58:                               ;   in Loop: Header=BB99_13 Depth=1
	v_dual_mov_b32 v6, s10 :: v_dual_mov_b32 v7, s11
	ds_min_u64 v35, v[6:7] offset:10240
.LBB99_59:                              ;   in Loop: Header=BB99_13 Depth=1
	s_or_b32 exec_lo, exec_lo, s18
	s_waitcnt lgkmcnt(0)
	v_dual_mov_b32 v8, v0 :: v_dual_mov_b32 v9, v43
	s_mov_b32 s11, 0
	s_waitcnt_vscnt null, 0x0
	s_barrier
	buffer_gl0_inv
	s_branch .LBB99_61
.LBB99_60:                              ;   in Loop: Header=BB99_61 Depth=2
	s_or_b32 exec_lo, exec_lo, s10
	s_waitcnt lgkmcnt(0)
	s_waitcnt_vscnt null, 0x0
	s_barrier
	buffer_gl0_inv
	ds_load_b32 v6, v35 offset:28
	v_add_nc_u32_e32 v9, 0x200, v9
	v_add_nc_u32_e32 v8, 0x800, v8
	s_delay_alu instid0(VALU_DEP_2) | instskip(SKIP_4) | instid1(VALU_DEP_1)
	v_cmp_lt_u32_e32 vcc_lo, 0x5ff, v9
	s_or_b32 s11, vcc_lo, s11
	s_waitcnt lgkmcnt(0)
	v_ashrrev_i32_e32 v7, 31, v6
	v_add_co_u32 v4, s10, v4, v6
	v_add_co_ci_u32_e64 v5, s10, v5, v7, s10
	s_and_not1_b32 exec_lo, exec_lo, s11
	s_cbranch_execz .LBB99_12
.LBB99_61:                              ;   Parent Loop BB99_13 Depth=1
                                        ; =>  This Inner Loop Header: Depth=2
	ds_load_u8 v6, v9 offset:8704
	ds_load_b32 v10, v8
	s_waitcnt lgkmcnt(0)
	s_barrier
	buffer_gl0_inv
	v_cmp_ne_u16_e32 vcc_lo, 0, v6
	s_bcnt1_i32_b32 s10, vcc_lo
	s_delay_alu instid0(SALU_CYCLE_1)
	v_mov_b32_e32 v7, s10
	s_mov_b32 s10, exec_lo
	ds_store_b32 v42, v7
	s_waitcnt lgkmcnt(0)
	s_barrier
	buffer_gl0_inv
	ds_load_b128 v[11:14], v35
	ds_load_b96 v[15:17], v35 offset:16
	v_and_b32_e32 v7, vcc_lo, v3
	s_waitcnt lgkmcnt(1)
	v_cndmask_b32_e64 v11, v11, 0, s3
	v_cndmask_b32_e64 v12, v12, 0, s4
	;; [unrolled: 1-line block ×3, first 2 shown]
	s_delay_alu instid0(VALU_DEP_3) | instskip(SKIP_3) | instid1(VALU_DEP_3)
	v_bcnt_u32_b32 v7, v7, v11
	v_cndmask_b32_e64 v11, v14, 0, s6
	s_waitcnt lgkmcnt(0)
	v_cndmask_b32_e64 v14, v15, 0, s7
	v_add3_u32 v7, v7, v12, v13
	v_cndmask_b32_e64 v12, v16, 0, s8
	v_cndmask_b32_e64 v13, v17, 0, s9
	s_delay_alu instid0(VALU_DEP_3) | instskip(SKIP_1) | instid1(VALU_DEP_2)
	v_add3_u32 v7, v7, v11, v14
	v_and_b32_e32 v11, 1, v6
	v_add3_u32 v6, v7, v12, v13
	s_delay_alu instid0(VALU_DEP_2)
	v_cmpx_eq_u32_e32 1, v11
	s_cbranch_execz .LBB99_63
; %bb.62:                               ;   in Loop: Header=BB99_61 Depth=2
	s_delay_alu instid0(VALU_DEP_2) | instskip(SKIP_1) | instid1(VALU_DEP_2)
	v_ashrrev_i32_e32 v7, 31, v6
	v_lshlrev_b64 v[11:12], 2, v[4:5]
	v_lshlrev_b64 v[13:14], 2, v[6:7]
	s_delay_alu instid0(VALU_DEP_2) | instskip(NEXT) | instid1(VALU_DEP_3)
	v_add_co_u32 v7, vcc_lo, s36, v11
	v_add_co_ci_u32_e32 v12, vcc_lo, s37, v12, vcc_lo
	s_delay_alu instid0(VALU_DEP_2) | instskip(NEXT) | instid1(VALU_DEP_2)
	v_add_co_u32 v11, vcc_lo, v7, v13
	v_add_co_ci_u32_e32 v12, vcc_lo, v12, v14, vcc_lo
	global_store_b32 v[11:12], v10, off offset:-4
.LBB99_63:                              ;   in Loop: Header=BB99_61 Depth=2
	s_or_b32 exec_lo, exec_lo, s10
	s_and_saveexec_b32 s10, s2
	s_cbranch_execz .LBB99_60
; %bb.64:                               ;   in Loop: Header=BB99_61 Depth=2
	ds_store_b32 v35, v6 offset:28
	s_branch .LBB99_60
.LBB99_65:
	s_endpgm
	.section	.rodata,"a",@progbits
	.p2align	6, 0x0
	.amdhsa_kernel _ZN9rocsparseL51csrgemm_numeric_fill_block_per_row_multipass_kernelILj512ELj16ELj2048ELj64EllfEEvT4_PKS1_S3_NS_24const_host_device_scalarIT5_EEPKT3_S3_PKS5_S9_S3_SB_S6_S9_S3_SB_S9_S3_PS5_PS7_21rocsparse_index_base_SE_SE_SE_bbb
		.amdhsa_group_segment_fixed_size 10248
		.amdhsa_private_segment_fixed_size 0
		.amdhsa_kernarg_size 164
		.amdhsa_user_sgpr_count 15
		.amdhsa_user_sgpr_dispatch_ptr 0
		.amdhsa_user_sgpr_queue_ptr 0
		.amdhsa_user_sgpr_kernarg_segment_ptr 1
		.amdhsa_user_sgpr_dispatch_id 0
		.amdhsa_user_sgpr_private_segment_size 0
		.amdhsa_wavefront_size32 1
		.amdhsa_uses_dynamic_stack 0
		.amdhsa_enable_private_segment 0
		.amdhsa_system_sgpr_workgroup_id_x 1
		.amdhsa_system_sgpr_workgroup_id_y 0
		.amdhsa_system_sgpr_workgroup_id_z 0
		.amdhsa_system_sgpr_workgroup_info 0
		.amdhsa_system_vgpr_workitem_id 0
		.amdhsa_next_free_vgpr 46
		.amdhsa_next_free_sgpr 53
		.amdhsa_reserve_vcc 1
		.amdhsa_float_round_mode_32 0
		.amdhsa_float_round_mode_16_64 0
		.amdhsa_float_denorm_mode_32 3
		.amdhsa_float_denorm_mode_16_64 3
		.amdhsa_dx10_clamp 1
		.amdhsa_ieee_mode 1
		.amdhsa_fp16_overflow 0
		.amdhsa_workgroup_processor_mode 1
		.amdhsa_memory_ordered 1
		.amdhsa_forward_progress 0
		.amdhsa_shared_vgpr_count 0
		.amdhsa_exception_fp_ieee_invalid_op 0
		.amdhsa_exception_fp_denorm_src 0
		.amdhsa_exception_fp_ieee_div_zero 0
		.amdhsa_exception_fp_ieee_overflow 0
		.amdhsa_exception_fp_ieee_underflow 0
		.amdhsa_exception_fp_ieee_inexact 0
		.amdhsa_exception_int_div_zero 0
	.end_amdhsa_kernel
	.section	.text._ZN9rocsparseL51csrgemm_numeric_fill_block_per_row_multipass_kernelILj512ELj16ELj2048ELj64EllfEEvT4_PKS1_S3_NS_24const_host_device_scalarIT5_EEPKT3_S3_PKS5_S9_S3_SB_S6_S9_S3_SB_S9_S3_PS5_PS7_21rocsparse_index_base_SE_SE_SE_bbb,"axG",@progbits,_ZN9rocsparseL51csrgemm_numeric_fill_block_per_row_multipass_kernelILj512ELj16ELj2048ELj64EllfEEvT4_PKS1_S3_NS_24const_host_device_scalarIT5_EEPKT3_S3_PKS5_S9_S3_SB_S6_S9_S3_SB_S9_S3_PS5_PS7_21rocsparse_index_base_SE_SE_SE_bbb,comdat
.Lfunc_end99:
	.size	_ZN9rocsparseL51csrgemm_numeric_fill_block_per_row_multipass_kernelILj512ELj16ELj2048ELj64EllfEEvT4_PKS1_S3_NS_24const_host_device_scalarIT5_EEPKT3_S3_PKS5_S9_S3_SB_S6_S9_S3_SB_S9_S3_PS5_PS7_21rocsparse_index_base_SE_SE_SE_bbb, .Lfunc_end99-_ZN9rocsparseL51csrgemm_numeric_fill_block_per_row_multipass_kernelILj512ELj16ELj2048ELj64EllfEEvT4_PKS1_S3_NS_24const_host_device_scalarIT5_EEPKT3_S3_PKS5_S9_S3_SB_S6_S9_S3_SB_S9_S3_PS5_PS7_21rocsparse_index_base_SE_SE_SE_bbb
                                        ; -- End function
	.section	.AMDGPU.csdata,"",@progbits
; Kernel info:
; codeLenInByte = 3080
; NumSgprs: 55
; NumVgprs: 46
; ScratchSize: 0
; MemoryBound: 0
; FloatMode: 240
; IeeeMode: 1
; LDSByteSize: 10248 bytes/workgroup (compile time only)
; SGPRBlocks: 6
; VGPRBlocks: 5
; NumSGPRsForWavesPerEU: 55
; NumVGPRsForWavesPerEU: 46
; Occupancy: 16
; WaveLimiterHint : 1
; COMPUTE_PGM_RSRC2:SCRATCH_EN: 0
; COMPUTE_PGM_RSRC2:USER_SGPR: 15
; COMPUTE_PGM_RSRC2:TRAP_HANDLER: 0
; COMPUTE_PGM_RSRC2:TGID_X_EN: 1
; COMPUTE_PGM_RSRC2:TGID_Y_EN: 0
; COMPUTE_PGM_RSRC2:TGID_Z_EN: 0
; COMPUTE_PGM_RSRC2:TIDIG_COMP_CNT: 0
	.section	.text._ZN9rocsparseL38csrgemm_numeric_fill_wf_per_row_kernelILj256ELj8ELj16ELj137ElldEEvT4_S1_PKS1_S3_NS_24const_host_device_scalarIT5_EEPKT3_S3_PKS5_S9_S3_SB_S6_S9_S3_SB_S9_S3_PS5_21rocsparse_index_base_SD_SD_SD_bbb,"axG",@progbits,_ZN9rocsparseL38csrgemm_numeric_fill_wf_per_row_kernelILj256ELj8ELj16ELj137ElldEEvT4_S1_PKS1_S3_NS_24const_host_device_scalarIT5_EEPKT3_S3_PKS5_S9_S3_SB_S6_S9_S3_SB_S9_S3_PS5_21rocsparse_index_base_SD_SD_SD_bbb,comdat
	.globl	_ZN9rocsparseL38csrgemm_numeric_fill_wf_per_row_kernelILj256ELj8ELj16ELj137ElldEEvT4_S1_PKS1_S3_NS_24const_host_device_scalarIT5_EEPKT3_S3_PKS5_S9_S3_SB_S6_S9_S3_SB_S9_S3_PS5_21rocsparse_index_base_SD_SD_SD_bbb ; -- Begin function _ZN9rocsparseL38csrgemm_numeric_fill_wf_per_row_kernelILj256ELj8ELj16ELj137ElldEEvT4_S1_PKS1_S3_NS_24const_host_device_scalarIT5_EEPKT3_S3_PKS5_S9_S3_SB_S6_S9_S3_SB_S9_S3_PS5_21rocsparse_index_base_SD_SD_SD_bbb
	.p2align	8
	.type	_ZN9rocsparseL38csrgemm_numeric_fill_wf_per_row_kernelILj256ELj8ELj16ELj137ElldEEvT4_S1_PKS1_S3_NS_24const_host_device_scalarIT5_EEPKT3_S3_PKS5_S9_S3_SB_S6_S9_S3_SB_S9_S3_PS5_21rocsparse_index_base_SD_SD_SD_bbb,@function
_ZN9rocsparseL38csrgemm_numeric_fill_wf_per_row_kernelILj256ELj8ELj16ELj137ElldEEvT4_S1_PKS1_S3_NS_24const_host_device_scalarIT5_EEPKT3_S3_PKS5_S9_S3_SB_S6_S9_S3_SB_S9_S3_PS5_21rocsparse_index_base_SD_SD_SD_bbb: ; @_ZN9rocsparseL38csrgemm_numeric_fill_wf_per_row_kernelILj256ELj8ELj16ELj137ElldEEvT4_S1_PKS1_S3_NS_24const_host_device_scalarIT5_EEPKT3_S3_PKS5_S9_S3_SB_S6_S9_S3_SB_S9_S3_PS5_21rocsparse_index_base_SD_SD_SD_bbb
; %bb.0:
	s_clause 0x3
	s_load_b32 s14, s[0:1], 0xa0
	s_load_b64 s[4:5], s[0:1], 0x20
	s_load_b128 s[24:27], s[0:1], 0x90
	s_load_b64 s[2:3], s[0:1], 0x58
	s_waitcnt lgkmcnt(0)
	s_and_b32 s6, 1, s14
	s_bitcmp1_b32 s14, 16
	s_cselect_b32 s34, -1, 0
	s_cmp_eq_u32 s6, 1
	s_cselect_b32 s33, -1, 0
	s_delay_alu instid0(SALU_CYCLE_1)
	s_and_b32 s6, s33, exec_lo
	s_cselect_b32 s7, s5, 0
	s_cselect_b32 s6, s4, 0
	s_xor_b32 s8, s33, -1
	v_dual_mov_b32 v9, s7 :: v_dual_mov_b32 v8, s6
	s_or_b32 s8, s8, s34
	s_delay_alu instid0(SALU_CYCLE_1)
	s_and_b32 vcc_lo, exec_lo, s8
	s_cbranch_vccnz .LBB100_2
; %bb.1:
	v_dual_mov_b32 v1, s4 :: v_dual_mov_b32 v2, s5
	flat_load_b64 v[8:9], v[1:2]
.LBB100_2:
	s_clause 0x4
	s_load_b64 s[12:13], s[0:1], 0x88
	s_load_b256 s[4:11], s[0:1], 0x60
	s_load_b128 s[28:31], s[0:1], 0x48
	s_load_b128 s[36:39], s[0:1], 0x10
	s_load_b256 s[16:23], s[0:1], 0x28
	s_bitcmp1_b32 s14, 8
	s_cselect_b32 s14, -1, 0
	s_delay_alu instid0(SALU_CYCLE_1)
	s_and_b32 s35, s14, exec_lo
	s_cselect_b32 s41, s3, 0
	s_cselect_b32 s40, s2, 0
	s_xor_b32 s35, s14, -1
	v_dual_mov_b32 v4, s40 :: v_dual_mov_b32 v5, s41
	s_or_b32 s34, s35, s34
	s_delay_alu instid0(SALU_CYCLE_1)
	s_and_b32 vcc_lo, exec_lo, s34
	s_cbranch_vccnz .LBB100_4
; %bb.3:
	v_dual_mov_b32 v1, s2 :: v_dual_mov_b32 v2, s3
	flat_load_b64 v[4:5], v[1:2]
.LBB100_4:
	s_load_b128 s[0:3], s[0:1], 0x0
	v_and_b32_e32 v26, 7, v0
	v_lshrrev_b32_e32 v6, 3, v0
	s_mov_b32 s34, 0
	s_delay_alu instid0(VALU_DEP_2) | instskip(NEXT) | instid1(VALU_DEP_1)
	v_dual_mov_b32 v0, 0 :: v_dual_lshlrev_b32 v1, 3, v26
	v_lshl_or_b32 v22, v6, 7, v1
	s_delay_alu instid0(VALU_DEP_2) | instskip(SKIP_1) | instid1(VALU_DEP_1)
	v_mov_b32_e32 v1, v0
	v_or_b32_e32 v23, -8, v26
	v_dual_mov_b32 v7, v22 :: v_dual_mov_b32 v10, v23
	s_waitcnt lgkmcnt(0)
	v_dual_mov_b32 v2, s2 :: v_dual_mov_b32 v3, s3
.LBB100_5:                              ; =>This Inner Loop Header: Depth=1
	s_delay_alu instid0(VALU_DEP_2) | instskip(NEXT) | instid1(VALU_DEP_1)
	v_add_co_u32 v10, s35, v10, 8
	s_xor_b32 s35, s35, -1
	ds_store_2addr_stride64_b64 v7, v[0:1], v[2:3] offset1:8
	v_add_nc_u32_e32 v7, 64, v7
	s_and_b32 s35, exec_lo, s35
	s_delay_alu instid0(SALU_CYCLE_1) | instskip(NEXT) | instid1(SALU_CYCLE_1)
	s_or_b32 s34, s35, s34
	s_and_not1_b32 exec_lo, exec_lo, s34
	s_cbranch_execnz .LBB100_5
; %bb.6:
	s_or_b32 exec_lo, exec_lo, s34
	s_lshl_b32 s15, s15, 5
	v_mov_b32_e32 v1, 0
	v_and_or_b32 v0, 0x1fffffe0, s15, v6
	s_waitcnt vmcnt(0) lgkmcnt(0)
	buffer_gl0_inv
	v_cmp_gt_i64_e32 vcc_lo, s[0:1], v[0:1]
	s_and_saveexec_b32 s0, vcc_lo
	s_cbranch_execz .LBB100_58
; %bb.7:
	s_cmp_eq_u64 s[38:39], 0
	s_cbranch_scc1 .LBB100_9
; %bb.8:
	s_load_b64 s[0:1], s[36:37], 0x0
	v_lshlrev_b32_e32 v0, 3, v0
	s_waitcnt lgkmcnt(0)
	s_lshl_b64 s[0:1], s[0:1], 3
	s_delay_alu instid0(SALU_CYCLE_1)
	s_add_u32 s0, s38, s0
	s_addc_u32 s1, s39, s1
	global_load_b64 v[0:1], v0, s[0:1]
.LBB100_9:
	v_lshlrev_b32_e32 v25, 7, v6
	s_waitcnt vmcnt(0)
	v_lshlrev_b64 v[6:7], 3, v[0:1]
	s_and_not1_b32 vcc_lo, exec_lo, s33
	s_delay_alu instid0(VALU_DEP_2)
	v_or_b32_e32 v24, 0x1000, v25
	s_cbranch_vccnz .LBB100_33
; %bb.10:
	s_delay_alu instid0(VALU_DEP_2) | instskip(NEXT) | instid1(VALU_DEP_3)
	v_add_co_u32 v0, vcc_lo, s16, v6
	v_add_co_ci_u32_e32 v1, vcc_lo, s17, v7, vcc_lo
	v_sub_co_u32 v12, s0, v26, s24
	s_delay_alu instid0(VALU_DEP_1)
	v_sub_co_ci_u32_e64 v13, null, 0, 0, s0
	global_load_b128 v[0:3], v[0:1], off
	s_mov_b32 s1, 0
	s_mov_b32 s0, exec_lo
	s_waitcnt vmcnt(0)
	v_sub_co_u32 v10, vcc_lo, v2, s24
	v_subrev_co_ci_u32_e32 v11, vcc_lo, 0, v3, vcc_lo
	v_add_co_u32 v12, vcc_lo, v0, v12
	v_add_co_ci_u32_e32 v13, vcc_lo, v1, v13, vcc_lo
	s_delay_alu instid0(VALU_DEP_1)
	v_cmpx_lt_i64_e64 v[12:13], v[10:11]
	s_cbranch_execz .LBB100_32
; %bb.11:
	s_mov_b32 s15, s25
	s_branch .LBB100_13
.LBB100_12:                             ;   in Loop: Header=BB100_13 Depth=1
	s_or_b32 exec_lo, exec_lo, s16
	v_add_co_u32 v12, vcc_lo, v12, 8
	v_add_co_ci_u32_e32 v13, vcc_lo, 0, v13, vcc_lo
	s_delay_alu instid0(VALU_DEP_1) | instskip(SKIP_1) | instid1(SALU_CYCLE_1)
	v_cmp_ge_i64_e32 vcc_lo, v[12:13], v[10:11]
	s_or_b32 s1, vcc_lo, s1
	s_and_not1_b32 exec_lo, exec_lo, s1
	s_cbranch_execz .LBB100_32
.LBB100_13:                             ; =>This Loop Header: Depth=1
                                        ;     Child Loop BB100_16 Depth 2
                                        ;       Child Loop BB100_18 Depth 3
                                        ;         Child Loop BB100_24 Depth 4
                                        ;         Child Loop BB100_30 Depth 4
	v_lshlrev_b64 v[14:15], 3, v[12:13]
	s_mov_b32 s16, exec_lo
	s_delay_alu instid0(VALU_DEP_1) | instskip(NEXT) | instid1(VALU_DEP_2)
	v_add_co_u32 v0, vcc_lo, s18, v14
	v_add_co_ci_u32_e32 v1, vcc_lo, s19, v15, vcc_lo
	global_load_b64 v[0:1], v[0:1], off
	s_waitcnt vmcnt(0)
	v_sub_co_u32 v0, vcc_lo, v0, s24
	v_subrev_co_ci_u32_e32 v1, vcc_lo, 0, v1, vcc_lo
	s_delay_alu instid0(VALU_DEP_1) | instskip(NEXT) | instid1(VALU_DEP_1)
	v_lshlrev_b64 v[0:1], 3, v[0:1]
	v_add_co_u32 v0, vcc_lo, s22, v0
	s_delay_alu instid0(VALU_DEP_2)
	v_add_co_ci_u32_e32 v1, vcc_lo, s23, v1, vcc_lo
	global_load_b128 v[0:3], v[0:1], off
	s_waitcnt vmcnt(0)
	v_cmpx_lt_i64_e64 v[0:1], v[2:3]
	s_cbranch_execz .LBB100_12
; %bb.14:                               ;   in Loop: Header=BB100_13 Depth=1
	v_add_co_u32 v14, vcc_lo, s20, v14
	v_add_co_ci_u32_e32 v15, vcc_lo, s21, v15, vcc_lo
	v_sub_co_u32 v2, vcc_lo, v2, s15
	v_subrev_co_ci_u32_e32 v3, vcc_lo, 0, v3, vcc_lo
	global_load_b64 v[14:15], v[14:15], off
	v_sub_co_u32 v0, vcc_lo, v0, s15
	v_subrev_co_ci_u32_e32 v1, vcc_lo, 0, v1, vcc_lo
	s_mov_b32 s17, 0
	s_waitcnt vmcnt(0)
	v_mul_f64 v[14:15], v[8:9], v[14:15]
	s_branch .LBB100_16
.LBB100_15:                             ;   in Loop: Header=BB100_16 Depth=2
	s_or_b32 exec_lo, exec_lo, s25
	v_add_co_u32 v0, vcc_lo, v0, 1
	v_add_co_ci_u32_e32 v1, vcc_lo, 0, v1, vcc_lo
	s_delay_alu instid0(VALU_DEP_1) | instskip(SKIP_1) | instid1(SALU_CYCLE_1)
	v_cmp_ge_i64_e32 vcc_lo, v[0:1], v[2:3]
	s_or_b32 s17, vcc_lo, s17
	s_and_not1_b32 exec_lo, exec_lo, s17
	s_cbranch_execz .LBB100_12
.LBB100_16:                             ;   Parent Loop BB100_13 Depth=1
                                        ; =>  This Loop Header: Depth=2
                                        ;       Child Loop BB100_18 Depth 3
                                        ;         Child Loop BB100_24 Depth 4
                                        ;         Child Loop BB100_30 Depth 4
	v_lshlrev_b64 v[16:17], 3, v[0:1]
	s_mov_b32 s25, 0
	s_delay_alu instid0(VALU_DEP_1) | instskip(NEXT) | instid1(VALU_DEP_2)
	v_add_co_u32 v18, vcc_lo, s30, v16
	v_add_co_ci_u32_e32 v19, vcc_lo, s31, v17, vcc_lo
	v_add_co_u32 v16, vcc_lo, s28, v16
	v_add_co_ci_u32_e32 v17, vcc_lo, s29, v17, vcc_lo
	global_load_b64 v[18:19], v[18:19], off
	global_load_b64 v[20:21], v[16:17], off
	s_waitcnt vmcnt(1)
	v_mul_f64 v[16:17], v[14:15], v[18:19]
	s_waitcnt vmcnt(0)
	v_sub_co_u32 v18, vcc_lo, v20, s15
	v_subrev_co_ci_u32_e32 v19, vcc_lo, 0, v21, vcc_lo
	s_delay_alu instid0(VALU_DEP_2) | instskip(NEXT) | instid1(VALU_DEP_1)
	v_lshl_add_u32 v20, v18, 3, v18
	v_and_b32_e32 v27, 15, v20
	s_branch .LBB100_18
.LBB100_17:                             ;   in Loop: Header=BB100_18 Depth=3
	s_or_b32 exec_lo, exec_lo, s33
	s_xor_b32 s33, s34, -1
	s_delay_alu instid0(SALU_CYCLE_1) | instskip(NEXT) | instid1(SALU_CYCLE_1)
	s_and_b32 s33, exec_lo, s33
	s_or_b32 s25, s33, s25
	s_delay_alu instid0(SALU_CYCLE_1)
	s_and_not1_b32 exec_lo, exec_lo, s25
	s_cbranch_execz .LBB100_15
.LBB100_18:                             ;   Parent Loop BB100_13 Depth=1
                                        ;     Parent Loop BB100_16 Depth=2
                                        ; =>    This Loop Header: Depth=3
                                        ;         Child Loop BB100_24 Depth 4
                                        ;         Child Loop BB100_30 Depth 4
	s_delay_alu instid0(VALU_DEP_1)
	v_lshl_add_u32 v28, v27, 3, v24
	s_mov_b32 s33, exec_lo
                                        ; implicit-def: $sgpr34
	ds_load_b64 v[20:21], v28
	s_waitcnt lgkmcnt(0)
	v_cmpx_ne_u64_e64 v[20:21], v[18:19]
	s_xor_b32 s33, exec_lo, s33
	s_cbranch_execz .LBB100_28
; %bb.19:                               ;   in Loop: Header=BB100_18 Depth=3
	s_mov_b32 s35, exec_lo
                                        ; implicit-def: $sgpr34
	v_cmpx_ne_u64_e64 s[2:3], v[20:21]
	s_xor_b32 s35, exec_lo, s35
; %bb.20:                               ;   in Loop: Header=BB100_18 Depth=3
	v_add_nc_u32_e32 v20, 1, v27
	s_mov_b32 s34, -1
                                        ; implicit-def: $vgpr28
	s_delay_alu instid0(VALU_DEP_1)
	v_and_b32_e32 v27, 15, v20
; %bb.21:                               ;   in Loop: Header=BB100_18 Depth=3
	s_and_not1_saveexec_b32 s35, s35
	s_cbranch_execz .LBB100_27
; %bb.22:                               ;   in Loop: Header=BB100_18 Depth=3
	v_dual_mov_b32 v21, s3 :: v_dual_mov_b32 v20, s2
	s_mov_b32 s37, -1
	s_mov_b32 s36, exec_lo
	ds_cmpstore_rtn_b64 v[20:21], v28, v[18:19], v[20:21]
	s_waitcnt lgkmcnt(0)
	v_cmpx_eq_u64_e64 s[2:3], v[20:21]
	s_cbranch_execz .LBB100_26
; %bb.23:                               ;   in Loop: Header=BB100_18 Depth=3
	v_lshl_add_u32 v28, v27, 3, v25
	s_mov_b32 s37, 0
	ds_load_b64 v[20:21], v28
.LBB100_24:                             ;   Parent Loop BB100_13 Depth=1
                                        ;     Parent Loop BB100_16 Depth=2
                                        ;       Parent Loop BB100_18 Depth=3
                                        ; =>      This Inner Loop Header: Depth=4
	s_waitcnt lgkmcnt(0)
	v_add_f64 v[29:30], v[20:21], v[16:17]
	ds_cmpstore_rtn_b64 v[29:30], v28, v[29:30], v[20:21]
	s_waitcnt lgkmcnt(0)
	v_cmp_eq_u64_e32 vcc_lo, v[29:30], v[20:21]
	v_dual_mov_b32 v20, v29 :: v_dual_mov_b32 v21, v30
	s_or_b32 s37, vcc_lo, s37
	s_delay_alu instid0(SALU_CYCLE_1)
	s_and_not1_b32 exec_lo, exec_lo, s37
	s_cbranch_execnz .LBB100_24
; %bb.25:                               ;   in Loop: Header=BB100_18 Depth=3
	s_or_b32 exec_lo, exec_lo, s37
	s_delay_alu instid0(SALU_CYCLE_1)
	s_xor_b32 s37, exec_lo, -1
.LBB100_26:                             ;   in Loop: Header=BB100_18 Depth=3
	s_or_b32 exec_lo, exec_lo, s36
	s_delay_alu instid0(SALU_CYCLE_1) | instskip(SKIP_1) | instid1(SALU_CYCLE_1)
	s_and_not1_b32 s34, s34, exec_lo
	s_and_b32 s36, s37, exec_lo
	s_or_b32 s34, s34, s36
.LBB100_27:                             ;   in Loop: Header=BB100_18 Depth=3
	s_or_b32 exec_lo, exec_lo, s35
	s_delay_alu instid0(SALU_CYCLE_1)
	s_and_b32 s34, s34, exec_lo
.LBB100_28:                             ;   in Loop: Header=BB100_18 Depth=3
	s_and_not1_saveexec_b32 s33, s33
	s_cbranch_execz .LBB100_17
; %bb.29:                               ;   in Loop: Header=BB100_18 Depth=3
	v_lshl_add_u32 v28, v27, 3, v25
	s_mov_b32 s35, 0
	ds_load_b64 v[20:21], v28
.LBB100_30:                             ;   Parent Loop BB100_13 Depth=1
                                        ;     Parent Loop BB100_16 Depth=2
                                        ;       Parent Loop BB100_18 Depth=3
                                        ; =>      This Inner Loop Header: Depth=4
	s_waitcnt lgkmcnt(0)
	v_add_f64 v[29:30], v[20:21], v[16:17]
	ds_cmpstore_rtn_b64 v[29:30], v28, v[29:30], v[20:21]
	s_waitcnt lgkmcnt(0)
	v_cmp_eq_u64_e32 vcc_lo, v[29:30], v[20:21]
	v_dual_mov_b32 v20, v29 :: v_dual_mov_b32 v21, v30
	s_or_b32 s35, vcc_lo, s35
	s_delay_alu instid0(SALU_CYCLE_1)
	s_and_not1_b32 exec_lo, exec_lo, s35
	s_cbranch_execnz .LBB100_30
; %bb.31:                               ;   in Loop: Header=BB100_18 Depth=3
	s_or_b32 exec_lo, exec_lo, s35
	s_delay_alu instid0(SALU_CYCLE_1)
	s_and_not1_b32 s34, s34, exec_lo
	s_branch .LBB100_17
.LBB100_32:
	s_or_b32 exec_lo, exec_lo, s0
.LBB100_33:
	s_delay_alu instid0(SALU_CYCLE_1)
	s_and_not1_b32 vcc_lo, exec_lo, s14
	s_cbranch_vccnz .LBB100_54
; %bb.34:
	v_add_co_u32 v0, vcc_lo, s4, v6
	v_add_co_ci_u32_e32 v1, vcc_lo, s5, v7, vcc_lo
	v_sub_co_u32 v2, s0, v26, s27
	s_delay_alu instid0(VALU_DEP_1)
	v_sub_co_ci_u32_e64 v3, null, 0, 0, s0
	global_load_b128 v[8:11], v[0:1], off
	s_mov_b32 s0, 0
	s_mov_b32 s1, exec_lo
	s_waitcnt vmcnt(0)
	v_sub_co_u32 v0, vcc_lo, v10, s27
	v_subrev_co_ci_u32_e32 v1, vcc_lo, 0, v11, vcc_lo
	v_add_co_u32 v2, vcc_lo, v8, v2
	v_add_co_ci_u32_e32 v3, vcc_lo, v9, v3, vcc_lo
	s_delay_alu instid0(VALU_DEP_1)
	v_cmpx_lt_i64_e64 v[2:3], v[0:1]
	s_cbranch_execz .LBB100_53
; %bb.35:
	s_mov_b32 s4, s27
	s_branch .LBB100_37
.LBB100_36:                             ;   in Loop: Header=BB100_37 Depth=1
	s_or_b32 exec_lo, exec_lo, s5
	v_add_co_u32 v2, vcc_lo, v2, 8
	v_add_co_ci_u32_e32 v3, vcc_lo, 0, v3, vcc_lo
	s_delay_alu instid0(VALU_DEP_1) | instskip(SKIP_1) | instid1(SALU_CYCLE_1)
	v_cmp_ge_i64_e32 vcc_lo, v[2:3], v[0:1]
	s_or_b32 s0, vcc_lo, s0
	s_and_not1_b32 exec_lo, exec_lo, s0
	s_cbranch_execz .LBB100_53
.LBB100_37:                             ; =>This Loop Header: Depth=1
                                        ;     Child Loop BB100_39 Depth 2
                                        ;       Child Loop BB100_45 Depth 3
                                        ;       Child Loop BB100_51 Depth 3
	v_lshlrev_b64 v[8:9], 3, v[2:3]
	s_mov_b32 s5, 0
	s_delay_alu instid0(VALU_DEP_1) | instskip(NEXT) | instid1(VALU_DEP_2)
	v_add_co_u32 v10, vcc_lo, s8, v8
	v_add_co_ci_u32_e32 v11, vcc_lo, s9, v9, vcc_lo
	v_add_co_u32 v8, vcc_lo, s6, v8
	v_add_co_ci_u32_e32 v9, vcc_lo, s7, v9, vcc_lo
	global_load_b64 v[10:11], v[10:11], off
	global_load_b64 v[12:13], v[8:9], off
	s_waitcnt vmcnt(1)
	v_mul_f64 v[8:9], v[4:5], v[10:11]
	s_waitcnt vmcnt(0)
	v_sub_co_u32 v10, vcc_lo, v12, s4
	v_subrev_co_ci_u32_e32 v11, vcc_lo, 0, v13, vcc_lo
	s_delay_alu instid0(VALU_DEP_2) | instskip(NEXT) | instid1(VALU_DEP_1)
	v_lshl_add_u32 v12, v10, 3, v10
	v_and_b32_e32 v14, 15, v12
	s_branch .LBB100_39
.LBB100_38:                             ;   in Loop: Header=BB100_39 Depth=2
	s_or_b32 exec_lo, exec_lo, s14
	s_xor_b32 s14, s15, -1
	s_delay_alu instid0(SALU_CYCLE_1) | instskip(NEXT) | instid1(SALU_CYCLE_1)
	s_and_b32 s14, exec_lo, s14
	s_or_b32 s5, s14, s5
	s_delay_alu instid0(SALU_CYCLE_1)
	s_and_not1_b32 exec_lo, exec_lo, s5
	s_cbranch_execz .LBB100_36
.LBB100_39:                             ;   Parent Loop BB100_37 Depth=1
                                        ; =>  This Loop Header: Depth=2
                                        ;       Child Loop BB100_45 Depth 3
                                        ;       Child Loop BB100_51 Depth 3
	s_delay_alu instid0(VALU_DEP_1)
	v_lshl_add_u32 v15, v14, 3, v24
	s_mov_b32 s14, exec_lo
                                        ; implicit-def: $sgpr15
	ds_load_b64 v[12:13], v15
	s_waitcnt lgkmcnt(0)
	v_cmpx_ne_u64_e64 v[12:13], v[10:11]
	s_xor_b32 s14, exec_lo, s14
	s_cbranch_execz .LBB100_49
; %bb.40:                               ;   in Loop: Header=BB100_39 Depth=2
	s_mov_b32 s16, exec_lo
                                        ; implicit-def: $sgpr15
	v_cmpx_ne_u64_e64 s[2:3], v[12:13]
	s_xor_b32 s16, exec_lo, s16
; %bb.41:                               ;   in Loop: Header=BB100_39 Depth=2
	v_add_nc_u32_e32 v12, 1, v14
	s_mov_b32 s15, -1
                                        ; implicit-def: $vgpr15
	s_delay_alu instid0(VALU_DEP_1)
	v_and_b32_e32 v14, 15, v12
; %bb.42:                               ;   in Loop: Header=BB100_39 Depth=2
	s_and_not1_saveexec_b32 s16, s16
	s_cbranch_execz .LBB100_48
; %bb.43:                               ;   in Loop: Header=BB100_39 Depth=2
	v_dual_mov_b32 v13, s3 :: v_dual_mov_b32 v12, s2
	s_mov_b32 s18, -1
	s_mov_b32 s17, exec_lo
	ds_cmpstore_rtn_b64 v[12:13], v15, v[10:11], v[12:13]
	s_waitcnt lgkmcnt(0)
	v_cmpx_eq_u64_e64 s[2:3], v[12:13]
	s_cbranch_execz .LBB100_47
; %bb.44:                               ;   in Loop: Header=BB100_39 Depth=2
	v_lshl_add_u32 v15, v14, 3, v25
	s_mov_b32 s18, 0
	ds_load_b64 v[12:13], v15
.LBB100_45:                             ;   Parent Loop BB100_37 Depth=1
                                        ;     Parent Loop BB100_39 Depth=2
                                        ; =>    This Inner Loop Header: Depth=3
	s_waitcnt lgkmcnt(0)
	v_add_f64 v[16:17], v[12:13], v[8:9]
	ds_cmpstore_rtn_b64 v[16:17], v15, v[16:17], v[12:13]
	s_waitcnt lgkmcnt(0)
	v_cmp_eq_u64_e32 vcc_lo, v[16:17], v[12:13]
	v_dual_mov_b32 v12, v16 :: v_dual_mov_b32 v13, v17
	s_or_b32 s18, vcc_lo, s18
	s_delay_alu instid0(SALU_CYCLE_1)
	s_and_not1_b32 exec_lo, exec_lo, s18
	s_cbranch_execnz .LBB100_45
; %bb.46:                               ;   in Loop: Header=BB100_39 Depth=2
	s_or_b32 exec_lo, exec_lo, s18
	s_delay_alu instid0(SALU_CYCLE_1)
	s_xor_b32 s18, exec_lo, -1
.LBB100_47:                             ;   in Loop: Header=BB100_39 Depth=2
	s_or_b32 exec_lo, exec_lo, s17
	s_delay_alu instid0(SALU_CYCLE_1) | instskip(SKIP_1) | instid1(SALU_CYCLE_1)
	s_and_not1_b32 s15, s15, exec_lo
	s_and_b32 s17, s18, exec_lo
	s_or_b32 s15, s15, s17
.LBB100_48:                             ;   in Loop: Header=BB100_39 Depth=2
	s_or_b32 exec_lo, exec_lo, s16
	s_delay_alu instid0(SALU_CYCLE_1)
	s_and_b32 s15, s15, exec_lo
.LBB100_49:                             ;   in Loop: Header=BB100_39 Depth=2
	s_and_not1_saveexec_b32 s14, s14
	s_cbranch_execz .LBB100_38
; %bb.50:                               ;   in Loop: Header=BB100_39 Depth=2
	v_lshl_add_u32 v15, v14, 3, v25
	s_mov_b32 s16, 0
	ds_load_b64 v[12:13], v15
.LBB100_51:                             ;   Parent Loop BB100_37 Depth=1
                                        ;     Parent Loop BB100_39 Depth=2
                                        ; =>    This Inner Loop Header: Depth=3
	s_waitcnt lgkmcnt(0)
	v_add_f64 v[16:17], v[12:13], v[8:9]
	ds_cmpstore_rtn_b64 v[16:17], v15, v[16:17], v[12:13]
	s_waitcnt lgkmcnt(0)
	v_cmp_eq_u64_e32 vcc_lo, v[16:17], v[12:13]
	v_dual_mov_b32 v12, v16 :: v_dual_mov_b32 v13, v17
	s_or_b32 s16, vcc_lo, s16
	s_delay_alu instid0(SALU_CYCLE_1)
	s_and_not1_b32 exec_lo, exec_lo, s16
	s_cbranch_execnz .LBB100_51
; %bb.52:                               ;   in Loop: Header=BB100_39 Depth=2
	s_or_b32 exec_lo, exec_lo, s16
	s_delay_alu instid0(SALU_CYCLE_1)
	s_and_not1_b32 s15, s15, exec_lo
	s_branch .LBB100_38
.LBB100_53:
	s_or_b32 exec_lo, exec_lo, s1
.LBB100_54:
	v_add_co_u32 v0, vcc_lo, s10, v6
	v_add_co_ci_u32_e32 v1, vcc_lo, s11, v7, vcc_lo
	buffer_gl0_inv
	s_mov_b32 s0, 0
	global_load_b64 v[0:1], v[0:1], off
	s_waitcnt vmcnt(0)
	v_sub_co_u32 v0, vcc_lo, v0, s26
	v_subrev_co_ci_u32_e32 v1, vcc_lo, 0, v1, vcc_lo
	s_delay_alu instid0(VALU_DEP_1) | instskip(NEXT) | instid1(VALU_DEP_1)
	v_lshlrev_b64 v[0:1], 3, v[0:1]
	v_add_co_u32 v2, vcc_lo, s12, v0
	s_delay_alu instid0(VALU_DEP_2)
	v_add_co_ci_u32_e32 v3, vcc_lo, s13, v1, vcc_lo
	s_branch .LBB100_56
.LBB100_55:                             ;   in Loop: Header=BB100_56 Depth=1
	s_or_b32 exec_lo, exec_lo, s1
	v_add_co_u32 v23, s1, v23, 8
	s_delay_alu instid0(VALU_DEP_1) | instskip(SKIP_2) | instid1(SALU_CYCLE_1)
	s_xor_b32 s1, s1, -1
	v_add_nc_u32_e32 v22, 64, v22
	s_and_b32 s1, exec_lo, s1
	s_or_b32 s0, s1, s0
	s_delay_alu instid0(SALU_CYCLE_1)
	s_and_not1_b32 exec_lo, exec_lo, s0
	s_cbranch_execz .LBB100_58
.LBB100_56:                             ; =>This Inner Loop Header: Depth=1
	ds_load_b64 v[0:1], v22 offset:4096
	s_mov_b32 s1, exec_lo
	s_waitcnt lgkmcnt(0)
	v_cmpx_gt_i64_e64 s[2:3], v[0:1]
	s_cbranch_execz .LBB100_55
; %bb.57:                               ;   in Loop: Header=BB100_56 Depth=1
	ds_load_b128 v[4:7], v24
	ds_load_b128 v[8:11], v24 offset:16
	ds_load_b128 v[12:15], v24 offset:32
	;; [unrolled: 1-line block ×7, first 2 shown]
	ds_load_b64 v[20:21], v22
	s_waitcnt lgkmcnt(8)
	v_cmp_gt_i64_e32 vcc_lo, v[0:1], v[4:5]
	v_cndmask_b32_e64 v4, 0, 1, vcc_lo
	v_cmp_gt_i64_e32 vcc_lo, v[0:1], v[6:7]
	s_delay_alu instid0(VALU_DEP_2) | instskip(SKIP_3) | instid1(VALU_DEP_2)
	v_lshlrev_b32_e32 v4, 3, v4
	v_cndmask_b32_e64 v5, 0, 1, vcc_lo
	s_waitcnt lgkmcnt(7)
	v_cmp_gt_i64_e32 vcc_lo, v[0:1], v[8:9]
	v_lshlrev_b32_e32 v5, 3, v5
	v_cndmask_b32_e64 v6, 0, 1, vcc_lo
	v_cmp_gt_i64_e32 vcc_lo, v[0:1], v[10:11]
	s_delay_alu instid0(VALU_DEP_2) | instskip(SKIP_3) | instid1(VALU_DEP_2)
	v_lshlrev_b32_e32 v6, 3, v6
	v_cndmask_b32_e64 v7, 0, 1, vcc_lo
	s_waitcnt lgkmcnt(6)
	v_cmp_gt_i64_e32 vcc_lo, v[0:1], v[12:13]
	v_lshlrev_b32_e32 v7, 3, v7
	v_cndmask_b32_e64 v8, 0, 1, vcc_lo
	v_cmp_gt_i64_e32 vcc_lo, v[0:1], v[14:15]
	v_cndmask_b32_e64 v9, 0, 1, vcc_lo
	s_waitcnt lgkmcnt(5)
	v_cmp_gt_i64_e32 vcc_lo, v[0:1], v[16:17]
	v_cndmask_b32_e64 v10, 0, 1, vcc_lo
	v_cmp_gt_i64_e32 vcc_lo, v[0:1], v[18:19]
	v_cndmask_b32_e64 v11, 0, 1, vcc_lo
	v_add_co_u32 v4, vcc_lo, v2, v4
	v_add_co_ci_u32_e32 v12, vcc_lo, 0, v3, vcc_lo
	s_delay_alu instid0(VALU_DEP_2) | instskip(NEXT) | instid1(VALU_DEP_2)
	v_add_co_u32 v4, vcc_lo, v4, v5
	v_add_co_ci_u32_e32 v5, vcc_lo, 0, v12, vcc_lo
	s_delay_alu instid0(VALU_DEP_2) | instskip(NEXT) | instid1(VALU_DEP_2)
	v_add_co_u32 v4, vcc_lo, v4, v6
	v_add_co_ci_u32_e32 v5, vcc_lo, 0, v5, vcc_lo
	v_lshlrev_b32_e32 v6, 3, v8
	s_delay_alu instid0(VALU_DEP_3) | instskip(NEXT) | instid1(VALU_DEP_3)
	v_add_co_u32 v4, vcc_lo, v4, v7
	v_add_co_ci_u32_e32 v5, vcc_lo, 0, v5, vcc_lo
	v_lshlrev_b32_e32 v7, 3, v9
	s_delay_alu instid0(VALU_DEP_3) | instskip(NEXT) | instid1(VALU_DEP_3)
	;; [unrolled: 4-line block ×4, first 2 shown]
	v_add_co_u32 v4, vcc_lo, v4, v6
	v_add_co_ci_u32_e32 v5, vcc_lo, 0, v5, vcc_lo
	s_waitcnt lgkmcnt(4)
	v_cmp_gt_i64_e32 vcc_lo, v[0:1], v[25:26]
	v_cndmask_b32_e64 v6, 0, 1, vcc_lo
	v_add_co_u32 v4, vcc_lo, v4, v7
	v_add_co_ci_u32_e32 v5, vcc_lo, 0, v5, vcc_lo
	v_cmp_gt_i64_e32 vcc_lo, v[0:1], v[27:28]
	s_delay_alu instid0(VALU_DEP_4)
	v_lshlrev_b32_e32 v6, 3, v6
	v_cndmask_b32_e64 v7, 0, 1, vcc_lo
	s_waitcnt lgkmcnt(3)
	v_cmp_gt_i64_e32 vcc_lo, v[0:1], v[29:30]
	v_cndmask_b32_e64 v8, 0, 1, vcc_lo
	v_add_co_u32 v4, vcc_lo, v4, v6
	v_add_co_ci_u32_e32 v5, vcc_lo, 0, v5, vcc_lo
	v_cmp_gt_i64_e32 vcc_lo, v[0:1], v[31:32]
	v_lshlrev_b32_e32 v6, 3, v7
	v_lshlrev_b32_e32 v7, 3, v8
	v_cndmask_b32_e64 v8, 0, 1, vcc_lo
	s_delay_alu instid0(VALU_DEP_3) | instskip(SKIP_1) | instid1(VALU_DEP_3)
	v_add_co_u32 v4, vcc_lo, v4, v6
	v_add_co_ci_u32_e32 v5, vcc_lo, 0, v5, vcc_lo
	v_lshlrev_b32_e32 v6, 3, v8
	s_delay_alu instid0(VALU_DEP_3) | instskip(NEXT) | instid1(VALU_DEP_3)
	v_add_co_u32 v4, vcc_lo, v4, v7
	v_add_co_ci_u32_e32 v5, vcc_lo, 0, v5, vcc_lo
	s_waitcnt lgkmcnt(2)
	v_cmp_gt_i64_e32 vcc_lo, v[0:1], v[33:34]
	v_cndmask_b32_e64 v7, 0, 1, vcc_lo
	v_add_co_u32 v4, vcc_lo, v4, v6
	v_add_co_ci_u32_e32 v5, vcc_lo, 0, v5, vcc_lo
	v_cmp_gt_i64_e32 vcc_lo, v[0:1], v[35:36]
	s_delay_alu instid0(VALU_DEP_4)
	v_lshlrev_b32_e32 v6, 3, v7
	v_cndmask_b32_e64 v7, 0, 1, vcc_lo
	s_waitcnt lgkmcnt(1)
	v_cmp_gt_i64_e32 vcc_lo, v[0:1], v[37:38]
	v_cndmask_b32_e64 v8, 0, 1, vcc_lo
	v_add_co_u32 v4, vcc_lo, v4, v6
	v_add_co_ci_u32_e32 v5, vcc_lo, 0, v5, vcc_lo
	v_cmp_gt_i64_e32 vcc_lo, v[0:1], v[39:40]
	v_lshlrev_b32_e32 v6, 3, v7
	v_lshlrev_b32_e32 v7, 3, v8
	v_cndmask_b32_e64 v0, 0, 1, vcc_lo
	s_delay_alu instid0(VALU_DEP_3) | instskip(SKIP_1) | instid1(VALU_DEP_3)
	v_add_co_u32 v1, vcc_lo, v4, v6
	v_add_co_ci_u32_e32 v4, vcc_lo, 0, v5, vcc_lo
	v_lshlrev_b32_e32 v0, 3, v0
	s_delay_alu instid0(VALU_DEP_3) | instskip(NEXT) | instid1(VALU_DEP_3)
	v_add_co_u32 v1, vcc_lo, v1, v7
	v_add_co_ci_u32_e32 v4, vcc_lo, 0, v4, vcc_lo
	s_delay_alu instid0(VALU_DEP_2) | instskip(NEXT) | instid1(VALU_DEP_2)
	v_add_co_u32 v0, vcc_lo, v1, v0
	v_add_co_ci_u32_e32 v1, vcc_lo, 0, v4, vcc_lo
	s_waitcnt lgkmcnt(0)
	global_store_b64 v[0:1], v[20:21], off
	s_branch .LBB100_55
.LBB100_58:
	s_nop 0
	s_sendmsg sendmsg(MSG_DEALLOC_VGPRS)
	s_endpgm
	.section	.rodata,"a",@progbits
	.p2align	6, 0x0
	.amdhsa_kernel _ZN9rocsparseL38csrgemm_numeric_fill_wf_per_row_kernelILj256ELj8ELj16ELj137ElldEEvT4_S1_PKS1_S3_NS_24const_host_device_scalarIT5_EEPKT3_S3_PKS5_S9_S3_SB_S6_S9_S3_SB_S9_S3_PS5_21rocsparse_index_base_SD_SD_SD_bbb
		.amdhsa_group_segment_fixed_size 8192
		.amdhsa_private_segment_fixed_size 0
		.amdhsa_kernarg_size 164
		.amdhsa_user_sgpr_count 15
		.amdhsa_user_sgpr_dispatch_ptr 0
		.amdhsa_user_sgpr_queue_ptr 0
		.amdhsa_user_sgpr_kernarg_segment_ptr 1
		.amdhsa_user_sgpr_dispatch_id 0
		.amdhsa_user_sgpr_private_segment_size 0
		.amdhsa_wavefront_size32 1
		.amdhsa_uses_dynamic_stack 0
		.amdhsa_enable_private_segment 0
		.amdhsa_system_sgpr_workgroup_id_x 1
		.amdhsa_system_sgpr_workgroup_id_y 0
		.amdhsa_system_sgpr_workgroup_id_z 0
		.amdhsa_system_sgpr_workgroup_info 0
		.amdhsa_system_vgpr_workitem_id 0
		.amdhsa_next_free_vgpr 41
		.amdhsa_next_free_sgpr 42
		.amdhsa_reserve_vcc 1
		.amdhsa_float_round_mode_32 0
		.amdhsa_float_round_mode_16_64 0
		.amdhsa_float_denorm_mode_32 3
		.amdhsa_float_denorm_mode_16_64 3
		.amdhsa_dx10_clamp 1
		.amdhsa_ieee_mode 1
		.amdhsa_fp16_overflow 0
		.amdhsa_workgroup_processor_mode 1
		.amdhsa_memory_ordered 1
		.amdhsa_forward_progress 0
		.amdhsa_shared_vgpr_count 0
		.amdhsa_exception_fp_ieee_invalid_op 0
		.amdhsa_exception_fp_denorm_src 0
		.amdhsa_exception_fp_ieee_div_zero 0
		.amdhsa_exception_fp_ieee_overflow 0
		.amdhsa_exception_fp_ieee_underflow 0
		.amdhsa_exception_fp_ieee_inexact 0
		.amdhsa_exception_int_div_zero 0
	.end_amdhsa_kernel
	.section	.text._ZN9rocsparseL38csrgemm_numeric_fill_wf_per_row_kernelILj256ELj8ELj16ELj137ElldEEvT4_S1_PKS1_S3_NS_24const_host_device_scalarIT5_EEPKT3_S3_PKS5_S9_S3_SB_S6_S9_S3_SB_S9_S3_PS5_21rocsparse_index_base_SD_SD_SD_bbb,"axG",@progbits,_ZN9rocsparseL38csrgemm_numeric_fill_wf_per_row_kernelILj256ELj8ELj16ELj137ElldEEvT4_S1_PKS1_S3_NS_24const_host_device_scalarIT5_EEPKT3_S3_PKS5_S9_S3_SB_S6_S9_S3_SB_S9_S3_PS5_21rocsparse_index_base_SD_SD_SD_bbb,comdat
.Lfunc_end100:
	.size	_ZN9rocsparseL38csrgemm_numeric_fill_wf_per_row_kernelILj256ELj8ELj16ELj137ElldEEvT4_S1_PKS1_S3_NS_24const_host_device_scalarIT5_EEPKT3_S3_PKS5_S9_S3_SB_S6_S9_S3_SB_S9_S3_PS5_21rocsparse_index_base_SD_SD_SD_bbb, .Lfunc_end100-_ZN9rocsparseL38csrgemm_numeric_fill_wf_per_row_kernelILj256ELj8ELj16ELj137ElldEEvT4_S1_PKS1_S3_NS_24const_host_device_scalarIT5_EEPKT3_S3_PKS5_S9_S3_SB_S6_S9_S3_SB_S9_S3_PS5_21rocsparse_index_base_SD_SD_SD_bbb
                                        ; -- End function
	.section	.AMDGPU.csdata,"",@progbits
; Kernel info:
; codeLenInByte = 2720
; NumSgprs: 44
; NumVgprs: 41
; ScratchSize: 0
; MemoryBound: 0
; FloatMode: 240
; IeeeMode: 1
; LDSByteSize: 8192 bytes/workgroup (compile time only)
; SGPRBlocks: 5
; VGPRBlocks: 5
; NumSGPRsForWavesPerEU: 44
; NumVGPRsForWavesPerEU: 41
; Occupancy: 16
; WaveLimiterHint : 1
; COMPUTE_PGM_RSRC2:SCRATCH_EN: 0
; COMPUTE_PGM_RSRC2:USER_SGPR: 15
; COMPUTE_PGM_RSRC2:TRAP_HANDLER: 0
; COMPUTE_PGM_RSRC2:TGID_X_EN: 1
; COMPUTE_PGM_RSRC2:TGID_Y_EN: 0
; COMPUTE_PGM_RSRC2:TGID_Z_EN: 0
; COMPUTE_PGM_RSRC2:TIDIG_COMP_CNT: 0
	.section	.text._ZN9rocsparseL38csrgemm_numeric_fill_wf_per_row_kernelILj256ELj16ELj32ELj137ElldEEvT4_S1_PKS1_S3_NS_24const_host_device_scalarIT5_EEPKT3_S3_PKS5_S9_S3_SB_S6_S9_S3_SB_S9_S3_PS5_21rocsparse_index_base_SD_SD_SD_bbb,"axG",@progbits,_ZN9rocsparseL38csrgemm_numeric_fill_wf_per_row_kernelILj256ELj16ELj32ELj137ElldEEvT4_S1_PKS1_S3_NS_24const_host_device_scalarIT5_EEPKT3_S3_PKS5_S9_S3_SB_S6_S9_S3_SB_S9_S3_PS5_21rocsparse_index_base_SD_SD_SD_bbb,comdat
	.globl	_ZN9rocsparseL38csrgemm_numeric_fill_wf_per_row_kernelILj256ELj16ELj32ELj137ElldEEvT4_S1_PKS1_S3_NS_24const_host_device_scalarIT5_EEPKT3_S3_PKS5_S9_S3_SB_S6_S9_S3_SB_S9_S3_PS5_21rocsparse_index_base_SD_SD_SD_bbb ; -- Begin function _ZN9rocsparseL38csrgemm_numeric_fill_wf_per_row_kernelILj256ELj16ELj32ELj137ElldEEvT4_S1_PKS1_S3_NS_24const_host_device_scalarIT5_EEPKT3_S3_PKS5_S9_S3_SB_S6_S9_S3_SB_S9_S3_PS5_21rocsparse_index_base_SD_SD_SD_bbb
	.p2align	8
	.type	_ZN9rocsparseL38csrgemm_numeric_fill_wf_per_row_kernelILj256ELj16ELj32ELj137ElldEEvT4_S1_PKS1_S3_NS_24const_host_device_scalarIT5_EEPKT3_S3_PKS5_S9_S3_SB_S6_S9_S3_SB_S9_S3_PS5_21rocsparse_index_base_SD_SD_SD_bbb,@function
_ZN9rocsparseL38csrgemm_numeric_fill_wf_per_row_kernelILj256ELj16ELj32ELj137ElldEEvT4_S1_PKS1_S3_NS_24const_host_device_scalarIT5_EEPKT3_S3_PKS5_S9_S3_SB_S6_S9_S3_SB_S9_S3_PS5_21rocsparse_index_base_SD_SD_SD_bbb: ; @_ZN9rocsparseL38csrgemm_numeric_fill_wf_per_row_kernelILj256ELj16ELj32ELj137ElldEEvT4_S1_PKS1_S3_NS_24const_host_device_scalarIT5_EEPKT3_S3_PKS5_S9_S3_SB_S6_S9_S3_SB_S9_S3_PS5_21rocsparse_index_base_SD_SD_SD_bbb
; %bb.0:
	s_clause 0x3
	s_load_b32 s14, s[0:1], 0xa0
	s_load_b64 s[4:5], s[0:1], 0x20
	s_load_b128 s[24:27], s[0:1], 0x90
	s_load_b64 s[2:3], s[0:1], 0x58
	s_waitcnt lgkmcnt(0)
	s_and_b32 s6, 1, s14
	s_bitcmp1_b32 s14, 16
	s_cselect_b32 s34, -1, 0
	s_cmp_eq_u32 s6, 1
	s_cselect_b32 s33, -1, 0
	s_delay_alu instid0(SALU_CYCLE_1)
	s_and_b32 s6, s33, exec_lo
	s_cselect_b32 s7, s5, 0
	s_cselect_b32 s6, s4, 0
	s_xor_b32 s8, s33, -1
	v_dual_mov_b32 v9, s7 :: v_dual_mov_b32 v8, s6
	s_or_b32 s8, s8, s34
	s_delay_alu instid0(SALU_CYCLE_1)
	s_and_b32 vcc_lo, exec_lo, s8
	s_cbranch_vccnz .LBB101_2
; %bb.1:
	v_dual_mov_b32 v1, s4 :: v_dual_mov_b32 v2, s5
	flat_load_b64 v[8:9], v[1:2]
.LBB101_2:
	s_clause 0x4
	s_load_b64 s[12:13], s[0:1], 0x88
	s_load_b256 s[4:11], s[0:1], 0x60
	s_load_b128 s[28:31], s[0:1], 0x48
	s_load_b128 s[36:39], s[0:1], 0x10
	s_load_b256 s[16:23], s[0:1], 0x28
	s_bitcmp1_b32 s14, 8
	s_cselect_b32 s14, -1, 0
	s_delay_alu instid0(SALU_CYCLE_1)
	s_and_b32 s35, s14, exec_lo
	s_cselect_b32 s41, s3, 0
	s_cselect_b32 s40, s2, 0
	s_xor_b32 s35, s14, -1
	v_dual_mov_b32 v4, s40 :: v_dual_mov_b32 v5, s41
	s_or_b32 s34, s35, s34
	s_delay_alu instid0(SALU_CYCLE_1)
	s_and_b32 vcc_lo, exec_lo, s34
	s_cbranch_vccnz .LBB101_4
; %bb.3:
	v_dual_mov_b32 v1, s2 :: v_dual_mov_b32 v2, s3
	flat_load_b64 v[4:5], v[1:2]
.LBB101_4:
	s_load_b128 s[0:3], s[0:1], 0x0
	v_and_b32_e32 v26, 15, v0
	v_lshrrev_b32_e32 v6, 4, v0
	s_mov_b32 s34, 0
	s_delay_alu instid0(VALU_DEP_2) | instskip(NEXT) | instid1(VALU_DEP_1)
	v_dual_mov_b32 v0, 0 :: v_dual_lshlrev_b32 v1, 3, v26
	v_lshl_or_b32 v22, v6, 8, v1
	s_delay_alu instid0(VALU_DEP_2) | instskip(SKIP_1) | instid1(VALU_DEP_1)
	v_mov_b32_e32 v1, v0
	v_or_b32_e32 v23, -16, v26
	v_dual_mov_b32 v7, v22 :: v_dual_mov_b32 v10, v23
	s_waitcnt lgkmcnt(0)
	v_dual_mov_b32 v2, s2 :: v_dual_mov_b32 v3, s3
.LBB101_5:                              ; =>This Inner Loop Header: Depth=1
	s_delay_alu instid0(VALU_DEP_2) | instskip(NEXT) | instid1(VALU_DEP_1)
	v_add_co_u32 v10, s35, v10, 16
	s_xor_b32 s35, s35, -1
	ds_store_2addr_stride64_b64 v7, v[0:1], v[2:3] offset1:8
	v_add_nc_u32_e32 v7, 0x80, v7
	s_and_b32 s35, exec_lo, s35
	s_delay_alu instid0(SALU_CYCLE_1) | instskip(NEXT) | instid1(SALU_CYCLE_1)
	s_or_b32 s34, s35, s34
	s_and_not1_b32 exec_lo, exec_lo, s34
	s_cbranch_execnz .LBB101_5
; %bb.6:
	s_or_b32 exec_lo, exec_lo, s34
	s_lshl_b32 s15, s15, 4
	v_mov_b32_e32 v1, 0
	v_and_or_b32 v0, 0xffffff0, s15, v6
	s_waitcnt vmcnt(0) lgkmcnt(0)
	buffer_gl0_inv
	v_cmp_gt_i64_e32 vcc_lo, s[0:1], v[0:1]
	s_and_saveexec_b32 s0, vcc_lo
	s_cbranch_execz .LBB101_58
; %bb.7:
	s_cmp_eq_u64 s[38:39], 0
	s_cbranch_scc1 .LBB101_9
; %bb.8:
	s_load_b64 s[0:1], s[36:37], 0x0
	v_lshlrev_b32_e32 v0, 3, v0
	s_waitcnt lgkmcnt(0)
	s_lshl_b64 s[0:1], s[0:1], 3
	s_delay_alu instid0(SALU_CYCLE_1)
	s_add_u32 s0, s38, s0
	s_addc_u32 s1, s39, s1
	global_load_b64 v[0:1], v0, s[0:1]
.LBB101_9:
	v_lshlrev_b32_e32 v25, 8, v6
	s_waitcnt vmcnt(0)
	v_lshlrev_b64 v[6:7], 3, v[0:1]
	s_and_not1_b32 vcc_lo, exec_lo, s33
	s_delay_alu instid0(VALU_DEP_2)
	v_or_b32_e32 v24, 0x1000, v25
	s_cbranch_vccnz .LBB101_33
; %bb.10:
	s_delay_alu instid0(VALU_DEP_2) | instskip(NEXT) | instid1(VALU_DEP_3)
	v_add_co_u32 v0, vcc_lo, s16, v6
	v_add_co_ci_u32_e32 v1, vcc_lo, s17, v7, vcc_lo
	v_sub_co_u32 v12, s0, v26, s24
	s_delay_alu instid0(VALU_DEP_1)
	v_sub_co_ci_u32_e64 v13, null, 0, 0, s0
	global_load_b128 v[0:3], v[0:1], off
	s_mov_b32 s1, 0
	s_mov_b32 s0, exec_lo
	s_waitcnt vmcnt(0)
	v_sub_co_u32 v10, vcc_lo, v2, s24
	v_subrev_co_ci_u32_e32 v11, vcc_lo, 0, v3, vcc_lo
	v_add_co_u32 v12, vcc_lo, v0, v12
	v_add_co_ci_u32_e32 v13, vcc_lo, v1, v13, vcc_lo
	s_delay_alu instid0(VALU_DEP_1)
	v_cmpx_lt_i64_e64 v[12:13], v[10:11]
	s_cbranch_execz .LBB101_32
; %bb.11:
	s_mov_b32 s15, s25
	s_branch .LBB101_13
.LBB101_12:                             ;   in Loop: Header=BB101_13 Depth=1
	s_or_b32 exec_lo, exec_lo, s16
	v_add_co_u32 v12, vcc_lo, v12, 16
	v_add_co_ci_u32_e32 v13, vcc_lo, 0, v13, vcc_lo
	s_delay_alu instid0(VALU_DEP_1) | instskip(SKIP_1) | instid1(SALU_CYCLE_1)
	v_cmp_ge_i64_e32 vcc_lo, v[12:13], v[10:11]
	s_or_b32 s1, vcc_lo, s1
	s_and_not1_b32 exec_lo, exec_lo, s1
	s_cbranch_execz .LBB101_32
.LBB101_13:                             ; =>This Loop Header: Depth=1
                                        ;     Child Loop BB101_16 Depth 2
                                        ;       Child Loop BB101_18 Depth 3
                                        ;         Child Loop BB101_24 Depth 4
                                        ;         Child Loop BB101_30 Depth 4
	v_lshlrev_b64 v[14:15], 3, v[12:13]
	s_mov_b32 s16, exec_lo
	s_delay_alu instid0(VALU_DEP_1) | instskip(NEXT) | instid1(VALU_DEP_2)
	v_add_co_u32 v0, vcc_lo, s18, v14
	v_add_co_ci_u32_e32 v1, vcc_lo, s19, v15, vcc_lo
	global_load_b64 v[0:1], v[0:1], off
	s_waitcnt vmcnt(0)
	v_sub_co_u32 v0, vcc_lo, v0, s24
	v_subrev_co_ci_u32_e32 v1, vcc_lo, 0, v1, vcc_lo
	s_delay_alu instid0(VALU_DEP_1) | instskip(NEXT) | instid1(VALU_DEP_1)
	v_lshlrev_b64 v[0:1], 3, v[0:1]
	v_add_co_u32 v0, vcc_lo, s22, v0
	s_delay_alu instid0(VALU_DEP_2)
	v_add_co_ci_u32_e32 v1, vcc_lo, s23, v1, vcc_lo
	global_load_b128 v[0:3], v[0:1], off
	s_waitcnt vmcnt(0)
	v_cmpx_lt_i64_e64 v[0:1], v[2:3]
	s_cbranch_execz .LBB101_12
; %bb.14:                               ;   in Loop: Header=BB101_13 Depth=1
	v_add_co_u32 v14, vcc_lo, s20, v14
	v_add_co_ci_u32_e32 v15, vcc_lo, s21, v15, vcc_lo
	v_sub_co_u32 v2, vcc_lo, v2, s15
	v_subrev_co_ci_u32_e32 v3, vcc_lo, 0, v3, vcc_lo
	global_load_b64 v[14:15], v[14:15], off
	v_sub_co_u32 v0, vcc_lo, v0, s15
	v_subrev_co_ci_u32_e32 v1, vcc_lo, 0, v1, vcc_lo
	s_mov_b32 s17, 0
	s_waitcnt vmcnt(0)
	v_mul_f64 v[14:15], v[8:9], v[14:15]
	s_branch .LBB101_16
.LBB101_15:                             ;   in Loop: Header=BB101_16 Depth=2
	s_or_b32 exec_lo, exec_lo, s25
	v_add_co_u32 v0, vcc_lo, v0, 1
	v_add_co_ci_u32_e32 v1, vcc_lo, 0, v1, vcc_lo
	s_delay_alu instid0(VALU_DEP_1) | instskip(SKIP_1) | instid1(SALU_CYCLE_1)
	v_cmp_ge_i64_e32 vcc_lo, v[0:1], v[2:3]
	s_or_b32 s17, vcc_lo, s17
	s_and_not1_b32 exec_lo, exec_lo, s17
	s_cbranch_execz .LBB101_12
.LBB101_16:                             ;   Parent Loop BB101_13 Depth=1
                                        ; =>  This Loop Header: Depth=2
                                        ;       Child Loop BB101_18 Depth 3
                                        ;         Child Loop BB101_24 Depth 4
                                        ;         Child Loop BB101_30 Depth 4
	v_lshlrev_b64 v[16:17], 3, v[0:1]
	s_mov_b32 s25, 0
	s_delay_alu instid0(VALU_DEP_1) | instskip(NEXT) | instid1(VALU_DEP_2)
	v_add_co_u32 v18, vcc_lo, s30, v16
	v_add_co_ci_u32_e32 v19, vcc_lo, s31, v17, vcc_lo
	v_add_co_u32 v16, vcc_lo, s28, v16
	v_add_co_ci_u32_e32 v17, vcc_lo, s29, v17, vcc_lo
	global_load_b64 v[18:19], v[18:19], off
	global_load_b64 v[20:21], v[16:17], off
	s_waitcnt vmcnt(1)
	v_mul_f64 v[16:17], v[14:15], v[18:19]
	s_waitcnt vmcnt(0)
	v_sub_co_u32 v18, vcc_lo, v20, s15
	v_subrev_co_ci_u32_e32 v19, vcc_lo, 0, v21, vcc_lo
	s_delay_alu instid0(VALU_DEP_2) | instskip(NEXT) | instid1(VALU_DEP_1)
	v_lshl_add_u32 v20, v18, 3, v18
	v_and_b32_e32 v27, 31, v20
	s_branch .LBB101_18
.LBB101_17:                             ;   in Loop: Header=BB101_18 Depth=3
	s_or_b32 exec_lo, exec_lo, s33
	s_xor_b32 s33, s34, -1
	s_delay_alu instid0(SALU_CYCLE_1) | instskip(NEXT) | instid1(SALU_CYCLE_1)
	s_and_b32 s33, exec_lo, s33
	s_or_b32 s25, s33, s25
	s_delay_alu instid0(SALU_CYCLE_1)
	s_and_not1_b32 exec_lo, exec_lo, s25
	s_cbranch_execz .LBB101_15
.LBB101_18:                             ;   Parent Loop BB101_13 Depth=1
                                        ;     Parent Loop BB101_16 Depth=2
                                        ; =>    This Loop Header: Depth=3
                                        ;         Child Loop BB101_24 Depth 4
                                        ;         Child Loop BB101_30 Depth 4
	s_delay_alu instid0(VALU_DEP_1)
	v_lshl_add_u32 v28, v27, 3, v24
	s_mov_b32 s33, exec_lo
                                        ; implicit-def: $sgpr34
	ds_load_b64 v[20:21], v28
	s_waitcnt lgkmcnt(0)
	v_cmpx_ne_u64_e64 v[20:21], v[18:19]
	s_xor_b32 s33, exec_lo, s33
	s_cbranch_execz .LBB101_28
; %bb.19:                               ;   in Loop: Header=BB101_18 Depth=3
	s_mov_b32 s35, exec_lo
                                        ; implicit-def: $sgpr34
	v_cmpx_ne_u64_e64 s[2:3], v[20:21]
	s_xor_b32 s35, exec_lo, s35
; %bb.20:                               ;   in Loop: Header=BB101_18 Depth=3
	v_add_nc_u32_e32 v20, 1, v27
	s_mov_b32 s34, -1
                                        ; implicit-def: $vgpr28
	s_delay_alu instid0(VALU_DEP_1)
	v_and_b32_e32 v27, 31, v20
; %bb.21:                               ;   in Loop: Header=BB101_18 Depth=3
	s_and_not1_saveexec_b32 s35, s35
	s_cbranch_execz .LBB101_27
; %bb.22:                               ;   in Loop: Header=BB101_18 Depth=3
	v_dual_mov_b32 v21, s3 :: v_dual_mov_b32 v20, s2
	s_mov_b32 s37, -1
	s_mov_b32 s36, exec_lo
	ds_cmpstore_rtn_b64 v[20:21], v28, v[18:19], v[20:21]
	s_waitcnt lgkmcnt(0)
	v_cmpx_eq_u64_e64 s[2:3], v[20:21]
	s_cbranch_execz .LBB101_26
; %bb.23:                               ;   in Loop: Header=BB101_18 Depth=3
	v_lshl_add_u32 v28, v27, 3, v25
	s_mov_b32 s37, 0
	ds_load_b64 v[20:21], v28
.LBB101_24:                             ;   Parent Loop BB101_13 Depth=1
                                        ;     Parent Loop BB101_16 Depth=2
                                        ;       Parent Loop BB101_18 Depth=3
                                        ; =>      This Inner Loop Header: Depth=4
	s_waitcnt lgkmcnt(0)
	v_add_f64 v[29:30], v[20:21], v[16:17]
	ds_cmpstore_rtn_b64 v[29:30], v28, v[29:30], v[20:21]
	s_waitcnt lgkmcnt(0)
	v_cmp_eq_u64_e32 vcc_lo, v[29:30], v[20:21]
	v_dual_mov_b32 v20, v29 :: v_dual_mov_b32 v21, v30
	s_or_b32 s37, vcc_lo, s37
	s_delay_alu instid0(SALU_CYCLE_1)
	s_and_not1_b32 exec_lo, exec_lo, s37
	s_cbranch_execnz .LBB101_24
; %bb.25:                               ;   in Loop: Header=BB101_18 Depth=3
	s_or_b32 exec_lo, exec_lo, s37
	s_delay_alu instid0(SALU_CYCLE_1)
	s_xor_b32 s37, exec_lo, -1
.LBB101_26:                             ;   in Loop: Header=BB101_18 Depth=3
	s_or_b32 exec_lo, exec_lo, s36
	s_delay_alu instid0(SALU_CYCLE_1) | instskip(SKIP_1) | instid1(SALU_CYCLE_1)
	s_and_not1_b32 s34, s34, exec_lo
	s_and_b32 s36, s37, exec_lo
	s_or_b32 s34, s34, s36
.LBB101_27:                             ;   in Loop: Header=BB101_18 Depth=3
	s_or_b32 exec_lo, exec_lo, s35
	s_delay_alu instid0(SALU_CYCLE_1)
	s_and_b32 s34, s34, exec_lo
.LBB101_28:                             ;   in Loop: Header=BB101_18 Depth=3
	s_and_not1_saveexec_b32 s33, s33
	s_cbranch_execz .LBB101_17
; %bb.29:                               ;   in Loop: Header=BB101_18 Depth=3
	v_lshl_add_u32 v28, v27, 3, v25
	s_mov_b32 s35, 0
	ds_load_b64 v[20:21], v28
.LBB101_30:                             ;   Parent Loop BB101_13 Depth=1
                                        ;     Parent Loop BB101_16 Depth=2
                                        ;       Parent Loop BB101_18 Depth=3
                                        ; =>      This Inner Loop Header: Depth=4
	s_waitcnt lgkmcnt(0)
	v_add_f64 v[29:30], v[20:21], v[16:17]
	ds_cmpstore_rtn_b64 v[29:30], v28, v[29:30], v[20:21]
	s_waitcnt lgkmcnt(0)
	v_cmp_eq_u64_e32 vcc_lo, v[29:30], v[20:21]
	v_dual_mov_b32 v20, v29 :: v_dual_mov_b32 v21, v30
	s_or_b32 s35, vcc_lo, s35
	s_delay_alu instid0(SALU_CYCLE_1)
	s_and_not1_b32 exec_lo, exec_lo, s35
	s_cbranch_execnz .LBB101_30
; %bb.31:                               ;   in Loop: Header=BB101_18 Depth=3
	s_or_b32 exec_lo, exec_lo, s35
	s_delay_alu instid0(SALU_CYCLE_1)
	s_and_not1_b32 s34, s34, exec_lo
	s_branch .LBB101_17
.LBB101_32:
	s_or_b32 exec_lo, exec_lo, s0
.LBB101_33:
	s_delay_alu instid0(SALU_CYCLE_1)
	s_and_not1_b32 vcc_lo, exec_lo, s14
	s_cbranch_vccnz .LBB101_54
; %bb.34:
	v_add_co_u32 v0, vcc_lo, s4, v6
	v_add_co_ci_u32_e32 v1, vcc_lo, s5, v7, vcc_lo
	v_sub_co_u32 v2, s0, v26, s27
	s_delay_alu instid0(VALU_DEP_1)
	v_sub_co_ci_u32_e64 v3, null, 0, 0, s0
	global_load_b128 v[8:11], v[0:1], off
	s_mov_b32 s0, 0
	s_mov_b32 s1, exec_lo
	s_waitcnt vmcnt(0)
	v_sub_co_u32 v0, vcc_lo, v10, s27
	v_subrev_co_ci_u32_e32 v1, vcc_lo, 0, v11, vcc_lo
	v_add_co_u32 v2, vcc_lo, v8, v2
	v_add_co_ci_u32_e32 v3, vcc_lo, v9, v3, vcc_lo
	s_delay_alu instid0(VALU_DEP_1)
	v_cmpx_lt_i64_e64 v[2:3], v[0:1]
	s_cbranch_execz .LBB101_53
; %bb.35:
	s_mov_b32 s4, s27
	s_branch .LBB101_37
.LBB101_36:                             ;   in Loop: Header=BB101_37 Depth=1
	s_or_b32 exec_lo, exec_lo, s5
	v_add_co_u32 v2, vcc_lo, v2, 16
	v_add_co_ci_u32_e32 v3, vcc_lo, 0, v3, vcc_lo
	s_delay_alu instid0(VALU_DEP_1) | instskip(SKIP_1) | instid1(SALU_CYCLE_1)
	v_cmp_ge_i64_e32 vcc_lo, v[2:3], v[0:1]
	s_or_b32 s0, vcc_lo, s0
	s_and_not1_b32 exec_lo, exec_lo, s0
	s_cbranch_execz .LBB101_53
.LBB101_37:                             ; =>This Loop Header: Depth=1
                                        ;     Child Loop BB101_39 Depth 2
                                        ;       Child Loop BB101_45 Depth 3
                                        ;       Child Loop BB101_51 Depth 3
	v_lshlrev_b64 v[8:9], 3, v[2:3]
	s_mov_b32 s5, 0
	s_delay_alu instid0(VALU_DEP_1) | instskip(NEXT) | instid1(VALU_DEP_2)
	v_add_co_u32 v10, vcc_lo, s8, v8
	v_add_co_ci_u32_e32 v11, vcc_lo, s9, v9, vcc_lo
	v_add_co_u32 v8, vcc_lo, s6, v8
	v_add_co_ci_u32_e32 v9, vcc_lo, s7, v9, vcc_lo
	global_load_b64 v[10:11], v[10:11], off
	global_load_b64 v[12:13], v[8:9], off
	s_waitcnt vmcnt(1)
	v_mul_f64 v[8:9], v[4:5], v[10:11]
	s_waitcnt vmcnt(0)
	v_sub_co_u32 v10, vcc_lo, v12, s4
	v_subrev_co_ci_u32_e32 v11, vcc_lo, 0, v13, vcc_lo
	s_delay_alu instid0(VALU_DEP_2) | instskip(NEXT) | instid1(VALU_DEP_1)
	v_lshl_add_u32 v12, v10, 3, v10
	v_and_b32_e32 v14, 31, v12
	s_branch .LBB101_39
.LBB101_38:                             ;   in Loop: Header=BB101_39 Depth=2
	s_or_b32 exec_lo, exec_lo, s14
	s_xor_b32 s14, s15, -1
	s_delay_alu instid0(SALU_CYCLE_1) | instskip(NEXT) | instid1(SALU_CYCLE_1)
	s_and_b32 s14, exec_lo, s14
	s_or_b32 s5, s14, s5
	s_delay_alu instid0(SALU_CYCLE_1)
	s_and_not1_b32 exec_lo, exec_lo, s5
	s_cbranch_execz .LBB101_36
.LBB101_39:                             ;   Parent Loop BB101_37 Depth=1
                                        ; =>  This Loop Header: Depth=2
                                        ;       Child Loop BB101_45 Depth 3
                                        ;       Child Loop BB101_51 Depth 3
	s_delay_alu instid0(VALU_DEP_1)
	v_lshl_add_u32 v15, v14, 3, v24
	s_mov_b32 s14, exec_lo
                                        ; implicit-def: $sgpr15
	ds_load_b64 v[12:13], v15
	s_waitcnt lgkmcnt(0)
	v_cmpx_ne_u64_e64 v[12:13], v[10:11]
	s_xor_b32 s14, exec_lo, s14
	s_cbranch_execz .LBB101_49
; %bb.40:                               ;   in Loop: Header=BB101_39 Depth=2
	s_mov_b32 s16, exec_lo
                                        ; implicit-def: $sgpr15
	v_cmpx_ne_u64_e64 s[2:3], v[12:13]
	s_xor_b32 s16, exec_lo, s16
; %bb.41:                               ;   in Loop: Header=BB101_39 Depth=2
	v_add_nc_u32_e32 v12, 1, v14
	s_mov_b32 s15, -1
                                        ; implicit-def: $vgpr15
	s_delay_alu instid0(VALU_DEP_1)
	v_and_b32_e32 v14, 31, v12
; %bb.42:                               ;   in Loop: Header=BB101_39 Depth=2
	s_and_not1_saveexec_b32 s16, s16
	s_cbranch_execz .LBB101_48
; %bb.43:                               ;   in Loop: Header=BB101_39 Depth=2
	v_dual_mov_b32 v13, s3 :: v_dual_mov_b32 v12, s2
	s_mov_b32 s18, -1
	s_mov_b32 s17, exec_lo
	ds_cmpstore_rtn_b64 v[12:13], v15, v[10:11], v[12:13]
	s_waitcnt lgkmcnt(0)
	v_cmpx_eq_u64_e64 s[2:3], v[12:13]
	s_cbranch_execz .LBB101_47
; %bb.44:                               ;   in Loop: Header=BB101_39 Depth=2
	v_lshl_add_u32 v15, v14, 3, v25
	s_mov_b32 s18, 0
	ds_load_b64 v[12:13], v15
.LBB101_45:                             ;   Parent Loop BB101_37 Depth=1
                                        ;     Parent Loop BB101_39 Depth=2
                                        ; =>    This Inner Loop Header: Depth=3
	s_waitcnt lgkmcnt(0)
	v_add_f64 v[16:17], v[12:13], v[8:9]
	ds_cmpstore_rtn_b64 v[16:17], v15, v[16:17], v[12:13]
	s_waitcnt lgkmcnt(0)
	v_cmp_eq_u64_e32 vcc_lo, v[16:17], v[12:13]
	v_dual_mov_b32 v12, v16 :: v_dual_mov_b32 v13, v17
	s_or_b32 s18, vcc_lo, s18
	s_delay_alu instid0(SALU_CYCLE_1)
	s_and_not1_b32 exec_lo, exec_lo, s18
	s_cbranch_execnz .LBB101_45
; %bb.46:                               ;   in Loop: Header=BB101_39 Depth=2
	s_or_b32 exec_lo, exec_lo, s18
	s_delay_alu instid0(SALU_CYCLE_1)
	s_xor_b32 s18, exec_lo, -1
.LBB101_47:                             ;   in Loop: Header=BB101_39 Depth=2
	s_or_b32 exec_lo, exec_lo, s17
	s_delay_alu instid0(SALU_CYCLE_1) | instskip(SKIP_1) | instid1(SALU_CYCLE_1)
	s_and_not1_b32 s15, s15, exec_lo
	s_and_b32 s17, s18, exec_lo
	s_or_b32 s15, s15, s17
.LBB101_48:                             ;   in Loop: Header=BB101_39 Depth=2
	s_or_b32 exec_lo, exec_lo, s16
	s_delay_alu instid0(SALU_CYCLE_1)
	s_and_b32 s15, s15, exec_lo
.LBB101_49:                             ;   in Loop: Header=BB101_39 Depth=2
	s_and_not1_saveexec_b32 s14, s14
	s_cbranch_execz .LBB101_38
; %bb.50:                               ;   in Loop: Header=BB101_39 Depth=2
	v_lshl_add_u32 v15, v14, 3, v25
	s_mov_b32 s16, 0
	ds_load_b64 v[12:13], v15
.LBB101_51:                             ;   Parent Loop BB101_37 Depth=1
                                        ;     Parent Loop BB101_39 Depth=2
                                        ; =>    This Inner Loop Header: Depth=3
	s_waitcnt lgkmcnt(0)
	v_add_f64 v[16:17], v[12:13], v[8:9]
	ds_cmpstore_rtn_b64 v[16:17], v15, v[16:17], v[12:13]
	s_waitcnt lgkmcnt(0)
	v_cmp_eq_u64_e32 vcc_lo, v[16:17], v[12:13]
	v_dual_mov_b32 v12, v16 :: v_dual_mov_b32 v13, v17
	s_or_b32 s16, vcc_lo, s16
	s_delay_alu instid0(SALU_CYCLE_1)
	s_and_not1_b32 exec_lo, exec_lo, s16
	s_cbranch_execnz .LBB101_51
; %bb.52:                               ;   in Loop: Header=BB101_39 Depth=2
	s_or_b32 exec_lo, exec_lo, s16
	s_delay_alu instid0(SALU_CYCLE_1)
	s_and_not1_b32 s15, s15, exec_lo
	s_branch .LBB101_38
.LBB101_53:
	s_or_b32 exec_lo, exec_lo, s1
.LBB101_54:
	v_add_co_u32 v0, vcc_lo, s10, v6
	v_add_co_ci_u32_e32 v1, vcc_lo, s11, v7, vcc_lo
	buffer_gl0_inv
	s_mov_b32 s0, 0
	global_load_b64 v[0:1], v[0:1], off
	s_waitcnt vmcnt(0)
	v_sub_co_u32 v0, vcc_lo, v0, s26
	v_subrev_co_ci_u32_e32 v1, vcc_lo, 0, v1, vcc_lo
	s_delay_alu instid0(VALU_DEP_1) | instskip(NEXT) | instid1(VALU_DEP_1)
	v_lshlrev_b64 v[0:1], 3, v[0:1]
	v_add_co_u32 v2, vcc_lo, s12, v0
	s_delay_alu instid0(VALU_DEP_2)
	v_add_co_ci_u32_e32 v3, vcc_lo, s13, v1, vcc_lo
	s_branch .LBB101_56
.LBB101_55:                             ;   in Loop: Header=BB101_56 Depth=1
	s_or_b32 exec_lo, exec_lo, s1
	v_add_co_u32 v23, s1, v23, 16
	s_delay_alu instid0(VALU_DEP_1) | instskip(SKIP_2) | instid1(SALU_CYCLE_1)
	s_xor_b32 s1, s1, -1
	v_add_nc_u32_e32 v22, 0x80, v22
	s_and_b32 s1, exec_lo, s1
	s_or_b32 s0, s1, s0
	s_delay_alu instid0(SALU_CYCLE_1)
	s_and_not1_b32 exec_lo, exec_lo, s0
	s_cbranch_execz .LBB101_58
.LBB101_56:                             ; =>This Inner Loop Header: Depth=1
	ds_load_b64 v[0:1], v22 offset:4096
	s_mov_b32 s1, exec_lo
	s_waitcnt lgkmcnt(0)
	v_cmpx_gt_i64_e64 s[2:3], v[0:1]
	s_cbranch_execz .LBB101_55
; %bb.57:                               ;   in Loop: Header=BB101_56 Depth=1
	ds_load_b128 v[4:7], v24
	ds_load_b128 v[8:11], v24 offset:16
	ds_load_b128 v[12:15], v24 offset:32
	;; [unrolled: 1-line block ×15, first 2 shown]
	ds_load_b64 v[20:21], v22
	s_waitcnt lgkmcnt(16)
	v_cmp_gt_i64_e32 vcc_lo, v[0:1], v[4:5]
	v_cndmask_b32_e64 v4, 0, 1, vcc_lo
	v_cmp_gt_i64_e32 vcc_lo, v[0:1], v[6:7]
	s_delay_alu instid0(VALU_DEP_2) | instskip(SKIP_3) | instid1(VALU_DEP_2)
	v_lshlrev_b32_e32 v4, 3, v4
	v_cndmask_b32_e64 v5, 0, 1, vcc_lo
	s_waitcnt lgkmcnt(15)
	v_cmp_gt_i64_e32 vcc_lo, v[0:1], v[8:9]
	v_lshlrev_b32_e32 v5, 3, v5
	v_cndmask_b32_e64 v6, 0, 1, vcc_lo
	v_cmp_gt_i64_e32 vcc_lo, v[0:1], v[10:11]
	s_delay_alu instid0(VALU_DEP_2) | instskip(SKIP_3) | instid1(VALU_DEP_3)
	v_lshlrev_b32_e32 v6, 3, v6
	v_cndmask_b32_e64 v7, 0, 1, vcc_lo
	v_add_co_u32 v4, vcc_lo, v2, v4
	v_add_co_ci_u32_e32 v8, vcc_lo, 0, v3, vcc_lo
	v_lshlrev_b32_e32 v7, 3, v7
	s_delay_alu instid0(VALU_DEP_3) | instskip(NEXT) | instid1(VALU_DEP_3)
	v_add_co_u32 v4, vcc_lo, v4, v5
	v_add_co_ci_u32_e32 v5, vcc_lo, 0, v8, vcc_lo
	s_delay_alu instid0(VALU_DEP_2) | instskip(NEXT) | instid1(VALU_DEP_2)
	v_add_co_u32 v4, vcc_lo, v4, v6
	v_add_co_ci_u32_e32 v5, vcc_lo, 0, v5, vcc_lo
	s_waitcnt lgkmcnt(14)
	v_cmp_gt_i64_e32 vcc_lo, v[0:1], v[12:13]
	v_cndmask_b32_e64 v6, 0, 1, vcc_lo
	v_add_co_u32 v4, vcc_lo, v4, v7
	v_add_co_ci_u32_e32 v5, vcc_lo, 0, v5, vcc_lo
	v_cmp_gt_i64_e32 vcc_lo, v[0:1], v[14:15]
	s_delay_alu instid0(VALU_DEP_4)
	v_lshlrev_b32_e32 v6, 3, v6
	v_cndmask_b32_e64 v7, 0, 1, vcc_lo
	s_waitcnt lgkmcnt(13)
	v_cmp_gt_i64_e32 vcc_lo, v[0:1], v[16:17]
	v_cndmask_b32_e64 v8, 0, 1, vcc_lo
	v_add_co_u32 v4, vcc_lo, v4, v6
	v_add_co_ci_u32_e32 v5, vcc_lo, 0, v5, vcc_lo
	v_cmp_gt_i64_e32 vcc_lo, v[0:1], v[18:19]
	v_lshlrev_b32_e32 v6, 3, v7
	v_lshlrev_b32_e32 v7, 3, v8
	v_cndmask_b32_e64 v8, 0, 1, vcc_lo
	s_delay_alu instid0(VALU_DEP_3) | instskip(SKIP_1) | instid1(VALU_DEP_3)
	v_add_co_u32 v4, vcc_lo, v4, v6
	v_add_co_ci_u32_e32 v5, vcc_lo, 0, v5, vcc_lo
	v_lshlrev_b32_e32 v6, 3, v8
	s_delay_alu instid0(VALU_DEP_3) | instskip(NEXT) | instid1(VALU_DEP_3)
	v_add_co_u32 v4, vcc_lo, v4, v7
	v_add_co_ci_u32_e32 v5, vcc_lo, 0, v5, vcc_lo
	s_waitcnt lgkmcnt(12)
	v_cmp_gt_i64_e32 vcc_lo, v[0:1], v[25:26]
	v_cndmask_b32_e64 v7, 0, 1, vcc_lo
	v_add_co_u32 v4, vcc_lo, v4, v6
	v_add_co_ci_u32_e32 v5, vcc_lo, 0, v5, vcc_lo
	v_cmp_gt_i64_e32 vcc_lo, v[0:1], v[27:28]
	s_delay_alu instid0(VALU_DEP_4)
	v_lshlrev_b32_e32 v6, 3, v7
	v_cndmask_b32_e64 v7, 0, 1, vcc_lo
	s_waitcnt lgkmcnt(11)
	v_cmp_gt_i64_e32 vcc_lo, v[0:1], v[29:30]
	v_cndmask_b32_e64 v8, 0, 1, vcc_lo
	v_add_co_u32 v4, vcc_lo, v4, v6
	v_add_co_ci_u32_e32 v5, vcc_lo, 0, v5, vcc_lo
	v_cmp_gt_i64_e32 vcc_lo, v[0:1], v[31:32]
	v_lshlrev_b32_e32 v6, 3, v7
	v_lshlrev_b32_e32 v7, 3, v8
	v_cndmask_b32_e64 v8, 0, 1, vcc_lo
	s_delay_alu instid0(VALU_DEP_3) | instskip(SKIP_1) | instid1(VALU_DEP_3)
	v_add_co_u32 v4, vcc_lo, v4, v6
	v_add_co_ci_u32_e32 v5, vcc_lo, 0, v5, vcc_lo
	v_lshlrev_b32_e32 v6, 3, v8
	s_delay_alu instid0(VALU_DEP_3) | instskip(NEXT) | instid1(VALU_DEP_3)
	;; [unrolled: 25-line block ×7, first 2 shown]
	v_add_co_u32 v1, vcc_lo, v1, v7
	v_add_co_ci_u32_e32 v4, vcc_lo, 0, v4, vcc_lo
	s_delay_alu instid0(VALU_DEP_2) | instskip(NEXT) | instid1(VALU_DEP_2)
	v_add_co_u32 v0, vcc_lo, v1, v0
	v_add_co_ci_u32_e32 v1, vcc_lo, 0, v4, vcc_lo
	s_waitcnt lgkmcnt(0)
	global_store_b64 v[0:1], v[20:21], off
	s_branch .LBB101_55
.LBB101_58:
	s_nop 0
	s_sendmsg sendmsg(MSG_DEALLOC_VGPRS)
	s_endpgm
	.section	.rodata,"a",@progbits
	.p2align	6, 0x0
	.amdhsa_kernel _ZN9rocsparseL38csrgemm_numeric_fill_wf_per_row_kernelILj256ELj16ELj32ELj137ElldEEvT4_S1_PKS1_S3_NS_24const_host_device_scalarIT5_EEPKT3_S3_PKS5_S9_S3_SB_S6_S9_S3_SB_S9_S3_PS5_21rocsparse_index_base_SD_SD_SD_bbb
		.amdhsa_group_segment_fixed_size 8192
		.amdhsa_private_segment_fixed_size 0
		.amdhsa_kernarg_size 164
		.amdhsa_user_sgpr_count 15
		.amdhsa_user_sgpr_dispatch_ptr 0
		.amdhsa_user_sgpr_queue_ptr 0
		.amdhsa_user_sgpr_kernarg_segment_ptr 1
		.amdhsa_user_sgpr_dispatch_id 0
		.amdhsa_user_sgpr_private_segment_size 0
		.amdhsa_wavefront_size32 1
		.amdhsa_uses_dynamic_stack 0
		.amdhsa_enable_private_segment 0
		.amdhsa_system_sgpr_workgroup_id_x 1
		.amdhsa_system_sgpr_workgroup_id_y 0
		.amdhsa_system_sgpr_workgroup_id_z 0
		.amdhsa_system_sgpr_workgroup_info 0
		.amdhsa_system_vgpr_workitem_id 0
		.amdhsa_next_free_vgpr 73
		.amdhsa_next_free_sgpr 42
		.amdhsa_reserve_vcc 1
		.amdhsa_float_round_mode_32 0
		.amdhsa_float_round_mode_16_64 0
		.amdhsa_float_denorm_mode_32 3
		.amdhsa_float_denorm_mode_16_64 3
		.amdhsa_dx10_clamp 1
		.amdhsa_ieee_mode 1
		.amdhsa_fp16_overflow 0
		.amdhsa_workgroup_processor_mode 1
		.amdhsa_memory_ordered 1
		.amdhsa_forward_progress 0
		.amdhsa_shared_vgpr_count 0
		.amdhsa_exception_fp_ieee_invalid_op 0
		.amdhsa_exception_fp_denorm_src 0
		.amdhsa_exception_fp_ieee_div_zero 0
		.amdhsa_exception_fp_ieee_overflow 0
		.amdhsa_exception_fp_ieee_underflow 0
		.amdhsa_exception_fp_ieee_inexact 0
		.amdhsa_exception_int_div_zero 0
	.end_amdhsa_kernel
	.section	.text._ZN9rocsparseL38csrgemm_numeric_fill_wf_per_row_kernelILj256ELj16ELj32ELj137ElldEEvT4_S1_PKS1_S3_NS_24const_host_device_scalarIT5_EEPKT3_S3_PKS5_S9_S3_SB_S6_S9_S3_SB_S9_S3_PS5_21rocsparse_index_base_SD_SD_SD_bbb,"axG",@progbits,_ZN9rocsparseL38csrgemm_numeric_fill_wf_per_row_kernelILj256ELj16ELj32ELj137ElldEEvT4_S1_PKS1_S3_NS_24const_host_device_scalarIT5_EEPKT3_S3_PKS5_S9_S3_SB_S6_S9_S3_SB_S9_S3_PS5_21rocsparse_index_base_SD_SD_SD_bbb,comdat
.Lfunc_end101:
	.size	_ZN9rocsparseL38csrgemm_numeric_fill_wf_per_row_kernelILj256ELj16ELj32ELj137ElldEEvT4_S1_PKS1_S3_NS_24const_host_device_scalarIT5_EEPKT3_S3_PKS5_S9_S3_SB_S6_S9_S3_SB_S9_S3_PS5_21rocsparse_index_base_SD_SD_SD_bbb, .Lfunc_end101-_ZN9rocsparseL38csrgemm_numeric_fill_wf_per_row_kernelILj256ELj16ELj32ELj137ElldEEvT4_S1_PKS1_S3_NS_24const_host_device_scalarIT5_EEPKT3_S3_PKS5_S9_S3_SB_S6_S9_S3_SB_S9_S3_PS5_21rocsparse_index_base_SD_SD_SD_bbb
                                        ; -- End function
	.section	.AMDGPU.csdata,"",@progbits
; Kernel info:
; codeLenInByte = 3316
; NumSgprs: 44
; NumVgprs: 73
; ScratchSize: 0
; MemoryBound: 0
; FloatMode: 240
; IeeeMode: 1
; LDSByteSize: 8192 bytes/workgroup (compile time only)
; SGPRBlocks: 5
; VGPRBlocks: 9
; NumSGPRsForWavesPerEU: 44
; NumVGPRsForWavesPerEU: 73
; Occupancy: 16
; WaveLimiterHint : 1
; COMPUTE_PGM_RSRC2:SCRATCH_EN: 0
; COMPUTE_PGM_RSRC2:USER_SGPR: 15
; COMPUTE_PGM_RSRC2:TRAP_HANDLER: 0
; COMPUTE_PGM_RSRC2:TGID_X_EN: 1
; COMPUTE_PGM_RSRC2:TGID_Y_EN: 0
; COMPUTE_PGM_RSRC2:TGID_Z_EN: 0
; COMPUTE_PGM_RSRC2:TIDIG_COMP_CNT: 0
	.section	.text._ZN9rocsparseL41csrgemm_numeric_fill_block_per_row_kernelILj128ELj16ELj256ELj137ELj32ElldEEvT5_PKS1_S3_NS_24const_host_device_scalarIT6_EEPKT4_S3_PKS5_S9_S3_SB_S6_S9_S3_SB_S9_S3_PS5_21rocsparse_index_base_SD_SD_SD_bbb,"axG",@progbits,_ZN9rocsparseL41csrgemm_numeric_fill_block_per_row_kernelILj128ELj16ELj256ELj137ELj32ElldEEvT5_PKS1_S3_NS_24const_host_device_scalarIT6_EEPKT4_S3_PKS5_S9_S3_SB_S6_S9_S3_SB_S9_S3_PS5_21rocsparse_index_base_SD_SD_SD_bbb,comdat
	.globl	_ZN9rocsparseL41csrgemm_numeric_fill_block_per_row_kernelILj128ELj16ELj256ELj137ELj32ElldEEvT5_PKS1_S3_NS_24const_host_device_scalarIT6_EEPKT4_S3_PKS5_S9_S3_SB_S6_S9_S3_SB_S9_S3_PS5_21rocsparse_index_base_SD_SD_SD_bbb ; -- Begin function _ZN9rocsparseL41csrgemm_numeric_fill_block_per_row_kernelILj128ELj16ELj256ELj137ELj32ElldEEvT5_PKS1_S3_NS_24const_host_device_scalarIT6_EEPKT4_S3_PKS5_S9_S3_SB_S6_S9_S3_SB_S9_S3_PS5_21rocsparse_index_base_SD_SD_SD_bbb
	.p2align	8
	.type	_ZN9rocsparseL41csrgemm_numeric_fill_block_per_row_kernelILj128ELj16ELj256ELj137ELj32ElldEEvT5_PKS1_S3_NS_24const_host_device_scalarIT6_EEPKT4_S3_PKS5_S9_S3_SB_S6_S9_S3_SB_S9_S3_PS5_21rocsparse_index_base_SD_SD_SD_bbb,@function
_ZN9rocsparseL41csrgemm_numeric_fill_block_per_row_kernelILj128ELj16ELj256ELj137ELj32ElldEEvT5_PKS1_S3_NS_24const_host_device_scalarIT6_EEPKT4_S3_PKS5_S9_S3_SB_S6_S9_S3_SB_S9_S3_PS5_21rocsparse_index_base_SD_SD_SD_bbb: ; @_ZN9rocsparseL41csrgemm_numeric_fill_block_per_row_kernelILj128ELj16ELj256ELj137ELj32ElldEEvT5_PKS1_S3_NS_24const_host_device_scalarIT6_EEPKT4_S3_PKS5_S9_S3_SB_S6_S9_S3_SB_S9_S3_PS5_21rocsparse_index_base_SD_SD_SD_bbb
; %bb.0:
	s_clause 0x2
	s_load_b32 s3, s[0:1], 0x98
	s_load_b64 s[6:7], s[0:1], 0x18
	s_load_b64 s[4:5], s[0:1], 0x50
	s_mov_b32 s2, s15
	s_waitcnt lgkmcnt(0)
	s_and_b32 s9, 1, s3
	s_bitcmp1_b32 s3, 16
	s_cselect_b32 s8, -1, 0
	s_cmp_eq_u32 s9, 1
	s_cselect_b32 s38, -1, 0
	s_delay_alu instid0(SALU_CYCLE_1)
	s_and_b32 s9, s38, exec_lo
	s_cselect_b32 s11, s7, 0
	s_cselect_b32 s10, s6, 0
	s_xor_b32 s9, s38, -1
	v_dual_mov_b32 v3, s10 :: v_dual_mov_b32 v4, s11
	s_or_b32 s9, s9, s8
	s_delay_alu instid0(SALU_CYCLE_1)
	s_and_b32 vcc_lo, exec_lo, s9
	s_cbranch_vccnz .LBB102_2
; %bb.1:
	v_dual_mov_b32 v1, s6 :: v_dual_mov_b32 v2, s7
	flat_load_b64 v[3:4], v[1:2]
.LBB102_2:
	s_load_b128 s[20:23], s[0:1], 0x88
	s_bitcmp1_b32 s3, 8
	s_cselect_b32 s33, -1, 0
	s_delay_alu instid0(SALU_CYCLE_1)
	s_and_b32 s3, s33, exec_lo
	s_cselect_b32 s7, s5, 0
	s_cselect_b32 s6, s4, 0
	s_xor_b32 s3, s33, -1
	v_dual_mov_b32 v1, s6 :: v_dual_mov_b32 v2, s7
	s_or_b32 s3, s3, s8
	s_delay_alu instid0(SALU_CYCLE_1)
	s_and_b32 vcc_lo, exec_lo, s3
	s_cbranch_vccnz .LBB102_4
; %bb.3:
	v_dual_mov_b32 v1, s4 :: v_dual_mov_b32 v2, s5
	flat_load_b64 v[1:2], v[1:2]
.LBB102_4:
	s_clause 0x5
	s_load_b64 s[34:35], s[0:1], 0x80
	s_load_b256 s[4:11], s[0:1], 0x58
	s_load_b128 s[28:31], s[0:1], 0x40
	s_load_b128 s[24:27], s[0:1], 0x0
	s_load_b64 s[36:37], s[0:1], 0x10
	s_load_b256 s[12:19], s[0:1], 0x20
	v_cmp_gt_u32_e64 s0, 0x100, v0
	v_or_b32_e32 v19, 0xffffff80, v0
	v_lshl_add_u32 v20, v0, 3, 0
	s_delay_alu instid0(VALU_DEP_3)
	s_and_saveexec_b32 s1, s0
	s_cbranch_execz .LBB102_7
; %bb.5:
	v_mov_b32_e32 v5, 0
	s_waitcnt lgkmcnt(0)
	v_mov_b32_e32 v7, s24
	v_or_b32_e32 v9, 0xffffff80, v0
	v_lshl_add_u32 v10, v0, 3, 0
	v_mov_b32_e32 v8, s25
	v_mov_b32_e32 v6, v5
	s_mov_b32 s3, 0
.LBB102_6:                              ; =>This Inner Loop Header: Depth=1
	v_add_co_u32 v9, s39, 0x80, v9
	s_delay_alu instid0(VALU_DEP_1) | instskip(SKIP_3) | instid1(SALU_CYCLE_1)
	s_xor_b32 s39, s39, -1
	ds_store_2addr_stride64_b64 v10, v[7:8], v[5:6] offset1:4
	v_add_nc_u32_e32 v10, 0x400, v10
	s_and_b32 s39, exec_lo, s39
	s_or_b32 s3, s39, s3
	s_delay_alu instid0(SALU_CYCLE_1)
	s_and_not1_b32 exec_lo, exec_lo, s3
	s_cbranch_execnz .LBB102_6
.LBB102_7:
	s_or_b32 exec_lo, exec_lo, s1
	s_waitcnt vmcnt(0) lgkmcnt(0)
	s_barrier
	buffer_gl0_inv
	s_load_b64 s[26:27], s[26:27], 0x0
	s_mov_b32 s3, 0
	s_waitcnt lgkmcnt(0)
	s_lshl_b64 s[26:27], s[26:27], 3
	s_delay_alu instid0(SALU_CYCLE_1) | instskip(SKIP_2) | instid1(SALU_CYCLE_1)
	s_add_u32 s1, s36, s26
	s_addc_u32 s26, s37, s27
	s_lshl_b64 s[2:3], s[2:3], 3
	s_add_u32 s2, s1, s2
	s_addc_u32 s3, s26, s3
	s_and_b32 vcc_lo, exec_lo, s38
	s_load_b64 s[26:27], s[2:3], 0x0
	s_cbranch_vccz .LBB102_31
; %bb.8:
	s_waitcnt lgkmcnt(0)
	s_lshl_b64 s[2:3], s[26:27], 3
	v_lshrrev_b32_e32 v5, 4, v0
	s_add_u32 s2, s12, s2
	s_addc_u32 s3, s13, s3
	s_load_b128 s[36:39], s[2:3], 0x0
	s_delay_alu instid0(VALU_DEP_1) | instskip(NEXT) | instid1(VALU_DEP_1)
	v_sub_co_u32 v5, s1, v5, s20
	v_sub_co_ci_u32_e64 v6, null, 0, 0, s1
	s_mov_b32 s1, exec_lo
	s_waitcnt lgkmcnt(0)
	s_delay_alu instid0(VALU_DEP_2) | instskip(NEXT) | instid1(VALU_DEP_2)
	v_add_co_u32 v5, vcc_lo, s36, v5
	v_add_co_ci_u32_e32 v6, vcc_lo, s37, v6, vcc_lo
	s_sub_u32 s2, s38, s20
	s_subb_u32 s3, s39, 0
	s_delay_alu instid0(VALU_DEP_1) | instid1(SALU_CYCLE_1)
	v_cmpx_gt_i64_e64 s[2:3], v[5:6]
	s_cbranch_execz .LBB102_30
; %bb.9:
	v_and_b32_e32 v7, 15, v0
	s_mov_b32 s13, s21
	s_delay_alu instid0(VALU_DEP_1) | instskip(NEXT) | instid1(VALU_DEP_1)
	v_sub_co_u32 v21, s12, v7, s21
	v_sub_co_ci_u32_e64 v22, null, 0, 0, s12
	s_mov_b32 s12, 0
	s_branch .LBB102_11
.LBB102_10:                             ;   in Loop: Header=BB102_11 Depth=1
	s_or_b32 exec_lo, exec_lo, s21
	v_add_co_u32 v5, vcc_lo, v5, 8
	v_add_co_ci_u32_e32 v6, vcc_lo, 0, v6, vcc_lo
	s_delay_alu instid0(VALU_DEP_1) | instskip(SKIP_1) | instid1(SALU_CYCLE_1)
	v_cmp_le_i64_e32 vcc_lo, s[2:3], v[5:6]
	s_or_b32 s12, vcc_lo, s12
	s_and_not1_b32 exec_lo, exec_lo, s12
	s_cbranch_execz .LBB102_30
.LBB102_11:                             ; =>This Loop Header: Depth=1
                                        ;     Child Loop BB102_14 Depth 2
                                        ;       Child Loop BB102_16 Depth 3
                                        ;         Child Loop BB102_22 Depth 4
                                        ;         Child Loop BB102_28 Depth 4
	v_lshlrev_b64 v[11:12], 3, v[5:6]
	s_mov_b32 s21, exec_lo
	s_delay_alu instid0(VALU_DEP_1) | instskip(NEXT) | instid1(VALU_DEP_2)
	v_add_co_u32 v7, vcc_lo, s14, v11
	v_add_co_ci_u32_e32 v8, vcc_lo, s15, v12, vcc_lo
	global_load_b64 v[7:8], v[7:8], off
	s_waitcnt vmcnt(0)
	v_sub_co_u32 v7, vcc_lo, v7, s20
	v_subrev_co_ci_u32_e32 v8, vcc_lo, 0, v8, vcc_lo
	s_delay_alu instid0(VALU_DEP_1) | instskip(NEXT) | instid1(VALU_DEP_1)
	v_lshlrev_b64 v[7:8], 3, v[7:8]
	v_add_co_u32 v7, vcc_lo, s18, v7
	s_delay_alu instid0(VALU_DEP_2)
	v_add_co_ci_u32_e32 v8, vcc_lo, s19, v8, vcc_lo
	global_load_b128 v[13:16], v[7:8], off
	s_waitcnt vmcnt(0)
	v_sub_co_u32 v7, vcc_lo, v15, s13
	v_subrev_co_ci_u32_e32 v8, vcc_lo, 0, v16, vcc_lo
	v_add_co_u32 v9, vcc_lo, v13, v21
	v_add_co_ci_u32_e32 v10, vcc_lo, v14, v22, vcc_lo
	s_delay_alu instid0(VALU_DEP_1)
	v_cmpx_lt_i64_e64 v[9:10], v[7:8]
	s_cbranch_execz .LBB102_10
; %bb.12:                               ;   in Loop: Header=BB102_11 Depth=1
	v_add_co_u32 v11, vcc_lo, s16, v11
	v_add_co_ci_u32_e32 v12, vcc_lo, s17, v12, vcc_lo
	s_mov_b32 s36, 0
	global_load_b64 v[11:12], v[11:12], off
	s_waitcnt vmcnt(0)
	v_mul_f64 v[11:12], v[3:4], v[11:12]
	s_branch .LBB102_14
.LBB102_13:                             ;   in Loop: Header=BB102_14 Depth=2
	s_or_b32 exec_lo, exec_lo, s37
	v_add_co_u32 v9, vcc_lo, v9, 16
	v_add_co_ci_u32_e32 v10, vcc_lo, 0, v10, vcc_lo
	s_delay_alu instid0(VALU_DEP_1) | instskip(SKIP_1) | instid1(SALU_CYCLE_1)
	v_cmp_ge_i64_e32 vcc_lo, v[9:10], v[7:8]
	s_or_b32 s36, vcc_lo, s36
	s_and_not1_b32 exec_lo, exec_lo, s36
	s_cbranch_execz .LBB102_10
.LBB102_14:                             ;   Parent Loop BB102_11 Depth=1
                                        ; =>  This Loop Header: Depth=2
                                        ;       Child Loop BB102_16 Depth 3
                                        ;         Child Loop BB102_22 Depth 4
                                        ;         Child Loop BB102_28 Depth 4
	v_lshlrev_b64 v[13:14], 3, v[9:10]
	s_mov_b32 s37, 0
	s_delay_alu instid0(VALU_DEP_1) | instskip(NEXT) | instid1(VALU_DEP_2)
	v_add_co_u32 v15, vcc_lo, s30, v13
	v_add_co_ci_u32_e32 v16, vcc_lo, s31, v14, vcc_lo
	v_add_co_u32 v13, vcc_lo, s28, v13
	v_add_co_ci_u32_e32 v14, vcc_lo, s29, v14, vcc_lo
	global_load_b64 v[15:16], v[15:16], off
	global_load_b64 v[17:18], v[13:14], off
	s_waitcnt vmcnt(1)
	v_mul_f64 v[13:14], v[11:12], v[15:16]
	s_waitcnt vmcnt(0)
	v_sub_co_u32 v15, vcc_lo, v17, s13
	v_subrev_co_ci_u32_e32 v16, vcc_lo, 0, v18, vcc_lo
	s_delay_alu instid0(VALU_DEP_2) | instskip(NEXT) | instid1(VALU_DEP_1)
	v_mul_lo_u32 v17, 0x89, v15
	v_and_b32_e32 v23, 0xff, v17
	s_branch .LBB102_16
.LBB102_15:                             ;   in Loop: Header=BB102_16 Depth=3
	s_or_b32 exec_lo, exec_lo, s38
	s_xor_b32 s38, s39, -1
	s_delay_alu instid0(SALU_CYCLE_1) | instskip(NEXT) | instid1(SALU_CYCLE_1)
	s_and_b32 s38, exec_lo, s38
	s_or_b32 s37, s38, s37
	s_delay_alu instid0(SALU_CYCLE_1)
	s_and_not1_b32 exec_lo, exec_lo, s37
	s_cbranch_execz .LBB102_13
.LBB102_16:                             ;   Parent Loop BB102_11 Depth=1
                                        ;     Parent Loop BB102_14 Depth=2
                                        ; =>    This Loop Header: Depth=3
                                        ;         Child Loop BB102_22 Depth 4
                                        ;         Child Loop BB102_28 Depth 4
	s_delay_alu instid0(VALU_DEP_1)
	v_lshl_add_u32 v24, v23, 3, 0
	s_mov_b32 s38, exec_lo
                                        ; implicit-def: $sgpr39
	ds_load_b64 v[17:18], v24
	s_waitcnt lgkmcnt(0)
	v_cmpx_ne_u64_e64 v[17:18], v[15:16]
	s_xor_b32 s38, exec_lo, s38
	s_cbranch_execz .LBB102_26
; %bb.17:                               ;   in Loop: Header=BB102_16 Depth=3
	s_mov_b32 s40, exec_lo
                                        ; implicit-def: $sgpr39
	v_cmpx_ne_u64_e64 s[24:25], v[17:18]
	s_xor_b32 s40, exec_lo, s40
; %bb.18:                               ;   in Loop: Header=BB102_16 Depth=3
	v_add_nc_u32_e32 v17, 1, v23
	s_mov_b32 s39, -1
                                        ; implicit-def: $vgpr24
	s_delay_alu instid0(VALU_DEP_1)
	v_and_b32_e32 v23, 0xff, v17
; %bb.19:                               ;   in Loop: Header=BB102_16 Depth=3
	s_and_not1_saveexec_b32 s40, s40
	s_cbranch_execz .LBB102_25
; %bb.20:                               ;   in Loop: Header=BB102_16 Depth=3
	v_dual_mov_b32 v17, s24 :: v_dual_mov_b32 v18, s25
	s_mov_b32 s42, -1
	s_mov_b32 s41, exec_lo
	ds_cmpstore_rtn_b64 v[17:18], v24, v[15:16], v[17:18]
	s_waitcnt lgkmcnt(0)
	v_cmpx_eq_u64_e64 s[24:25], v[17:18]
	s_cbranch_execz .LBB102_24
; %bb.21:                               ;   in Loop: Header=BB102_16 Depth=3
	ds_load_b64 v[17:18], v24 offset:2048
	s_mov_b32 s42, 0
.LBB102_22:                             ;   Parent Loop BB102_11 Depth=1
                                        ;     Parent Loop BB102_14 Depth=2
                                        ;       Parent Loop BB102_16 Depth=3
                                        ; =>      This Inner Loop Header: Depth=4
	s_waitcnt lgkmcnt(0)
	v_add_f64 v[25:26], v[17:18], v[13:14]
	ds_cmpstore_rtn_b64 v[25:26], v24, v[25:26], v[17:18] offset:2048
	s_waitcnt lgkmcnt(0)
	v_cmp_eq_u64_e32 vcc_lo, v[25:26], v[17:18]
	v_dual_mov_b32 v17, v25 :: v_dual_mov_b32 v18, v26
	s_or_b32 s42, vcc_lo, s42
	s_delay_alu instid0(SALU_CYCLE_1)
	s_and_not1_b32 exec_lo, exec_lo, s42
	s_cbranch_execnz .LBB102_22
; %bb.23:                               ;   in Loop: Header=BB102_16 Depth=3
	s_or_b32 exec_lo, exec_lo, s42
	s_delay_alu instid0(SALU_CYCLE_1)
	s_xor_b32 s42, exec_lo, -1
.LBB102_24:                             ;   in Loop: Header=BB102_16 Depth=3
	s_or_b32 exec_lo, exec_lo, s41
	s_delay_alu instid0(SALU_CYCLE_1) | instskip(SKIP_1) | instid1(SALU_CYCLE_1)
	s_and_not1_b32 s39, s39, exec_lo
	s_and_b32 s41, s42, exec_lo
	s_or_b32 s39, s39, s41
.LBB102_25:                             ;   in Loop: Header=BB102_16 Depth=3
	s_or_b32 exec_lo, exec_lo, s40
	s_delay_alu instid0(SALU_CYCLE_1)
	s_and_b32 s39, s39, exec_lo
                                        ; implicit-def: $vgpr24
.LBB102_26:                             ;   in Loop: Header=BB102_16 Depth=3
	s_and_not1_saveexec_b32 s38, s38
	s_cbranch_execz .LBB102_15
; %bb.27:                               ;   in Loop: Header=BB102_16 Depth=3
	ds_load_b64 v[17:18], v24 offset:2048
	s_mov_b32 s40, 0
.LBB102_28:                             ;   Parent Loop BB102_11 Depth=1
                                        ;     Parent Loop BB102_14 Depth=2
                                        ;       Parent Loop BB102_16 Depth=3
                                        ; =>      This Inner Loop Header: Depth=4
	s_waitcnt lgkmcnt(0)
	v_add_f64 v[25:26], v[17:18], v[13:14]
	ds_cmpstore_rtn_b64 v[25:26], v24, v[25:26], v[17:18] offset:2048
	s_waitcnt lgkmcnt(0)
	v_cmp_eq_u64_e32 vcc_lo, v[25:26], v[17:18]
	v_dual_mov_b32 v17, v25 :: v_dual_mov_b32 v18, v26
	s_or_b32 s40, vcc_lo, s40
	s_delay_alu instid0(SALU_CYCLE_1)
	s_and_not1_b32 exec_lo, exec_lo, s40
	s_cbranch_execnz .LBB102_28
; %bb.29:                               ;   in Loop: Header=BB102_16 Depth=3
	s_or_b32 exec_lo, exec_lo, s40
	s_delay_alu instid0(SALU_CYCLE_1)
	s_and_not1_b32 s39, s39, exec_lo
	s_branch .LBB102_15
.LBB102_30:
	s_or_b32 exec_lo, exec_lo, s1
.LBB102_31:
	s_delay_alu instid0(SALU_CYCLE_1)
	s_and_not1_b32 vcc_lo, exec_lo, s33
	s_cbranch_vccnz .LBB102_52
; %bb.32:
	s_waitcnt lgkmcnt(0)
	s_lshl_b64 s[2:3], s[26:27], 3
	v_sub_co_u32 v3, s1, v0, s23
	s_add_u32 s2, s4, s2
	s_addc_u32 s3, s5, s3
	v_sub_co_ci_u32_e64 v4, null, 0, 0, s1
	s_load_b128 s[12:15], s[2:3], 0x0
	s_mov_b32 s1, 0
	s_mov_b32 s4, exec_lo
	s_waitcnt lgkmcnt(0)
	v_add_co_u32 v3, vcc_lo, s12, v3
	v_add_co_ci_u32_e32 v4, vcc_lo, s13, v4, vcc_lo
	s_sub_u32 s2, s14, s23
	s_subb_u32 s3, s15, 0
	s_delay_alu instid0(VALU_DEP_1) | instid1(SALU_CYCLE_1)
	v_cmpx_gt_i64_e64 s[2:3], v[3:4]
	s_cbranch_execz .LBB102_51
; %bb.33:
	s_mov_b32 s5, s23
	s_branch .LBB102_35
.LBB102_34:                             ;   in Loop: Header=BB102_35 Depth=1
	s_or_b32 exec_lo, exec_lo, s12
	v_add_co_u32 v3, vcc_lo, 0x80, v3
	v_add_co_ci_u32_e32 v4, vcc_lo, 0, v4, vcc_lo
	s_delay_alu instid0(VALU_DEP_1) | instskip(SKIP_1) | instid1(SALU_CYCLE_1)
	v_cmp_le_i64_e32 vcc_lo, s[2:3], v[3:4]
	s_or_b32 s1, vcc_lo, s1
	s_and_not1_b32 exec_lo, exec_lo, s1
	s_cbranch_execz .LBB102_51
.LBB102_35:                             ; =>This Loop Header: Depth=1
                                        ;     Child Loop BB102_37 Depth 2
                                        ;       Child Loop BB102_43 Depth 3
                                        ;       Child Loop BB102_49 Depth 3
	v_lshlrev_b64 v[5:6], 3, v[3:4]
	s_mov_b32 s12, 0
	s_delay_alu instid0(VALU_DEP_1) | instskip(NEXT) | instid1(VALU_DEP_2)
	v_add_co_u32 v7, vcc_lo, s8, v5
	v_add_co_ci_u32_e32 v8, vcc_lo, s9, v6, vcc_lo
	v_add_co_u32 v5, vcc_lo, s6, v5
	v_add_co_ci_u32_e32 v6, vcc_lo, s7, v6, vcc_lo
	global_load_b64 v[7:8], v[7:8], off
	global_load_b64 v[9:10], v[5:6], off
	s_waitcnt vmcnt(1)
	v_mul_f64 v[5:6], v[1:2], v[7:8]
	s_waitcnt vmcnt(0)
	v_sub_co_u32 v7, vcc_lo, v9, s5
	v_subrev_co_ci_u32_e32 v8, vcc_lo, 0, v10, vcc_lo
	s_delay_alu instid0(VALU_DEP_2) | instskip(NEXT) | instid1(VALU_DEP_1)
	v_mul_lo_u32 v9, 0x89, v7
	v_and_b32_e32 v11, 0xff, v9
	s_branch .LBB102_37
.LBB102_36:                             ;   in Loop: Header=BB102_37 Depth=2
	s_or_b32 exec_lo, exec_lo, s13
	s_xor_b32 s13, s14, -1
	s_delay_alu instid0(SALU_CYCLE_1) | instskip(NEXT) | instid1(SALU_CYCLE_1)
	s_and_b32 s13, exec_lo, s13
	s_or_b32 s12, s13, s12
	s_delay_alu instid0(SALU_CYCLE_1)
	s_and_not1_b32 exec_lo, exec_lo, s12
	s_cbranch_execz .LBB102_34
.LBB102_37:                             ;   Parent Loop BB102_35 Depth=1
                                        ; =>  This Loop Header: Depth=2
                                        ;       Child Loop BB102_43 Depth 3
                                        ;       Child Loop BB102_49 Depth 3
	s_delay_alu instid0(VALU_DEP_1)
	v_lshl_add_u32 v12, v11, 3, 0
	s_mov_b32 s13, exec_lo
                                        ; implicit-def: $sgpr14
	ds_load_b64 v[9:10], v12
	s_waitcnt lgkmcnt(0)
	v_cmpx_ne_u64_e64 v[9:10], v[7:8]
	s_xor_b32 s13, exec_lo, s13
	s_cbranch_execz .LBB102_47
; %bb.38:                               ;   in Loop: Header=BB102_37 Depth=2
	s_mov_b32 s15, exec_lo
                                        ; implicit-def: $sgpr14
	v_cmpx_ne_u64_e64 s[24:25], v[9:10]
	s_xor_b32 s15, exec_lo, s15
; %bb.39:                               ;   in Loop: Header=BB102_37 Depth=2
	v_add_nc_u32_e32 v9, 1, v11
	s_mov_b32 s14, -1
                                        ; implicit-def: $vgpr12
	s_delay_alu instid0(VALU_DEP_1)
	v_and_b32_e32 v11, 0xff, v9
; %bb.40:                               ;   in Loop: Header=BB102_37 Depth=2
	s_and_not1_saveexec_b32 s15, s15
	s_cbranch_execz .LBB102_46
; %bb.41:                               ;   in Loop: Header=BB102_37 Depth=2
	v_dual_mov_b32 v9, s24 :: v_dual_mov_b32 v10, s25
	s_mov_b32 s17, -1
	s_mov_b32 s16, exec_lo
	ds_cmpstore_rtn_b64 v[9:10], v12, v[7:8], v[9:10]
	s_waitcnt lgkmcnt(0)
	v_cmpx_eq_u64_e64 s[24:25], v[9:10]
	s_cbranch_execz .LBB102_45
; %bb.42:                               ;   in Loop: Header=BB102_37 Depth=2
	ds_load_b64 v[9:10], v12 offset:2048
	s_mov_b32 s17, 0
.LBB102_43:                             ;   Parent Loop BB102_35 Depth=1
                                        ;     Parent Loop BB102_37 Depth=2
                                        ; =>    This Inner Loop Header: Depth=3
	s_waitcnt lgkmcnt(0)
	v_add_f64 v[13:14], v[9:10], v[5:6]
	ds_cmpstore_rtn_b64 v[13:14], v12, v[13:14], v[9:10] offset:2048
	s_waitcnt lgkmcnt(0)
	v_cmp_eq_u64_e32 vcc_lo, v[13:14], v[9:10]
	v_dual_mov_b32 v9, v13 :: v_dual_mov_b32 v10, v14
	s_or_b32 s17, vcc_lo, s17
	s_delay_alu instid0(SALU_CYCLE_1)
	s_and_not1_b32 exec_lo, exec_lo, s17
	s_cbranch_execnz .LBB102_43
; %bb.44:                               ;   in Loop: Header=BB102_37 Depth=2
	s_or_b32 exec_lo, exec_lo, s17
	s_delay_alu instid0(SALU_CYCLE_1)
	s_xor_b32 s17, exec_lo, -1
.LBB102_45:                             ;   in Loop: Header=BB102_37 Depth=2
	s_or_b32 exec_lo, exec_lo, s16
	s_delay_alu instid0(SALU_CYCLE_1) | instskip(SKIP_1) | instid1(SALU_CYCLE_1)
	s_and_not1_b32 s14, s14, exec_lo
	s_and_b32 s16, s17, exec_lo
	s_or_b32 s14, s14, s16
.LBB102_46:                             ;   in Loop: Header=BB102_37 Depth=2
	s_or_b32 exec_lo, exec_lo, s15
	s_delay_alu instid0(SALU_CYCLE_1)
	s_and_b32 s14, s14, exec_lo
                                        ; implicit-def: $vgpr12
.LBB102_47:                             ;   in Loop: Header=BB102_37 Depth=2
	s_and_not1_saveexec_b32 s13, s13
	s_cbranch_execz .LBB102_36
; %bb.48:                               ;   in Loop: Header=BB102_37 Depth=2
	ds_load_b64 v[9:10], v12 offset:2048
	s_mov_b32 s15, 0
.LBB102_49:                             ;   Parent Loop BB102_35 Depth=1
                                        ;     Parent Loop BB102_37 Depth=2
                                        ; =>    This Inner Loop Header: Depth=3
	s_waitcnt lgkmcnt(0)
	v_add_f64 v[13:14], v[9:10], v[5:6]
	ds_cmpstore_rtn_b64 v[13:14], v12, v[13:14], v[9:10] offset:2048
	s_waitcnt lgkmcnt(0)
	v_cmp_eq_u64_e32 vcc_lo, v[13:14], v[9:10]
	v_dual_mov_b32 v9, v13 :: v_dual_mov_b32 v10, v14
	s_or_b32 s15, vcc_lo, s15
	s_delay_alu instid0(SALU_CYCLE_1)
	s_and_not1_b32 exec_lo, exec_lo, s15
	s_cbranch_execnz .LBB102_49
; %bb.50:                               ;   in Loop: Header=BB102_37 Depth=2
	s_or_b32 exec_lo, exec_lo, s15
	s_delay_alu instid0(SALU_CYCLE_1)
	s_and_not1_b32 s14, s14, exec_lo
	s_branch .LBB102_36
.LBB102_51:
	s_or_b32 exec_lo, exec_lo, s4
.LBB102_52:
	s_waitcnt lgkmcnt(0)
	s_barrier
	buffer_gl0_inv
	s_and_saveexec_b32 s4, s0
	s_cbranch_execz .LBB102_65
; %bb.53:
	v_mbcnt_lo_u32_b32 v1, -1, 0
	v_lshrrev_b32_e32 v2, 2, v0
	v_cmp_eq_u32_e32 vcc_lo, 0x7f, v0
	v_cmp_lt_u32_e64 s0, 31, v0
	v_cmp_lt_u32_e64 s1, 63, v0
	v_xor_b32_e32 v1, 63, v1
	v_and_b32_e32 v2, 24, v2
	v_cmp_lt_u32_e64 s2, 0x5f, v0
	s_mov_b32 s5, 0
	v_mov_b32_e32 v9, 0
	v_lshrrev_b64 v[5:6], v1, -1
	v_mov_b32_e32 v6, 0
	v_dual_mov_b32 v7, 0 :: v_dual_add_nc_u32 v12, 0, v2
	s_branch .LBB102_55
.LBB102_54:                             ;   in Loop: Header=BB102_55 Depth=1
	s_or_b32 exec_lo, exec_lo, s3
	s_waitcnt lgkmcnt(0)
	s_barrier
	buffer_gl0_inv
	ds_load_b64 v[1:2], v9 offset:4120
	v_add_co_u32 v19, s3, 0x80, v19
	s_delay_alu instid0(VALU_DEP_1) | instskip(SKIP_3) | instid1(VALU_DEP_1)
	s_xor_b32 s6, s3, -1
	v_add_nc_u32_e32 v20, 0x400, v20
	s_waitcnt lgkmcnt(0)
	v_add_co_u32 v6, s3, v1, v6
	v_add_co_ci_u32_e64 v7, s3, v2, v7, s3
	s_and_b32 s3, exec_lo, s6
	s_delay_alu instid0(SALU_CYCLE_1) | instskip(NEXT) | instid1(SALU_CYCLE_1)
	s_or_b32 s5, s3, s5
	s_and_not1_b32 exec_lo, exec_lo, s5
	s_cbranch_execz .LBB102_65
.LBB102_55:                             ; =>This Inner Loop Header: Depth=1
	ds_load_2addr_stride64_b64 v[1:4], v20 offset1:4
	s_waitcnt lgkmcnt(0)
	s_barrier
	buffer_gl0_inv
	v_cmp_gt_i64_e64 s3, s[24:25], v[1:2]
	s_delay_alu instid0(VALU_DEP_1) | instskip(SKIP_1) | instid1(SALU_CYCLE_1)
	v_and_b32_e32 v10, s3, v5
	s_bcnt1_i32_b32 s6, s3
	v_mov_b32_e32 v8, s6
	s_delay_alu instid0(VALU_DEP_2)
	v_bcnt_u32_b32 v10, v10, 0
	ds_store_b64 v12, v[8:9] offset:4096
	s_waitcnt lgkmcnt(0)
	s_barrier
	buffer_gl0_inv
	s_and_saveexec_b32 s6, s0
	s_cbranch_execnz .LBB102_60
; %bb.56:                               ;   in Loop: Header=BB102_55 Depth=1
	s_or_b32 exec_lo, exec_lo, s6
	s_and_saveexec_b32 s6, s1
	s_cbranch_execnz .LBB102_61
.LBB102_57:                             ;   in Loop: Header=BB102_55 Depth=1
	s_or_b32 exec_lo, exec_lo, s6
	s_and_saveexec_b32 s6, s2
	s_cbranch_execnz .LBB102_62
.LBB102_58:                             ;   in Loop: Header=BB102_55 Depth=1
	s_or_b32 exec_lo, exec_lo, s6
	v_ashrrev_i32_e32 v11, 31, v10
	s_and_saveexec_b32 s6, s3
	s_cbranch_execnz .LBB102_63
.LBB102_59:                             ;   in Loop: Header=BB102_55 Depth=1
	s_or_b32 exec_lo, exec_lo, s6
	s_and_saveexec_b32 s3, vcc_lo
	s_cbranch_execz .LBB102_54
	s_branch .LBB102_64
.LBB102_60:                             ;   in Loop: Header=BB102_55 Depth=1
	ds_load_b32 v8, v9 offset:4096
	s_waitcnt lgkmcnt(0)
	v_add_nc_u32_e32 v10, v8, v10
	s_or_b32 exec_lo, exec_lo, s6
	s_and_saveexec_b32 s6, s1
	s_cbranch_execz .LBB102_57
.LBB102_61:                             ;   in Loop: Header=BB102_55 Depth=1
	ds_load_b32 v8, v9 offset:4104
	s_waitcnt lgkmcnt(0)
	v_add_nc_u32_e32 v10, v10, v8
	s_or_b32 exec_lo, exec_lo, s6
	s_and_saveexec_b32 s6, s2
	s_cbranch_execz .LBB102_58
.LBB102_62:                             ;   in Loop: Header=BB102_55 Depth=1
	ds_load_b32 v8, v9 offset:4112
	s_waitcnt lgkmcnt(0)
	v_add_nc_u32_e32 v10, v10, v8
	s_or_b32 exec_lo, exec_lo, s6
	s_delay_alu instid0(VALU_DEP_1)
	v_ashrrev_i32_e32 v11, 31, v10
	s_and_saveexec_b32 s6, s3
	s_cbranch_execz .LBB102_59
.LBB102_63:                             ;   in Loop: Header=BB102_55 Depth=1
	v_add3_u32 v8, v6, -1, v10
	s_delay_alu instid0(VALU_DEP_1)
	v_lshl_add_u32 v8, v8, 3, 0
	ds_store_2addr_stride64_b64 v8, v[1:2], v[3:4] offset1:4
	s_or_b32 exec_lo, exec_lo, s6
	s_and_saveexec_b32 s3, vcc_lo
	s_cbranch_execz .LBB102_54
.LBB102_64:                             ;   in Loop: Header=BB102_55 Depth=1
	ds_store_b64 v9, v[10:11] offset:4120
	s_branch .LBB102_54
.LBB102_65:
	s_or_b32 exec_lo, exec_lo, s4
	s_lshl_b64 s[0:1], s[26:27], 3
	v_mov_b32_e32 v1, 0
	s_add_u32 s0, s10, s0
	s_addc_u32 s1, s11, s1
	s_mov_b32 s6, exec_lo
	s_load_b128 s[0:3], s[0:1], 0x0
	s_waitcnt lgkmcnt(0)
	s_sub_u32 s4, s2, s0
	s_subb_u32 s5, s3, s1
	s_delay_alu instid0(SALU_CYCLE_1)
	v_cmpx_gt_i64_e64 s[4:5], v[0:1]
	s_cbranch_execz .LBB102_75
; %bb.66:
	s_sub_u32 s8, s0, s22
	s_subb_u32 s9, s1, 0
	s_and_b32 s6, s4, 7
	s_sub_u32 s0, s0, s2
	s_subb_u32 s1, s1, s3
	s_mov_b32 s7, 0
	v_cmp_lt_u64_e64 s12, s[0:1], -7
	s_and_b32 s2, s4, -8
	s_cmp_lg_u64 s[6:7], 0
	s_mov_b32 s3, s5
	s_cselect_b32 s13, -1, 0
	s_mov_b32 s14, s7
	s_branch .LBB102_68
.LBB102_67:                             ;   in Loop: Header=BB102_68 Depth=1
	v_add_co_u32 v0, vcc_lo, 0x80, v0
	v_add_co_ci_u32_e32 v1, vcc_lo, 0, v1, vcc_lo
	s_waitcnt lgkmcnt(0)
	v_lshlrev_b64 v[2:3], 3, v[6:7]
	s_delay_alu instid0(VALU_DEP_2) | instskip(NEXT) | instid1(VALU_DEP_2)
	v_cmp_le_i64_e32 vcc_lo, s[4:5], v[0:1]
	v_add_co_u32 v2, s0, s34, v2
	s_delay_alu instid0(VALU_DEP_1)
	v_add_co_ci_u32_e64 v3, s0, s35, v3, s0
	s_or_b32 s14, vcc_lo, s14
	global_store_b64 v[2:3], v[4:5], off
	s_and_not1_b32 exec_lo, exec_lo, s14
	s_cbranch_execz .LBB102_75
.LBB102_68:                             ; =>This Loop Header: Depth=1
                                        ;     Child Loop BB102_70 Depth 2
                                        ;     Child Loop BB102_74 Depth 2
	v_lshl_add_u32 v2, v0, 3, 0
	v_dual_mov_b32 v6, s8 :: v_dual_mov_b32 v7, s9
	s_and_not1_b32 vcc_lo, exec_lo, s12
	s_mov_b64 s[0:1], 0
	ds_load_2addr_stride64_b64 v[2:5], v2 offset1:4
	s_cbranch_vccnz .LBB102_72
; %bb.69:                               ;   in Loop: Header=BB102_68 Depth=1
	v_dual_mov_b32 v6, s8 :: v_dual_mov_b32 v7, s9
	s_mov_b64 s[10:11], 0
	s_mov_b32 s1, 0
.LBB102_70:                             ;   Parent Loop BB102_68 Depth=1
                                        ; =>  This Inner Loop Header: Depth=2
	s_delay_alu instid0(SALU_CYCLE_1)
	v_mov_b32_e32 v20, s1
	s_add_u32 s10, s10, 8
	s_addc_u32 s11, s11, 0
	s_add_i32 s1, s1, 64
	s_cmp_eq_u64 s[2:3], s[10:11]
	ds_load_2addr_b64 v[8:11], v20 offset1:1
	ds_load_2addr_b64 v[12:15], v20 offset0:2 offset1:3
	ds_load_2addr_b64 v[16:19], v20 offset0:4 offset1:5
	;; [unrolled: 1-line block ×3, first 2 shown]
	s_waitcnt lgkmcnt(3)
	v_cmp_gt_i64_e32 vcc_lo, v[2:3], v[8:9]
	v_cndmask_b32_e64 v8, 0, 1, vcc_lo
	v_cmp_gt_i64_e32 vcc_lo, v[2:3], v[10:11]
	v_cndmask_b32_e64 v9, 0, 1, vcc_lo
	s_waitcnt lgkmcnt(2)
	v_cmp_gt_i64_e32 vcc_lo, v[2:3], v[12:13]
	v_cndmask_b32_e64 v10, 0, 1, vcc_lo
	v_cmp_gt_i64_e32 vcc_lo, v[2:3], v[14:15]
	v_cndmask_b32_e64 v11, 0, 1, vcc_lo
	s_waitcnt lgkmcnt(1)
	v_cmp_gt_i64_e32 vcc_lo, v[2:3], v[16:17]
	v_cndmask_b32_e64 v12, 0, 1, vcc_lo
	v_add_co_u32 v6, vcc_lo, v6, v8
	v_add_co_ci_u32_e32 v7, vcc_lo, 0, v7, vcc_lo
	v_cmp_gt_i64_e32 vcc_lo, v[2:3], v[18:19]
	s_delay_alu instid0(VALU_DEP_3) | instskip(NEXT) | instid1(VALU_DEP_1)
	v_add_co_u32 v6, s0, v6, v9
	v_add_co_ci_u32_e64 v7, s0, 0, v7, s0
	v_cndmask_b32_e64 v8, 0, 1, vcc_lo
	s_delay_alu instid0(VALU_DEP_3) | instskip(NEXT) | instid1(VALU_DEP_3)
	v_add_co_u32 v6, vcc_lo, v6, v10
	v_add_co_ci_u32_e32 v7, vcc_lo, 0, v7, vcc_lo
	s_waitcnt lgkmcnt(0)
	v_cmp_gt_i64_e32 vcc_lo, v[2:3], v[20:21]
	s_delay_alu instid0(VALU_DEP_3) | instskip(NEXT) | instid1(VALU_DEP_1)
	v_add_co_u32 v6, s0, v6, v11
	v_add_co_ci_u32_e64 v7, s0, 0, v7, s0
	v_cndmask_b32_e64 v9, 0, 1, vcc_lo
	s_delay_alu instid0(VALU_DEP_3) | instskip(NEXT) | instid1(VALU_DEP_3)
	v_add_co_u32 v6, vcc_lo, v6, v12
	v_add_co_ci_u32_e32 v7, vcc_lo, 0, v7, vcc_lo
	v_cmp_gt_i64_e32 vcc_lo, v[2:3], v[22:23]
	s_delay_alu instid0(VALU_DEP_3) | instskip(NEXT) | instid1(VALU_DEP_1)
	v_add_co_u32 v6, s0, v6, v8
	v_add_co_ci_u32_e64 v7, s0, 0, v7, s0
	v_cndmask_b32_e64 v8, 0, 1, vcc_lo
	s_delay_alu instid0(VALU_DEP_3) | instskip(NEXT) | instid1(VALU_DEP_3)
	v_add_co_u32 v6, vcc_lo, v6, v9
	v_add_co_ci_u32_e32 v7, vcc_lo, 0, v7, vcc_lo
	s_delay_alu instid0(VALU_DEP_2) | instskip(NEXT) | instid1(VALU_DEP_2)
	v_add_co_u32 v6, vcc_lo, v6, v8
	v_add_co_ci_u32_e32 v7, vcc_lo, 0, v7, vcc_lo
	s_cbranch_scc0 .LBB102_70
; %bb.71:                               ;   in Loop: Header=BB102_68 Depth=1
	s_mov_b64 s[0:1], s[2:3]
.LBB102_72:                             ;   in Loop: Header=BB102_68 Depth=1
	s_and_not1_b32 vcc_lo, exec_lo, s13
	s_cbranch_vccnz .LBB102_67
; %bb.73:                               ;   in Loop: Header=BB102_68 Depth=1
	s_lshl_b32 s0, s0, 3
	s_delay_alu instid0(SALU_CYCLE_1)
	s_add_i32 s10, s0, 0
	s_mov_b64 s[0:1], s[6:7]
.LBB102_74:                             ;   Parent Loop BB102_68 Depth=1
                                        ; =>  This Inner Loop Header: Depth=2
	v_mov_b32_e32 v8, s10
	s_add_i32 s10, s10, 8
	s_add_u32 s0, s0, -1
	s_addc_u32 s1, s1, -1
	s_delay_alu instid0(SALU_CYCLE_1) | instskip(SKIP_4) | instid1(VALU_DEP_1)
	s_cmp_lg_u64 s[0:1], 0
	ds_load_b64 v[8:9], v8
	s_waitcnt lgkmcnt(0)
	v_cmp_gt_i64_e32 vcc_lo, v[2:3], v[8:9]
	v_cndmask_b32_e64 v8, 0, 1, vcc_lo
	v_add_co_u32 v6, vcc_lo, v6, v8
	v_add_co_ci_u32_e32 v7, vcc_lo, 0, v7, vcc_lo
	s_cbranch_scc1 .LBB102_74
	s_branch .LBB102_67
.LBB102_75:
	s_nop 0
	s_sendmsg sendmsg(MSG_DEALLOC_VGPRS)
	s_endpgm
	.section	.rodata,"a",@progbits
	.p2align	6, 0x0
	.amdhsa_kernel _ZN9rocsparseL41csrgemm_numeric_fill_block_per_row_kernelILj128ELj16ELj256ELj137ELj32ElldEEvT5_PKS1_S3_NS_24const_host_device_scalarIT6_EEPKT4_S3_PKS5_S9_S3_SB_S6_S9_S3_SB_S9_S3_PS5_21rocsparse_index_base_SD_SD_SD_bbb
		.amdhsa_group_segment_fixed_size 0
		.amdhsa_private_segment_fixed_size 0
		.amdhsa_kernarg_size 156
		.amdhsa_user_sgpr_count 15
		.amdhsa_user_sgpr_dispatch_ptr 0
		.amdhsa_user_sgpr_queue_ptr 0
		.amdhsa_user_sgpr_kernarg_segment_ptr 1
		.amdhsa_user_sgpr_dispatch_id 0
		.amdhsa_user_sgpr_private_segment_size 0
		.amdhsa_wavefront_size32 1
		.amdhsa_uses_dynamic_stack 0
		.amdhsa_enable_private_segment 0
		.amdhsa_system_sgpr_workgroup_id_x 1
		.amdhsa_system_sgpr_workgroup_id_y 0
		.amdhsa_system_sgpr_workgroup_id_z 0
		.amdhsa_system_sgpr_workgroup_info 0
		.amdhsa_system_vgpr_workitem_id 0
		.amdhsa_next_free_vgpr 27
		.amdhsa_next_free_sgpr 43
		.amdhsa_reserve_vcc 1
		.amdhsa_float_round_mode_32 0
		.amdhsa_float_round_mode_16_64 0
		.amdhsa_float_denorm_mode_32 3
		.amdhsa_float_denorm_mode_16_64 3
		.amdhsa_dx10_clamp 1
		.amdhsa_ieee_mode 1
		.amdhsa_fp16_overflow 0
		.amdhsa_workgroup_processor_mode 1
		.amdhsa_memory_ordered 1
		.amdhsa_forward_progress 0
		.amdhsa_shared_vgpr_count 0
		.amdhsa_exception_fp_ieee_invalid_op 0
		.amdhsa_exception_fp_denorm_src 0
		.amdhsa_exception_fp_ieee_div_zero 0
		.amdhsa_exception_fp_ieee_overflow 0
		.amdhsa_exception_fp_ieee_underflow 0
		.amdhsa_exception_fp_ieee_inexact 0
		.amdhsa_exception_int_div_zero 0
	.end_amdhsa_kernel
	.section	.text._ZN9rocsparseL41csrgemm_numeric_fill_block_per_row_kernelILj128ELj16ELj256ELj137ELj32ElldEEvT5_PKS1_S3_NS_24const_host_device_scalarIT6_EEPKT4_S3_PKS5_S9_S3_SB_S6_S9_S3_SB_S9_S3_PS5_21rocsparse_index_base_SD_SD_SD_bbb,"axG",@progbits,_ZN9rocsparseL41csrgemm_numeric_fill_block_per_row_kernelILj128ELj16ELj256ELj137ELj32ElldEEvT5_PKS1_S3_NS_24const_host_device_scalarIT6_EEPKT4_S3_PKS5_S9_S3_SB_S6_S9_S3_SB_S9_S3_PS5_21rocsparse_index_base_SD_SD_SD_bbb,comdat
.Lfunc_end102:
	.size	_ZN9rocsparseL41csrgemm_numeric_fill_block_per_row_kernelILj128ELj16ELj256ELj137ELj32ElldEEvT5_PKS1_S3_NS_24const_host_device_scalarIT6_EEPKT4_S3_PKS5_S9_S3_SB_S6_S9_S3_SB_S9_S3_PS5_21rocsparse_index_base_SD_SD_SD_bbb, .Lfunc_end102-_ZN9rocsparseL41csrgemm_numeric_fill_block_per_row_kernelILj128ELj16ELj256ELj137ELj32ElldEEvT5_PKS1_S3_NS_24const_host_device_scalarIT6_EEPKT4_S3_PKS5_S9_S3_SB_S6_S9_S3_SB_S9_S3_PS5_21rocsparse_index_base_SD_SD_SD_bbb
                                        ; -- End function
	.section	.AMDGPU.csdata,"",@progbits
; Kernel info:
; codeLenInByte = 3088
; NumSgprs: 45
; NumVgprs: 27
; ScratchSize: 0
; MemoryBound: 0
; FloatMode: 240
; IeeeMode: 1
; LDSByteSize: 0 bytes/workgroup (compile time only)
; SGPRBlocks: 5
; VGPRBlocks: 3
; NumSGPRsForWavesPerEU: 45
; NumVGPRsForWavesPerEU: 27
; Occupancy: 16
; WaveLimiterHint : 1
; COMPUTE_PGM_RSRC2:SCRATCH_EN: 0
; COMPUTE_PGM_RSRC2:USER_SGPR: 15
; COMPUTE_PGM_RSRC2:TRAP_HANDLER: 0
; COMPUTE_PGM_RSRC2:TGID_X_EN: 1
; COMPUTE_PGM_RSRC2:TGID_Y_EN: 0
; COMPUTE_PGM_RSRC2:TGID_Z_EN: 0
; COMPUTE_PGM_RSRC2:TIDIG_COMP_CNT: 0
	.section	.text._ZN9rocsparseL41csrgemm_numeric_fill_block_per_row_kernelILj128ELj16ELj256ELj137ELj64ElldEEvT5_PKS1_S3_NS_24const_host_device_scalarIT6_EEPKT4_S3_PKS5_S9_S3_SB_S6_S9_S3_SB_S9_S3_PS5_21rocsparse_index_base_SD_SD_SD_bbb,"axG",@progbits,_ZN9rocsparseL41csrgemm_numeric_fill_block_per_row_kernelILj128ELj16ELj256ELj137ELj64ElldEEvT5_PKS1_S3_NS_24const_host_device_scalarIT6_EEPKT4_S3_PKS5_S9_S3_SB_S6_S9_S3_SB_S9_S3_PS5_21rocsparse_index_base_SD_SD_SD_bbb,comdat
	.globl	_ZN9rocsparseL41csrgemm_numeric_fill_block_per_row_kernelILj128ELj16ELj256ELj137ELj64ElldEEvT5_PKS1_S3_NS_24const_host_device_scalarIT6_EEPKT4_S3_PKS5_S9_S3_SB_S6_S9_S3_SB_S9_S3_PS5_21rocsparse_index_base_SD_SD_SD_bbb ; -- Begin function _ZN9rocsparseL41csrgemm_numeric_fill_block_per_row_kernelILj128ELj16ELj256ELj137ELj64ElldEEvT5_PKS1_S3_NS_24const_host_device_scalarIT6_EEPKT4_S3_PKS5_S9_S3_SB_S6_S9_S3_SB_S9_S3_PS5_21rocsparse_index_base_SD_SD_SD_bbb
	.p2align	8
	.type	_ZN9rocsparseL41csrgemm_numeric_fill_block_per_row_kernelILj128ELj16ELj256ELj137ELj64ElldEEvT5_PKS1_S3_NS_24const_host_device_scalarIT6_EEPKT4_S3_PKS5_S9_S3_SB_S6_S9_S3_SB_S9_S3_PS5_21rocsparse_index_base_SD_SD_SD_bbb,@function
_ZN9rocsparseL41csrgemm_numeric_fill_block_per_row_kernelILj128ELj16ELj256ELj137ELj64ElldEEvT5_PKS1_S3_NS_24const_host_device_scalarIT6_EEPKT4_S3_PKS5_S9_S3_SB_S6_S9_S3_SB_S9_S3_PS5_21rocsparse_index_base_SD_SD_SD_bbb: ; @_ZN9rocsparseL41csrgemm_numeric_fill_block_per_row_kernelILj128ELj16ELj256ELj137ELj64ElldEEvT5_PKS1_S3_NS_24const_host_device_scalarIT6_EEPKT4_S3_PKS5_S9_S3_SB_S6_S9_S3_SB_S9_S3_PS5_21rocsparse_index_base_SD_SD_SD_bbb
; %bb.0:
	s_clause 0x2
	s_load_b32 s3, s[0:1], 0x98
	s_load_b64 s[6:7], s[0:1], 0x18
	s_load_b64 s[4:5], s[0:1], 0x50
	s_mov_b32 s2, s15
	s_waitcnt lgkmcnt(0)
	s_and_b32 s9, 1, s3
	s_bitcmp1_b32 s3, 16
	s_cselect_b32 s8, -1, 0
	s_cmp_eq_u32 s9, 1
	s_cselect_b32 s38, -1, 0
	s_delay_alu instid0(SALU_CYCLE_1)
	s_and_b32 s9, s38, exec_lo
	s_cselect_b32 s11, s7, 0
	s_cselect_b32 s10, s6, 0
	s_xor_b32 s9, s38, -1
	v_dual_mov_b32 v3, s10 :: v_dual_mov_b32 v4, s11
	s_or_b32 s9, s9, s8
	s_delay_alu instid0(SALU_CYCLE_1)
	s_and_b32 vcc_lo, exec_lo, s9
	s_cbranch_vccnz .LBB103_2
; %bb.1:
	v_dual_mov_b32 v1, s6 :: v_dual_mov_b32 v2, s7
	flat_load_b64 v[3:4], v[1:2]
.LBB103_2:
	s_load_b128 s[20:23], s[0:1], 0x88
	s_bitcmp1_b32 s3, 8
	s_cselect_b32 s33, -1, 0
	s_delay_alu instid0(SALU_CYCLE_1)
	s_and_b32 s3, s33, exec_lo
	s_cselect_b32 s7, s5, 0
	s_cselect_b32 s6, s4, 0
	s_xor_b32 s3, s33, -1
	v_dual_mov_b32 v1, s6 :: v_dual_mov_b32 v2, s7
	s_or_b32 s3, s3, s8
	s_delay_alu instid0(SALU_CYCLE_1)
	s_and_b32 vcc_lo, exec_lo, s3
	s_cbranch_vccnz .LBB103_4
; %bb.3:
	v_dual_mov_b32 v1, s4 :: v_dual_mov_b32 v2, s5
	flat_load_b64 v[1:2], v[1:2]
.LBB103_4:
	s_clause 0x5
	s_load_b64 s[34:35], s[0:1], 0x80
	s_load_b256 s[4:11], s[0:1], 0x58
	s_load_b128 s[28:31], s[0:1], 0x40
	s_load_b128 s[24:27], s[0:1], 0x0
	s_load_b64 s[36:37], s[0:1], 0x10
	s_load_b256 s[12:19], s[0:1], 0x20
	v_cmp_gt_u32_e64 s0, 0x100, v0
	v_or_b32_e32 v19, 0xffffff80, v0
	v_lshl_add_u32 v20, v0, 3, 0
	s_delay_alu instid0(VALU_DEP_3)
	s_and_saveexec_b32 s1, s0
	s_cbranch_execz .LBB103_7
; %bb.5:
	v_mov_b32_e32 v5, 0
	s_waitcnt lgkmcnt(0)
	v_mov_b32_e32 v7, s24
	v_or_b32_e32 v9, 0xffffff80, v0
	v_lshl_add_u32 v10, v0, 3, 0
	v_mov_b32_e32 v8, s25
	v_mov_b32_e32 v6, v5
	s_mov_b32 s3, 0
.LBB103_6:                              ; =>This Inner Loop Header: Depth=1
	v_add_co_u32 v9, s39, 0x80, v9
	s_delay_alu instid0(VALU_DEP_1) | instskip(SKIP_3) | instid1(SALU_CYCLE_1)
	s_xor_b32 s39, s39, -1
	ds_store_2addr_stride64_b64 v10, v[7:8], v[5:6] offset1:4
	v_add_nc_u32_e32 v10, 0x400, v10
	s_and_b32 s39, exec_lo, s39
	s_or_b32 s3, s39, s3
	s_delay_alu instid0(SALU_CYCLE_1)
	s_and_not1_b32 exec_lo, exec_lo, s3
	s_cbranch_execnz .LBB103_6
.LBB103_7:
	s_or_b32 exec_lo, exec_lo, s1
	s_waitcnt vmcnt(0) lgkmcnt(0)
	s_barrier
	buffer_gl0_inv
	s_load_b64 s[26:27], s[26:27], 0x0
	s_mov_b32 s3, 0
	s_waitcnt lgkmcnt(0)
	s_lshl_b64 s[26:27], s[26:27], 3
	s_delay_alu instid0(SALU_CYCLE_1) | instskip(SKIP_2) | instid1(SALU_CYCLE_1)
	s_add_u32 s1, s36, s26
	s_addc_u32 s26, s37, s27
	s_lshl_b64 s[2:3], s[2:3], 3
	s_add_u32 s2, s1, s2
	s_addc_u32 s3, s26, s3
	s_and_b32 vcc_lo, exec_lo, s38
	s_load_b64 s[26:27], s[2:3], 0x0
	s_cbranch_vccz .LBB103_31
; %bb.8:
	s_waitcnt lgkmcnt(0)
	s_lshl_b64 s[2:3], s[26:27], 3
	v_lshrrev_b32_e32 v5, 4, v0
	s_add_u32 s2, s12, s2
	s_addc_u32 s3, s13, s3
	s_load_b128 s[36:39], s[2:3], 0x0
	s_delay_alu instid0(VALU_DEP_1) | instskip(NEXT) | instid1(VALU_DEP_1)
	v_sub_co_u32 v5, s1, v5, s20
	v_sub_co_ci_u32_e64 v6, null, 0, 0, s1
	s_mov_b32 s1, exec_lo
	s_waitcnt lgkmcnt(0)
	s_delay_alu instid0(VALU_DEP_2) | instskip(NEXT) | instid1(VALU_DEP_2)
	v_add_co_u32 v5, vcc_lo, s36, v5
	v_add_co_ci_u32_e32 v6, vcc_lo, s37, v6, vcc_lo
	s_sub_u32 s2, s38, s20
	s_subb_u32 s3, s39, 0
	s_delay_alu instid0(VALU_DEP_1) | instid1(SALU_CYCLE_1)
	v_cmpx_gt_i64_e64 s[2:3], v[5:6]
	s_cbranch_execz .LBB103_30
; %bb.9:
	v_and_b32_e32 v7, 15, v0
	s_mov_b32 s13, s21
	s_delay_alu instid0(VALU_DEP_1) | instskip(NEXT) | instid1(VALU_DEP_1)
	v_sub_co_u32 v21, s12, v7, s21
	v_sub_co_ci_u32_e64 v22, null, 0, 0, s12
	s_mov_b32 s12, 0
	s_branch .LBB103_11
.LBB103_10:                             ;   in Loop: Header=BB103_11 Depth=1
	s_or_b32 exec_lo, exec_lo, s21
	v_add_co_u32 v5, vcc_lo, v5, 8
	v_add_co_ci_u32_e32 v6, vcc_lo, 0, v6, vcc_lo
	s_delay_alu instid0(VALU_DEP_1) | instskip(SKIP_1) | instid1(SALU_CYCLE_1)
	v_cmp_le_i64_e32 vcc_lo, s[2:3], v[5:6]
	s_or_b32 s12, vcc_lo, s12
	s_and_not1_b32 exec_lo, exec_lo, s12
	s_cbranch_execz .LBB103_30
.LBB103_11:                             ; =>This Loop Header: Depth=1
                                        ;     Child Loop BB103_14 Depth 2
                                        ;       Child Loop BB103_16 Depth 3
                                        ;         Child Loop BB103_22 Depth 4
                                        ;         Child Loop BB103_28 Depth 4
	v_lshlrev_b64 v[11:12], 3, v[5:6]
	s_mov_b32 s21, exec_lo
	s_delay_alu instid0(VALU_DEP_1) | instskip(NEXT) | instid1(VALU_DEP_2)
	v_add_co_u32 v7, vcc_lo, s14, v11
	v_add_co_ci_u32_e32 v8, vcc_lo, s15, v12, vcc_lo
	global_load_b64 v[7:8], v[7:8], off
	s_waitcnt vmcnt(0)
	v_sub_co_u32 v7, vcc_lo, v7, s20
	v_subrev_co_ci_u32_e32 v8, vcc_lo, 0, v8, vcc_lo
	s_delay_alu instid0(VALU_DEP_1) | instskip(NEXT) | instid1(VALU_DEP_1)
	v_lshlrev_b64 v[7:8], 3, v[7:8]
	v_add_co_u32 v7, vcc_lo, s18, v7
	s_delay_alu instid0(VALU_DEP_2)
	v_add_co_ci_u32_e32 v8, vcc_lo, s19, v8, vcc_lo
	global_load_b128 v[13:16], v[7:8], off
	s_waitcnt vmcnt(0)
	v_sub_co_u32 v7, vcc_lo, v15, s13
	v_subrev_co_ci_u32_e32 v8, vcc_lo, 0, v16, vcc_lo
	v_add_co_u32 v9, vcc_lo, v13, v21
	v_add_co_ci_u32_e32 v10, vcc_lo, v14, v22, vcc_lo
	s_delay_alu instid0(VALU_DEP_1)
	v_cmpx_lt_i64_e64 v[9:10], v[7:8]
	s_cbranch_execz .LBB103_10
; %bb.12:                               ;   in Loop: Header=BB103_11 Depth=1
	v_add_co_u32 v11, vcc_lo, s16, v11
	v_add_co_ci_u32_e32 v12, vcc_lo, s17, v12, vcc_lo
	s_mov_b32 s36, 0
	global_load_b64 v[11:12], v[11:12], off
	s_waitcnt vmcnt(0)
	v_mul_f64 v[11:12], v[3:4], v[11:12]
	s_branch .LBB103_14
.LBB103_13:                             ;   in Loop: Header=BB103_14 Depth=2
	s_or_b32 exec_lo, exec_lo, s37
	v_add_co_u32 v9, vcc_lo, v9, 16
	v_add_co_ci_u32_e32 v10, vcc_lo, 0, v10, vcc_lo
	s_delay_alu instid0(VALU_DEP_1) | instskip(SKIP_1) | instid1(SALU_CYCLE_1)
	v_cmp_ge_i64_e32 vcc_lo, v[9:10], v[7:8]
	s_or_b32 s36, vcc_lo, s36
	s_and_not1_b32 exec_lo, exec_lo, s36
	s_cbranch_execz .LBB103_10
.LBB103_14:                             ;   Parent Loop BB103_11 Depth=1
                                        ; =>  This Loop Header: Depth=2
                                        ;       Child Loop BB103_16 Depth 3
                                        ;         Child Loop BB103_22 Depth 4
                                        ;         Child Loop BB103_28 Depth 4
	v_lshlrev_b64 v[13:14], 3, v[9:10]
	s_mov_b32 s37, 0
	s_delay_alu instid0(VALU_DEP_1) | instskip(NEXT) | instid1(VALU_DEP_2)
	v_add_co_u32 v15, vcc_lo, s30, v13
	v_add_co_ci_u32_e32 v16, vcc_lo, s31, v14, vcc_lo
	v_add_co_u32 v13, vcc_lo, s28, v13
	v_add_co_ci_u32_e32 v14, vcc_lo, s29, v14, vcc_lo
	global_load_b64 v[15:16], v[15:16], off
	global_load_b64 v[17:18], v[13:14], off
	s_waitcnt vmcnt(1)
	v_mul_f64 v[13:14], v[11:12], v[15:16]
	s_waitcnt vmcnt(0)
	v_sub_co_u32 v15, vcc_lo, v17, s13
	v_subrev_co_ci_u32_e32 v16, vcc_lo, 0, v18, vcc_lo
	s_delay_alu instid0(VALU_DEP_2) | instskip(NEXT) | instid1(VALU_DEP_1)
	v_mul_lo_u32 v17, 0x89, v15
	v_and_b32_e32 v23, 0xff, v17
	s_branch .LBB103_16
.LBB103_15:                             ;   in Loop: Header=BB103_16 Depth=3
	s_or_b32 exec_lo, exec_lo, s38
	s_xor_b32 s38, s39, -1
	s_delay_alu instid0(SALU_CYCLE_1) | instskip(NEXT) | instid1(SALU_CYCLE_1)
	s_and_b32 s38, exec_lo, s38
	s_or_b32 s37, s38, s37
	s_delay_alu instid0(SALU_CYCLE_1)
	s_and_not1_b32 exec_lo, exec_lo, s37
	s_cbranch_execz .LBB103_13
.LBB103_16:                             ;   Parent Loop BB103_11 Depth=1
                                        ;     Parent Loop BB103_14 Depth=2
                                        ; =>    This Loop Header: Depth=3
                                        ;         Child Loop BB103_22 Depth 4
                                        ;         Child Loop BB103_28 Depth 4
	s_delay_alu instid0(VALU_DEP_1)
	v_lshl_add_u32 v24, v23, 3, 0
	s_mov_b32 s38, exec_lo
                                        ; implicit-def: $sgpr39
	ds_load_b64 v[17:18], v24
	s_waitcnt lgkmcnt(0)
	v_cmpx_ne_u64_e64 v[17:18], v[15:16]
	s_xor_b32 s38, exec_lo, s38
	s_cbranch_execz .LBB103_26
; %bb.17:                               ;   in Loop: Header=BB103_16 Depth=3
	s_mov_b32 s40, exec_lo
                                        ; implicit-def: $sgpr39
	v_cmpx_ne_u64_e64 s[24:25], v[17:18]
	s_xor_b32 s40, exec_lo, s40
; %bb.18:                               ;   in Loop: Header=BB103_16 Depth=3
	v_add_nc_u32_e32 v17, 1, v23
	s_mov_b32 s39, -1
                                        ; implicit-def: $vgpr24
	s_delay_alu instid0(VALU_DEP_1)
	v_and_b32_e32 v23, 0xff, v17
; %bb.19:                               ;   in Loop: Header=BB103_16 Depth=3
	s_and_not1_saveexec_b32 s40, s40
	s_cbranch_execz .LBB103_25
; %bb.20:                               ;   in Loop: Header=BB103_16 Depth=3
	v_dual_mov_b32 v17, s24 :: v_dual_mov_b32 v18, s25
	s_mov_b32 s42, -1
	s_mov_b32 s41, exec_lo
	ds_cmpstore_rtn_b64 v[17:18], v24, v[15:16], v[17:18]
	s_waitcnt lgkmcnt(0)
	v_cmpx_eq_u64_e64 s[24:25], v[17:18]
	s_cbranch_execz .LBB103_24
; %bb.21:                               ;   in Loop: Header=BB103_16 Depth=3
	ds_load_b64 v[17:18], v24 offset:2048
	s_mov_b32 s42, 0
.LBB103_22:                             ;   Parent Loop BB103_11 Depth=1
                                        ;     Parent Loop BB103_14 Depth=2
                                        ;       Parent Loop BB103_16 Depth=3
                                        ; =>      This Inner Loop Header: Depth=4
	s_waitcnt lgkmcnt(0)
	v_add_f64 v[25:26], v[17:18], v[13:14]
	ds_cmpstore_rtn_b64 v[25:26], v24, v[25:26], v[17:18] offset:2048
	s_waitcnt lgkmcnt(0)
	v_cmp_eq_u64_e32 vcc_lo, v[25:26], v[17:18]
	v_dual_mov_b32 v17, v25 :: v_dual_mov_b32 v18, v26
	s_or_b32 s42, vcc_lo, s42
	s_delay_alu instid0(SALU_CYCLE_1)
	s_and_not1_b32 exec_lo, exec_lo, s42
	s_cbranch_execnz .LBB103_22
; %bb.23:                               ;   in Loop: Header=BB103_16 Depth=3
	s_or_b32 exec_lo, exec_lo, s42
	s_delay_alu instid0(SALU_CYCLE_1)
	s_xor_b32 s42, exec_lo, -1
.LBB103_24:                             ;   in Loop: Header=BB103_16 Depth=3
	s_or_b32 exec_lo, exec_lo, s41
	s_delay_alu instid0(SALU_CYCLE_1) | instskip(SKIP_1) | instid1(SALU_CYCLE_1)
	s_and_not1_b32 s39, s39, exec_lo
	s_and_b32 s41, s42, exec_lo
	s_or_b32 s39, s39, s41
.LBB103_25:                             ;   in Loop: Header=BB103_16 Depth=3
	s_or_b32 exec_lo, exec_lo, s40
	s_delay_alu instid0(SALU_CYCLE_1)
	s_and_b32 s39, s39, exec_lo
                                        ; implicit-def: $vgpr24
.LBB103_26:                             ;   in Loop: Header=BB103_16 Depth=3
	s_and_not1_saveexec_b32 s38, s38
	s_cbranch_execz .LBB103_15
; %bb.27:                               ;   in Loop: Header=BB103_16 Depth=3
	ds_load_b64 v[17:18], v24 offset:2048
	s_mov_b32 s40, 0
.LBB103_28:                             ;   Parent Loop BB103_11 Depth=1
                                        ;     Parent Loop BB103_14 Depth=2
                                        ;       Parent Loop BB103_16 Depth=3
                                        ; =>      This Inner Loop Header: Depth=4
	s_waitcnt lgkmcnt(0)
	v_add_f64 v[25:26], v[17:18], v[13:14]
	ds_cmpstore_rtn_b64 v[25:26], v24, v[25:26], v[17:18] offset:2048
	s_waitcnt lgkmcnt(0)
	v_cmp_eq_u64_e32 vcc_lo, v[25:26], v[17:18]
	v_dual_mov_b32 v17, v25 :: v_dual_mov_b32 v18, v26
	s_or_b32 s40, vcc_lo, s40
	s_delay_alu instid0(SALU_CYCLE_1)
	s_and_not1_b32 exec_lo, exec_lo, s40
	s_cbranch_execnz .LBB103_28
; %bb.29:                               ;   in Loop: Header=BB103_16 Depth=3
	s_or_b32 exec_lo, exec_lo, s40
	s_delay_alu instid0(SALU_CYCLE_1)
	s_and_not1_b32 s39, s39, exec_lo
	s_branch .LBB103_15
.LBB103_30:
	s_or_b32 exec_lo, exec_lo, s1
.LBB103_31:
	s_delay_alu instid0(SALU_CYCLE_1)
	s_and_not1_b32 vcc_lo, exec_lo, s33
	s_cbranch_vccnz .LBB103_52
; %bb.32:
	s_waitcnt lgkmcnt(0)
	s_lshl_b64 s[2:3], s[26:27], 3
	v_sub_co_u32 v3, s1, v0, s23
	s_add_u32 s2, s4, s2
	s_addc_u32 s3, s5, s3
	v_sub_co_ci_u32_e64 v4, null, 0, 0, s1
	s_load_b128 s[12:15], s[2:3], 0x0
	s_mov_b32 s1, 0
	s_mov_b32 s4, exec_lo
	s_waitcnt lgkmcnt(0)
	v_add_co_u32 v3, vcc_lo, s12, v3
	v_add_co_ci_u32_e32 v4, vcc_lo, s13, v4, vcc_lo
	s_sub_u32 s2, s14, s23
	s_subb_u32 s3, s15, 0
	s_delay_alu instid0(VALU_DEP_1) | instid1(SALU_CYCLE_1)
	v_cmpx_gt_i64_e64 s[2:3], v[3:4]
	s_cbranch_execz .LBB103_51
; %bb.33:
	s_mov_b32 s5, s23
	s_branch .LBB103_35
.LBB103_34:                             ;   in Loop: Header=BB103_35 Depth=1
	s_or_b32 exec_lo, exec_lo, s12
	v_add_co_u32 v3, vcc_lo, 0x80, v3
	v_add_co_ci_u32_e32 v4, vcc_lo, 0, v4, vcc_lo
	s_delay_alu instid0(VALU_DEP_1) | instskip(SKIP_1) | instid1(SALU_CYCLE_1)
	v_cmp_le_i64_e32 vcc_lo, s[2:3], v[3:4]
	s_or_b32 s1, vcc_lo, s1
	s_and_not1_b32 exec_lo, exec_lo, s1
	s_cbranch_execz .LBB103_51
.LBB103_35:                             ; =>This Loop Header: Depth=1
                                        ;     Child Loop BB103_37 Depth 2
                                        ;       Child Loop BB103_43 Depth 3
                                        ;       Child Loop BB103_49 Depth 3
	v_lshlrev_b64 v[5:6], 3, v[3:4]
	s_mov_b32 s12, 0
	s_delay_alu instid0(VALU_DEP_1) | instskip(NEXT) | instid1(VALU_DEP_2)
	v_add_co_u32 v7, vcc_lo, s8, v5
	v_add_co_ci_u32_e32 v8, vcc_lo, s9, v6, vcc_lo
	v_add_co_u32 v5, vcc_lo, s6, v5
	v_add_co_ci_u32_e32 v6, vcc_lo, s7, v6, vcc_lo
	global_load_b64 v[7:8], v[7:8], off
	global_load_b64 v[9:10], v[5:6], off
	s_waitcnt vmcnt(1)
	v_mul_f64 v[5:6], v[1:2], v[7:8]
	s_waitcnt vmcnt(0)
	v_sub_co_u32 v7, vcc_lo, v9, s5
	v_subrev_co_ci_u32_e32 v8, vcc_lo, 0, v10, vcc_lo
	s_delay_alu instid0(VALU_DEP_2) | instskip(NEXT) | instid1(VALU_DEP_1)
	v_mul_lo_u32 v9, 0x89, v7
	v_and_b32_e32 v11, 0xff, v9
	s_branch .LBB103_37
.LBB103_36:                             ;   in Loop: Header=BB103_37 Depth=2
	s_or_b32 exec_lo, exec_lo, s13
	s_xor_b32 s13, s14, -1
	s_delay_alu instid0(SALU_CYCLE_1) | instskip(NEXT) | instid1(SALU_CYCLE_1)
	s_and_b32 s13, exec_lo, s13
	s_or_b32 s12, s13, s12
	s_delay_alu instid0(SALU_CYCLE_1)
	s_and_not1_b32 exec_lo, exec_lo, s12
	s_cbranch_execz .LBB103_34
.LBB103_37:                             ;   Parent Loop BB103_35 Depth=1
                                        ; =>  This Loop Header: Depth=2
                                        ;       Child Loop BB103_43 Depth 3
                                        ;       Child Loop BB103_49 Depth 3
	s_delay_alu instid0(VALU_DEP_1)
	v_lshl_add_u32 v12, v11, 3, 0
	s_mov_b32 s13, exec_lo
                                        ; implicit-def: $sgpr14
	ds_load_b64 v[9:10], v12
	s_waitcnt lgkmcnt(0)
	v_cmpx_ne_u64_e64 v[9:10], v[7:8]
	s_xor_b32 s13, exec_lo, s13
	s_cbranch_execz .LBB103_47
; %bb.38:                               ;   in Loop: Header=BB103_37 Depth=2
	s_mov_b32 s15, exec_lo
                                        ; implicit-def: $sgpr14
	v_cmpx_ne_u64_e64 s[24:25], v[9:10]
	s_xor_b32 s15, exec_lo, s15
; %bb.39:                               ;   in Loop: Header=BB103_37 Depth=2
	v_add_nc_u32_e32 v9, 1, v11
	s_mov_b32 s14, -1
                                        ; implicit-def: $vgpr12
	s_delay_alu instid0(VALU_DEP_1)
	v_and_b32_e32 v11, 0xff, v9
; %bb.40:                               ;   in Loop: Header=BB103_37 Depth=2
	s_and_not1_saveexec_b32 s15, s15
	s_cbranch_execz .LBB103_46
; %bb.41:                               ;   in Loop: Header=BB103_37 Depth=2
	v_dual_mov_b32 v9, s24 :: v_dual_mov_b32 v10, s25
	s_mov_b32 s17, -1
	s_mov_b32 s16, exec_lo
	ds_cmpstore_rtn_b64 v[9:10], v12, v[7:8], v[9:10]
	s_waitcnt lgkmcnt(0)
	v_cmpx_eq_u64_e64 s[24:25], v[9:10]
	s_cbranch_execz .LBB103_45
; %bb.42:                               ;   in Loop: Header=BB103_37 Depth=2
	ds_load_b64 v[9:10], v12 offset:2048
	s_mov_b32 s17, 0
.LBB103_43:                             ;   Parent Loop BB103_35 Depth=1
                                        ;     Parent Loop BB103_37 Depth=2
                                        ; =>    This Inner Loop Header: Depth=3
	s_waitcnt lgkmcnt(0)
	v_add_f64 v[13:14], v[9:10], v[5:6]
	ds_cmpstore_rtn_b64 v[13:14], v12, v[13:14], v[9:10] offset:2048
	s_waitcnt lgkmcnt(0)
	v_cmp_eq_u64_e32 vcc_lo, v[13:14], v[9:10]
	v_dual_mov_b32 v9, v13 :: v_dual_mov_b32 v10, v14
	s_or_b32 s17, vcc_lo, s17
	s_delay_alu instid0(SALU_CYCLE_1)
	s_and_not1_b32 exec_lo, exec_lo, s17
	s_cbranch_execnz .LBB103_43
; %bb.44:                               ;   in Loop: Header=BB103_37 Depth=2
	s_or_b32 exec_lo, exec_lo, s17
	s_delay_alu instid0(SALU_CYCLE_1)
	s_xor_b32 s17, exec_lo, -1
.LBB103_45:                             ;   in Loop: Header=BB103_37 Depth=2
	s_or_b32 exec_lo, exec_lo, s16
	s_delay_alu instid0(SALU_CYCLE_1) | instskip(SKIP_1) | instid1(SALU_CYCLE_1)
	s_and_not1_b32 s14, s14, exec_lo
	s_and_b32 s16, s17, exec_lo
	s_or_b32 s14, s14, s16
.LBB103_46:                             ;   in Loop: Header=BB103_37 Depth=2
	s_or_b32 exec_lo, exec_lo, s15
	s_delay_alu instid0(SALU_CYCLE_1)
	s_and_b32 s14, s14, exec_lo
                                        ; implicit-def: $vgpr12
.LBB103_47:                             ;   in Loop: Header=BB103_37 Depth=2
	s_and_not1_saveexec_b32 s13, s13
	s_cbranch_execz .LBB103_36
; %bb.48:                               ;   in Loop: Header=BB103_37 Depth=2
	ds_load_b64 v[9:10], v12 offset:2048
	s_mov_b32 s15, 0
.LBB103_49:                             ;   Parent Loop BB103_35 Depth=1
                                        ;     Parent Loop BB103_37 Depth=2
                                        ; =>    This Inner Loop Header: Depth=3
	s_waitcnt lgkmcnt(0)
	v_add_f64 v[13:14], v[9:10], v[5:6]
	ds_cmpstore_rtn_b64 v[13:14], v12, v[13:14], v[9:10] offset:2048
	s_waitcnt lgkmcnt(0)
	v_cmp_eq_u64_e32 vcc_lo, v[13:14], v[9:10]
	v_dual_mov_b32 v9, v13 :: v_dual_mov_b32 v10, v14
	s_or_b32 s15, vcc_lo, s15
	s_delay_alu instid0(SALU_CYCLE_1)
	s_and_not1_b32 exec_lo, exec_lo, s15
	s_cbranch_execnz .LBB103_49
; %bb.50:                               ;   in Loop: Header=BB103_37 Depth=2
	s_or_b32 exec_lo, exec_lo, s15
	s_delay_alu instid0(SALU_CYCLE_1)
	s_and_not1_b32 s14, s14, exec_lo
	s_branch .LBB103_36
.LBB103_51:
	s_or_b32 exec_lo, exec_lo, s4
.LBB103_52:
	s_waitcnt lgkmcnt(0)
	s_barrier
	buffer_gl0_inv
	s_and_saveexec_b32 s3, s0
	s_cbranch_execz .LBB103_61
; %bb.53:
	v_mbcnt_lo_u32_b32 v1, -1, 0
	v_lshrrev_b32_e32 v2, 3, v0
	v_cmp_lt_u32_e32 vcc_lo, 63, v0
	v_cmp_eq_u32_e64 s0, 0x7f, v0
	s_mov_b32 s4, 0
	v_xor_b32_e32 v1, 63, v1
	v_dual_mov_b32 v9, 0 :: v_dual_and_b32 v2, 8, v2
	s_delay_alu instid0(VALU_DEP_2) | instskip(SKIP_1) | instid1(VALU_DEP_3)
	v_lshrrev_b64 v[5:6], v1, -1
	v_mov_b32_e32 v6, 0
	v_dual_mov_b32 v7, 0 :: v_dual_add_nc_u32 v12, 0, v2
	s_branch .LBB103_55
.LBB103_54:                             ;   in Loop: Header=BB103_55 Depth=1
	s_or_b32 exec_lo, exec_lo, s1
	s_waitcnt lgkmcnt(0)
	s_barrier
	buffer_gl0_inv
	ds_load_b64 v[1:2], v9 offset:4104
	v_add_co_u32 v19, s1, 0x80, v19
	s_delay_alu instid0(VALU_DEP_1) | instskip(SKIP_3) | instid1(VALU_DEP_1)
	s_xor_b32 s2, s1, -1
	v_add_nc_u32_e32 v20, 0x400, v20
	s_waitcnt lgkmcnt(0)
	v_add_co_u32 v6, s1, v1, v6
	v_add_co_ci_u32_e64 v7, s1, v2, v7, s1
	s_and_b32 s1, exec_lo, s2
	s_delay_alu instid0(SALU_CYCLE_1) | instskip(NEXT) | instid1(SALU_CYCLE_1)
	s_or_b32 s4, s1, s4
	s_and_not1_b32 exec_lo, exec_lo, s4
	s_cbranch_execz .LBB103_61
.LBB103_55:                             ; =>This Inner Loop Header: Depth=1
	ds_load_2addr_stride64_b64 v[1:4], v20 offset1:4
	s_waitcnt lgkmcnt(0)
	s_barrier
	buffer_gl0_inv
	v_cmp_gt_i64_e64 s1, s[24:25], v[1:2]
	s_delay_alu instid0(VALU_DEP_1) | instskip(SKIP_1) | instid1(SALU_CYCLE_1)
	v_and_b32_e32 v10, s1, v5
	s_bcnt1_i32_b32 s2, s1
	v_mov_b32_e32 v8, s2
	s_delay_alu instid0(VALU_DEP_2)
	v_bcnt_u32_b32 v10, v10, 0
	ds_store_b64 v12, v[8:9] offset:4096
	s_waitcnt lgkmcnt(0)
	s_barrier
	buffer_gl0_inv
	s_and_saveexec_b32 s5, vcc_lo
	s_cbranch_execnz .LBB103_58
; %bb.56:                               ;   in Loop: Header=BB103_55 Depth=1
	s_or_b32 exec_lo, exec_lo, s5
	s_and_saveexec_b32 s2, s1
	s_cbranch_execnz .LBB103_59
.LBB103_57:                             ;   in Loop: Header=BB103_55 Depth=1
	s_or_b32 exec_lo, exec_lo, s2
	s_and_saveexec_b32 s1, s0
	s_cbranch_execz .LBB103_54
	s_branch .LBB103_60
.LBB103_58:                             ;   in Loop: Header=BB103_55 Depth=1
	ds_load_b64 v[13:14], v9 offset:4096
	s_waitcnt lgkmcnt(0)
	v_add_co_u32 v10, s2, v13, v10
	s_or_b32 exec_lo, exec_lo, s5
	s_and_saveexec_b32 s2, s1
	s_cbranch_execz .LBB103_57
.LBB103_59:                             ;   in Loop: Header=BB103_55 Depth=1
	s_delay_alu instid0(VALU_DEP_1) | instskip(NEXT) | instid1(VALU_DEP_1)
	v_add3_u32 v8, v6, -1, v10
	v_lshl_add_u32 v8, v8, 3, 0
	ds_store_2addr_stride64_b64 v8, v[1:2], v[3:4] offset1:4
	s_or_b32 exec_lo, exec_lo, s2
	s_and_saveexec_b32 s1, s0
	s_cbranch_execz .LBB103_54
.LBB103_60:                             ;   in Loop: Header=BB103_55 Depth=1
	v_ashrrev_i32_e32 v11, 31, v10
	ds_store_b64 v9, v[10:11] offset:4104
	s_branch .LBB103_54
.LBB103_61:
	s_or_b32 exec_lo, exec_lo, s3
	s_lshl_b64 s[0:1], s[26:27], 3
	v_mov_b32_e32 v1, 0
	s_add_u32 s0, s10, s0
	s_addc_u32 s1, s11, s1
	s_mov_b32 s6, exec_lo
	s_load_b128 s[0:3], s[0:1], 0x0
	s_waitcnt lgkmcnt(0)
	s_sub_u32 s4, s2, s0
	s_subb_u32 s5, s3, s1
	s_delay_alu instid0(SALU_CYCLE_1)
	v_cmpx_gt_i64_e64 s[4:5], v[0:1]
	s_cbranch_execz .LBB103_71
; %bb.62:
	s_sub_u32 s8, s0, s22
	s_subb_u32 s9, s1, 0
	s_and_b32 s6, s4, 7
	s_sub_u32 s0, s0, s2
	s_subb_u32 s1, s1, s3
	s_mov_b32 s7, 0
	v_cmp_lt_u64_e64 s12, s[0:1], -7
	s_and_b32 s2, s4, -8
	s_cmp_lg_u64 s[6:7], 0
	s_mov_b32 s3, s5
	s_cselect_b32 s13, -1, 0
	s_mov_b32 s14, s7
	s_branch .LBB103_64
.LBB103_63:                             ;   in Loop: Header=BB103_64 Depth=1
	v_add_co_u32 v0, vcc_lo, 0x80, v0
	v_add_co_ci_u32_e32 v1, vcc_lo, 0, v1, vcc_lo
	s_waitcnt lgkmcnt(0)
	v_lshlrev_b64 v[2:3], 3, v[6:7]
	s_delay_alu instid0(VALU_DEP_2) | instskip(NEXT) | instid1(VALU_DEP_2)
	v_cmp_le_i64_e32 vcc_lo, s[4:5], v[0:1]
	v_add_co_u32 v2, s0, s34, v2
	s_delay_alu instid0(VALU_DEP_1)
	v_add_co_ci_u32_e64 v3, s0, s35, v3, s0
	s_or_b32 s14, vcc_lo, s14
	global_store_b64 v[2:3], v[4:5], off
	s_and_not1_b32 exec_lo, exec_lo, s14
	s_cbranch_execz .LBB103_71
.LBB103_64:                             ; =>This Loop Header: Depth=1
                                        ;     Child Loop BB103_66 Depth 2
                                        ;     Child Loop BB103_70 Depth 2
	v_lshl_add_u32 v2, v0, 3, 0
	v_dual_mov_b32 v6, s8 :: v_dual_mov_b32 v7, s9
	s_and_not1_b32 vcc_lo, exec_lo, s12
	s_mov_b64 s[0:1], 0
	ds_load_2addr_stride64_b64 v[2:5], v2 offset1:4
	s_cbranch_vccnz .LBB103_68
; %bb.65:                               ;   in Loop: Header=BB103_64 Depth=1
	v_dual_mov_b32 v6, s8 :: v_dual_mov_b32 v7, s9
	s_mov_b64 s[10:11], 0
	s_mov_b32 s1, 0
.LBB103_66:                             ;   Parent Loop BB103_64 Depth=1
                                        ; =>  This Inner Loop Header: Depth=2
	s_delay_alu instid0(SALU_CYCLE_1)
	v_mov_b32_e32 v20, s1
	s_add_u32 s10, s10, 8
	s_addc_u32 s11, s11, 0
	s_add_i32 s1, s1, 64
	s_cmp_eq_u64 s[2:3], s[10:11]
	ds_load_2addr_b64 v[8:11], v20 offset1:1
	ds_load_2addr_b64 v[12:15], v20 offset0:2 offset1:3
	ds_load_2addr_b64 v[16:19], v20 offset0:4 offset1:5
	;; [unrolled: 1-line block ×3, first 2 shown]
	s_waitcnt lgkmcnt(3)
	v_cmp_gt_i64_e32 vcc_lo, v[2:3], v[8:9]
	v_cndmask_b32_e64 v8, 0, 1, vcc_lo
	v_cmp_gt_i64_e32 vcc_lo, v[2:3], v[10:11]
	v_cndmask_b32_e64 v9, 0, 1, vcc_lo
	s_waitcnt lgkmcnt(2)
	v_cmp_gt_i64_e32 vcc_lo, v[2:3], v[12:13]
	v_cndmask_b32_e64 v10, 0, 1, vcc_lo
	v_cmp_gt_i64_e32 vcc_lo, v[2:3], v[14:15]
	v_cndmask_b32_e64 v11, 0, 1, vcc_lo
	s_waitcnt lgkmcnt(1)
	v_cmp_gt_i64_e32 vcc_lo, v[2:3], v[16:17]
	v_cndmask_b32_e64 v12, 0, 1, vcc_lo
	v_add_co_u32 v6, vcc_lo, v6, v8
	v_add_co_ci_u32_e32 v7, vcc_lo, 0, v7, vcc_lo
	v_cmp_gt_i64_e32 vcc_lo, v[2:3], v[18:19]
	s_delay_alu instid0(VALU_DEP_3) | instskip(NEXT) | instid1(VALU_DEP_1)
	v_add_co_u32 v6, s0, v6, v9
	v_add_co_ci_u32_e64 v7, s0, 0, v7, s0
	v_cndmask_b32_e64 v8, 0, 1, vcc_lo
	s_delay_alu instid0(VALU_DEP_3) | instskip(NEXT) | instid1(VALU_DEP_3)
	v_add_co_u32 v6, vcc_lo, v6, v10
	v_add_co_ci_u32_e32 v7, vcc_lo, 0, v7, vcc_lo
	s_waitcnt lgkmcnt(0)
	v_cmp_gt_i64_e32 vcc_lo, v[2:3], v[20:21]
	s_delay_alu instid0(VALU_DEP_3) | instskip(NEXT) | instid1(VALU_DEP_1)
	v_add_co_u32 v6, s0, v6, v11
	v_add_co_ci_u32_e64 v7, s0, 0, v7, s0
	v_cndmask_b32_e64 v9, 0, 1, vcc_lo
	s_delay_alu instid0(VALU_DEP_3) | instskip(NEXT) | instid1(VALU_DEP_3)
	v_add_co_u32 v6, vcc_lo, v6, v12
	v_add_co_ci_u32_e32 v7, vcc_lo, 0, v7, vcc_lo
	v_cmp_gt_i64_e32 vcc_lo, v[2:3], v[22:23]
	s_delay_alu instid0(VALU_DEP_3) | instskip(NEXT) | instid1(VALU_DEP_1)
	v_add_co_u32 v6, s0, v6, v8
	v_add_co_ci_u32_e64 v7, s0, 0, v7, s0
	v_cndmask_b32_e64 v8, 0, 1, vcc_lo
	s_delay_alu instid0(VALU_DEP_3) | instskip(NEXT) | instid1(VALU_DEP_3)
	v_add_co_u32 v6, vcc_lo, v6, v9
	v_add_co_ci_u32_e32 v7, vcc_lo, 0, v7, vcc_lo
	s_delay_alu instid0(VALU_DEP_2) | instskip(NEXT) | instid1(VALU_DEP_2)
	v_add_co_u32 v6, vcc_lo, v6, v8
	v_add_co_ci_u32_e32 v7, vcc_lo, 0, v7, vcc_lo
	s_cbranch_scc0 .LBB103_66
; %bb.67:                               ;   in Loop: Header=BB103_64 Depth=1
	s_mov_b64 s[0:1], s[2:3]
.LBB103_68:                             ;   in Loop: Header=BB103_64 Depth=1
	s_and_not1_b32 vcc_lo, exec_lo, s13
	s_cbranch_vccnz .LBB103_63
; %bb.69:                               ;   in Loop: Header=BB103_64 Depth=1
	s_lshl_b32 s0, s0, 3
	s_delay_alu instid0(SALU_CYCLE_1)
	s_add_i32 s10, s0, 0
	s_mov_b64 s[0:1], s[6:7]
.LBB103_70:                             ;   Parent Loop BB103_64 Depth=1
                                        ; =>  This Inner Loop Header: Depth=2
	v_mov_b32_e32 v8, s10
	s_add_i32 s10, s10, 8
	s_add_u32 s0, s0, -1
	s_addc_u32 s1, s1, -1
	s_delay_alu instid0(SALU_CYCLE_1) | instskip(SKIP_4) | instid1(VALU_DEP_1)
	s_cmp_lg_u64 s[0:1], 0
	ds_load_b64 v[8:9], v8
	s_waitcnt lgkmcnt(0)
	v_cmp_gt_i64_e32 vcc_lo, v[2:3], v[8:9]
	v_cndmask_b32_e64 v8, 0, 1, vcc_lo
	v_add_co_u32 v6, vcc_lo, v6, v8
	v_add_co_ci_u32_e32 v7, vcc_lo, 0, v7, vcc_lo
	s_cbranch_scc1 .LBB103_70
	s_branch .LBB103_63
.LBB103_71:
	s_nop 0
	s_sendmsg sendmsg(MSG_DEALLOC_VGPRS)
	s_endpgm
	.section	.rodata,"a",@progbits
	.p2align	6, 0x0
	.amdhsa_kernel _ZN9rocsparseL41csrgemm_numeric_fill_block_per_row_kernelILj128ELj16ELj256ELj137ELj64ElldEEvT5_PKS1_S3_NS_24const_host_device_scalarIT6_EEPKT4_S3_PKS5_S9_S3_SB_S6_S9_S3_SB_S9_S3_PS5_21rocsparse_index_base_SD_SD_SD_bbb
		.amdhsa_group_segment_fixed_size 0
		.amdhsa_private_segment_fixed_size 0
		.amdhsa_kernarg_size 156
		.amdhsa_user_sgpr_count 15
		.amdhsa_user_sgpr_dispatch_ptr 0
		.amdhsa_user_sgpr_queue_ptr 0
		.amdhsa_user_sgpr_kernarg_segment_ptr 1
		.amdhsa_user_sgpr_dispatch_id 0
		.amdhsa_user_sgpr_private_segment_size 0
		.amdhsa_wavefront_size32 1
		.amdhsa_uses_dynamic_stack 0
		.amdhsa_enable_private_segment 0
		.amdhsa_system_sgpr_workgroup_id_x 1
		.amdhsa_system_sgpr_workgroup_id_y 0
		.amdhsa_system_sgpr_workgroup_id_z 0
		.amdhsa_system_sgpr_workgroup_info 0
		.amdhsa_system_vgpr_workitem_id 0
		.amdhsa_next_free_vgpr 27
		.amdhsa_next_free_sgpr 43
		.amdhsa_reserve_vcc 1
		.amdhsa_float_round_mode_32 0
		.amdhsa_float_round_mode_16_64 0
		.amdhsa_float_denorm_mode_32 3
		.amdhsa_float_denorm_mode_16_64 3
		.amdhsa_dx10_clamp 1
		.amdhsa_ieee_mode 1
		.amdhsa_fp16_overflow 0
		.amdhsa_workgroup_processor_mode 1
		.amdhsa_memory_ordered 1
		.amdhsa_forward_progress 0
		.amdhsa_shared_vgpr_count 0
		.amdhsa_exception_fp_ieee_invalid_op 0
		.amdhsa_exception_fp_denorm_src 0
		.amdhsa_exception_fp_ieee_div_zero 0
		.amdhsa_exception_fp_ieee_overflow 0
		.amdhsa_exception_fp_ieee_underflow 0
		.amdhsa_exception_fp_ieee_inexact 0
		.amdhsa_exception_int_div_zero 0
	.end_amdhsa_kernel
	.section	.text._ZN9rocsparseL41csrgemm_numeric_fill_block_per_row_kernelILj128ELj16ELj256ELj137ELj64ElldEEvT5_PKS1_S3_NS_24const_host_device_scalarIT6_EEPKT4_S3_PKS5_S9_S3_SB_S6_S9_S3_SB_S9_S3_PS5_21rocsparse_index_base_SD_SD_SD_bbb,"axG",@progbits,_ZN9rocsparseL41csrgemm_numeric_fill_block_per_row_kernelILj128ELj16ELj256ELj137ELj64ElldEEvT5_PKS1_S3_NS_24const_host_device_scalarIT6_EEPKT4_S3_PKS5_S9_S3_SB_S6_S9_S3_SB_S9_S3_PS5_21rocsparse_index_base_SD_SD_SD_bbb,comdat
.Lfunc_end103:
	.size	_ZN9rocsparseL41csrgemm_numeric_fill_block_per_row_kernelILj128ELj16ELj256ELj137ELj64ElldEEvT5_PKS1_S3_NS_24const_host_device_scalarIT6_EEPKT4_S3_PKS5_S9_S3_SB_S6_S9_S3_SB_S9_S3_PS5_21rocsparse_index_base_SD_SD_SD_bbb, .Lfunc_end103-_ZN9rocsparseL41csrgemm_numeric_fill_block_per_row_kernelILj128ELj16ELj256ELj137ELj64ElldEEvT5_PKS1_S3_NS_24const_host_device_scalarIT6_EEPKT4_S3_PKS5_S9_S3_SB_S6_S9_S3_SB_S9_S3_PS5_21rocsparse_index_base_SD_SD_SD_bbb
                                        ; -- End function
	.section	.AMDGPU.csdata,"",@progbits
; Kernel info:
; codeLenInByte = 2988
; NumSgprs: 45
; NumVgprs: 27
; ScratchSize: 0
; MemoryBound: 0
; FloatMode: 240
; IeeeMode: 1
; LDSByteSize: 0 bytes/workgroup (compile time only)
; SGPRBlocks: 5
; VGPRBlocks: 3
; NumSGPRsForWavesPerEU: 45
; NumVGPRsForWavesPerEU: 27
; Occupancy: 16
; WaveLimiterHint : 1
; COMPUTE_PGM_RSRC2:SCRATCH_EN: 0
; COMPUTE_PGM_RSRC2:USER_SGPR: 15
; COMPUTE_PGM_RSRC2:TRAP_HANDLER: 0
; COMPUTE_PGM_RSRC2:TGID_X_EN: 1
; COMPUTE_PGM_RSRC2:TGID_Y_EN: 0
; COMPUTE_PGM_RSRC2:TGID_Z_EN: 0
; COMPUTE_PGM_RSRC2:TIDIG_COMP_CNT: 0
	.section	.text._ZN9rocsparseL41csrgemm_numeric_fill_block_per_row_kernelILj256ELj32ELj512ELj137ELj32ElldEEvT5_PKS1_S3_NS_24const_host_device_scalarIT6_EEPKT4_S3_PKS5_S9_S3_SB_S6_S9_S3_SB_S9_S3_PS5_21rocsparse_index_base_SD_SD_SD_bbb,"axG",@progbits,_ZN9rocsparseL41csrgemm_numeric_fill_block_per_row_kernelILj256ELj32ELj512ELj137ELj32ElldEEvT5_PKS1_S3_NS_24const_host_device_scalarIT6_EEPKT4_S3_PKS5_S9_S3_SB_S6_S9_S3_SB_S9_S3_PS5_21rocsparse_index_base_SD_SD_SD_bbb,comdat
	.globl	_ZN9rocsparseL41csrgemm_numeric_fill_block_per_row_kernelILj256ELj32ELj512ELj137ELj32ElldEEvT5_PKS1_S3_NS_24const_host_device_scalarIT6_EEPKT4_S3_PKS5_S9_S3_SB_S6_S9_S3_SB_S9_S3_PS5_21rocsparse_index_base_SD_SD_SD_bbb ; -- Begin function _ZN9rocsparseL41csrgemm_numeric_fill_block_per_row_kernelILj256ELj32ELj512ELj137ELj32ElldEEvT5_PKS1_S3_NS_24const_host_device_scalarIT6_EEPKT4_S3_PKS5_S9_S3_SB_S6_S9_S3_SB_S9_S3_PS5_21rocsparse_index_base_SD_SD_SD_bbb
	.p2align	8
	.type	_ZN9rocsparseL41csrgemm_numeric_fill_block_per_row_kernelILj256ELj32ELj512ELj137ELj32ElldEEvT5_PKS1_S3_NS_24const_host_device_scalarIT6_EEPKT4_S3_PKS5_S9_S3_SB_S6_S9_S3_SB_S9_S3_PS5_21rocsparse_index_base_SD_SD_SD_bbb,@function
_ZN9rocsparseL41csrgemm_numeric_fill_block_per_row_kernelILj256ELj32ELj512ELj137ELj32ElldEEvT5_PKS1_S3_NS_24const_host_device_scalarIT6_EEPKT4_S3_PKS5_S9_S3_SB_S6_S9_S3_SB_S9_S3_PS5_21rocsparse_index_base_SD_SD_SD_bbb: ; @_ZN9rocsparseL41csrgemm_numeric_fill_block_per_row_kernelILj256ELj32ELj512ELj137ELj32ElldEEvT5_PKS1_S3_NS_24const_host_device_scalarIT6_EEPKT4_S3_PKS5_S9_S3_SB_S6_S9_S3_SB_S9_S3_PS5_21rocsparse_index_base_SD_SD_SD_bbb
; %bb.0:
	s_clause 0x2
	s_load_b32 s3, s[0:1], 0x98
	s_load_b64 s[6:7], s[0:1], 0x18
	s_load_b64 s[4:5], s[0:1], 0x50
	s_mov_b32 s2, s15
	s_waitcnt lgkmcnt(0)
	s_and_b32 s9, 1, s3
	s_bitcmp1_b32 s3, 16
	s_cselect_b32 s8, -1, 0
	s_cmp_eq_u32 s9, 1
	s_cselect_b32 s38, -1, 0
	s_delay_alu instid0(SALU_CYCLE_1)
	s_and_b32 s9, s38, exec_lo
	s_cselect_b32 s11, s7, 0
	s_cselect_b32 s10, s6, 0
	s_xor_b32 s9, s38, -1
	v_dual_mov_b32 v3, s10 :: v_dual_mov_b32 v4, s11
	s_or_b32 s9, s9, s8
	s_delay_alu instid0(SALU_CYCLE_1)
	s_and_b32 vcc_lo, exec_lo, s9
	s_cbranch_vccnz .LBB104_2
; %bb.1:
	v_dual_mov_b32 v1, s6 :: v_dual_mov_b32 v2, s7
	flat_load_b64 v[3:4], v[1:2]
.LBB104_2:
	s_load_b128 s[20:23], s[0:1], 0x88
	s_bitcmp1_b32 s3, 8
	s_cselect_b32 s33, -1, 0
	s_delay_alu instid0(SALU_CYCLE_1)
	s_and_b32 s3, s33, exec_lo
	s_cselect_b32 s7, s5, 0
	s_cselect_b32 s6, s4, 0
	s_xor_b32 s3, s33, -1
	v_dual_mov_b32 v1, s6 :: v_dual_mov_b32 v2, s7
	s_or_b32 s3, s3, s8
	s_delay_alu instid0(SALU_CYCLE_1)
	s_and_b32 vcc_lo, exec_lo, s3
	s_cbranch_vccnz .LBB104_4
; %bb.3:
	v_dual_mov_b32 v1, s4 :: v_dual_mov_b32 v2, s5
	flat_load_b64 v[1:2], v[1:2]
.LBB104_4:
	s_clause 0x5
	s_load_b64 s[34:35], s[0:1], 0x80
	s_load_b256 s[4:11], s[0:1], 0x58
	s_load_b128 s[28:31], s[0:1], 0x40
	s_load_b128 s[24:27], s[0:1], 0x0
	s_load_b64 s[36:37], s[0:1], 0x10
	s_load_b256 s[12:19], s[0:1], 0x20
	v_cmp_gt_u32_e64 s0, 0x200, v0
	v_or_b32_e32 v19, 0xffffff00, v0
	v_lshl_add_u32 v20, v0, 3, 0
	s_delay_alu instid0(VALU_DEP_3)
	s_and_saveexec_b32 s1, s0
	s_cbranch_execz .LBB104_7
; %bb.5:
	v_mov_b32_e32 v5, 0
	s_waitcnt lgkmcnt(0)
	v_mov_b32_e32 v7, s24
	v_or_b32_e32 v9, 0xffffff00, v0
	v_lshl_add_u32 v10, v0, 3, 0
	v_mov_b32_e32 v8, s25
	v_mov_b32_e32 v6, v5
	s_mov_b32 s3, 0
.LBB104_6:                              ; =>This Inner Loop Header: Depth=1
	v_add_co_u32 v9, s39, 0x100, v9
	s_delay_alu instid0(VALU_DEP_1) | instskip(SKIP_3) | instid1(SALU_CYCLE_1)
	s_xor_b32 s39, s39, -1
	ds_store_2addr_stride64_b64 v10, v[7:8], v[5:6] offset1:8
	v_add_nc_u32_e32 v10, 0x800, v10
	s_and_b32 s39, exec_lo, s39
	s_or_b32 s3, s39, s3
	s_delay_alu instid0(SALU_CYCLE_1)
	s_and_not1_b32 exec_lo, exec_lo, s3
	s_cbranch_execnz .LBB104_6
.LBB104_7:
	s_or_b32 exec_lo, exec_lo, s1
	s_waitcnt vmcnt(0) lgkmcnt(0)
	s_barrier
	buffer_gl0_inv
	s_load_b64 s[26:27], s[26:27], 0x0
	s_mov_b32 s3, 0
	v_lshrrev_b32_e32 v21, 5, v0
	s_waitcnt lgkmcnt(0)
	s_lshl_b64 s[26:27], s[26:27], 3
	s_delay_alu instid0(SALU_CYCLE_1) | instskip(SKIP_2) | instid1(SALU_CYCLE_1)
	s_add_u32 s1, s36, s26
	s_addc_u32 s26, s37, s27
	s_lshl_b64 s[2:3], s[2:3], 3
	s_add_u32 s2, s1, s2
	s_addc_u32 s3, s26, s3
	s_and_b32 vcc_lo, exec_lo, s38
	s_load_b64 s[26:27], s[2:3], 0x0
	s_cbranch_vccz .LBB104_31
; %bb.8:
	s_waitcnt lgkmcnt(0)
	s_lshl_b64 s[2:3], s[26:27], 3
	v_sub_co_u32 v5, s1, v21, s20
	s_add_u32 s2, s12, s2
	s_addc_u32 s3, s13, s3
	v_sub_co_ci_u32_e64 v6, null, 0, 0, s1
	s_load_b128 s[36:39], s[2:3], 0x0
	s_mov_b32 s1, exec_lo
	s_waitcnt lgkmcnt(0)
	v_add_co_u32 v5, vcc_lo, s36, v5
	v_add_co_ci_u32_e32 v6, vcc_lo, s37, v6, vcc_lo
	s_sub_u32 s2, s38, s20
	s_subb_u32 s3, s39, 0
	s_delay_alu instid0(VALU_DEP_1) | instid1(SALU_CYCLE_1)
	v_cmpx_gt_i64_e64 s[2:3], v[5:6]
	s_cbranch_execz .LBB104_30
; %bb.9:
	v_and_b32_e32 v7, 31, v0
	s_mov_b32 s13, s21
	s_delay_alu instid0(VALU_DEP_1) | instskip(NEXT) | instid1(VALU_DEP_1)
	v_sub_co_u32 v22, s12, v7, s21
	v_sub_co_ci_u32_e64 v23, null, 0, 0, s12
	s_mov_b32 s12, 0
	s_branch .LBB104_11
.LBB104_10:                             ;   in Loop: Header=BB104_11 Depth=1
	s_or_b32 exec_lo, exec_lo, s21
	v_add_co_u32 v5, vcc_lo, v5, 8
	v_add_co_ci_u32_e32 v6, vcc_lo, 0, v6, vcc_lo
	s_delay_alu instid0(VALU_DEP_1) | instskip(SKIP_1) | instid1(SALU_CYCLE_1)
	v_cmp_le_i64_e32 vcc_lo, s[2:3], v[5:6]
	s_or_b32 s12, vcc_lo, s12
	s_and_not1_b32 exec_lo, exec_lo, s12
	s_cbranch_execz .LBB104_30
.LBB104_11:                             ; =>This Loop Header: Depth=1
                                        ;     Child Loop BB104_14 Depth 2
                                        ;       Child Loop BB104_16 Depth 3
                                        ;         Child Loop BB104_22 Depth 4
                                        ;         Child Loop BB104_28 Depth 4
	v_lshlrev_b64 v[11:12], 3, v[5:6]
	s_mov_b32 s21, exec_lo
	s_delay_alu instid0(VALU_DEP_1) | instskip(NEXT) | instid1(VALU_DEP_2)
	v_add_co_u32 v7, vcc_lo, s14, v11
	v_add_co_ci_u32_e32 v8, vcc_lo, s15, v12, vcc_lo
	global_load_b64 v[7:8], v[7:8], off
	s_waitcnt vmcnt(0)
	v_sub_co_u32 v7, vcc_lo, v7, s20
	v_subrev_co_ci_u32_e32 v8, vcc_lo, 0, v8, vcc_lo
	s_delay_alu instid0(VALU_DEP_1) | instskip(NEXT) | instid1(VALU_DEP_1)
	v_lshlrev_b64 v[7:8], 3, v[7:8]
	v_add_co_u32 v7, vcc_lo, s18, v7
	s_delay_alu instid0(VALU_DEP_2)
	v_add_co_ci_u32_e32 v8, vcc_lo, s19, v8, vcc_lo
	global_load_b128 v[13:16], v[7:8], off
	s_waitcnt vmcnt(0)
	v_sub_co_u32 v7, vcc_lo, v15, s13
	v_subrev_co_ci_u32_e32 v8, vcc_lo, 0, v16, vcc_lo
	v_add_co_u32 v9, vcc_lo, v13, v22
	v_add_co_ci_u32_e32 v10, vcc_lo, v14, v23, vcc_lo
	s_delay_alu instid0(VALU_DEP_1)
	v_cmpx_lt_i64_e64 v[9:10], v[7:8]
	s_cbranch_execz .LBB104_10
; %bb.12:                               ;   in Loop: Header=BB104_11 Depth=1
	v_add_co_u32 v11, vcc_lo, s16, v11
	v_add_co_ci_u32_e32 v12, vcc_lo, s17, v12, vcc_lo
	s_mov_b32 s36, 0
	global_load_b64 v[11:12], v[11:12], off
	s_waitcnt vmcnt(0)
	v_mul_f64 v[11:12], v[3:4], v[11:12]
	s_branch .LBB104_14
.LBB104_13:                             ;   in Loop: Header=BB104_14 Depth=2
	s_or_b32 exec_lo, exec_lo, s37
	v_add_co_u32 v9, vcc_lo, v9, 32
	v_add_co_ci_u32_e32 v10, vcc_lo, 0, v10, vcc_lo
	s_delay_alu instid0(VALU_DEP_1) | instskip(SKIP_1) | instid1(SALU_CYCLE_1)
	v_cmp_ge_i64_e32 vcc_lo, v[9:10], v[7:8]
	s_or_b32 s36, vcc_lo, s36
	s_and_not1_b32 exec_lo, exec_lo, s36
	s_cbranch_execz .LBB104_10
.LBB104_14:                             ;   Parent Loop BB104_11 Depth=1
                                        ; =>  This Loop Header: Depth=2
                                        ;       Child Loop BB104_16 Depth 3
                                        ;         Child Loop BB104_22 Depth 4
                                        ;         Child Loop BB104_28 Depth 4
	v_lshlrev_b64 v[13:14], 3, v[9:10]
	s_mov_b32 s37, 0
	s_delay_alu instid0(VALU_DEP_1) | instskip(NEXT) | instid1(VALU_DEP_2)
	v_add_co_u32 v15, vcc_lo, s30, v13
	v_add_co_ci_u32_e32 v16, vcc_lo, s31, v14, vcc_lo
	v_add_co_u32 v13, vcc_lo, s28, v13
	v_add_co_ci_u32_e32 v14, vcc_lo, s29, v14, vcc_lo
	global_load_b64 v[15:16], v[15:16], off
	global_load_b64 v[17:18], v[13:14], off
	s_waitcnt vmcnt(1)
	v_mul_f64 v[13:14], v[11:12], v[15:16]
	s_waitcnt vmcnt(0)
	v_sub_co_u32 v15, vcc_lo, v17, s13
	v_subrev_co_ci_u32_e32 v16, vcc_lo, 0, v18, vcc_lo
	s_delay_alu instid0(VALU_DEP_2) | instskip(NEXT) | instid1(VALU_DEP_1)
	v_mul_lo_u32 v17, 0x89, v15
	v_and_b32_e32 v24, 0x1ff, v17
	s_branch .LBB104_16
.LBB104_15:                             ;   in Loop: Header=BB104_16 Depth=3
	s_or_b32 exec_lo, exec_lo, s38
	s_xor_b32 s38, s39, -1
	s_delay_alu instid0(SALU_CYCLE_1) | instskip(NEXT) | instid1(SALU_CYCLE_1)
	s_and_b32 s38, exec_lo, s38
	s_or_b32 s37, s38, s37
	s_delay_alu instid0(SALU_CYCLE_1)
	s_and_not1_b32 exec_lo, exec_lo, s37
	s_cbranch_execz .LBB104_13
.LBB104_16:                             ;   Parent Loop BB104_11 Depth=1
                                        ;     Parent Loop BB104_14 Depth=2
                                        ; =>    This Loop Header: Depth=3
                                        ;         Child Loop BB104_22 Depth 4
                                        ;         Child Loop BB104_28 Depth 4
	s_delay_alu instid0(VALU_DEP_1)
	v_lshl_add_u32 v25, v24, 3, 0
	s_mov_b32 s38, exec_lo
                                        ; implicit-def: $sgpr39
	ds_load_b64 v[17:18], v25
	s_waitcnt lgkmcnt(0)
	v_cmpx_ne_u64_e64 v[17:18], v[15:16]
	s_xor_b32 s38, exec_lo, s38
	s_cbranch_execz .LBB104_26
; %bb.17:                               ;   in Loop: Header=BB104_16 Depth=3
	s_mov_b32 s40, exec_lo
                                        ; implicit-def: $sgpr39
	v_cmpx_ne_u64_e64 s[24:25], v[17:18]
	s_xor_b32 s40, exec_lo, s40
; %bb.18:                               ;   in Loop: Header=BB104_16 Depth=3
	v_add_nc_u32_e32 v17, 1, v24
	s_mov_b32 s39, -1
                                        ; implicit-def: $vgpr25
	s_delay_alu instid0(VALU_DEP_1)
	v_and_b32_e32 v24, 0x1ff, v17
; %bb.19:                               ;   in Loop: Header=BB104_16 Depth=3
	s_and_not1_saveexec_b32 s40, s40
	s_cbranch_execz .LBB104_25
; %bb.20:                               ;   in Loop: Header=BB104_16 Depth=3
	v_dual_mov_b32 v17, s24 :: v_dual_mov_b32 v18, s25
	s_mov_b32 s42, -1
	s_mov_b32 s41, exec_lo
	ds_cmpstore_rtn_b64 v[17:18], v25, v[15:16], v[17:18]
	s_waitcnt lgkmcnt(0)
	v_cmpx_eq_u64_e64 s[24:25], v[17:18]
	s_cbranch_execz .LBB104_24
; %bb.21:                               ;   in Loop: Header=BB104_16 Depth=3
	ds_load_b64 v[17:18], v25 offset:4096
	s_mov_b32 s42, 0
.LBB104_22:                             ;   Parent Loop BB104_11 Depth=1
                                        ;     Parent Loop BB104_14 Depth=2
                                        ;       Parent Loop BB104_16 Depth=3
                                        ; =>      This Inner Loop Header: Depth=4
	s_waitcnt lgkmcnt(0)
	v_add_f64 v[26:27], v[17:18], v[13:14]
	ds_cmpstore_rtn_b64 v[26:27], v25, v[26:27], v[17:18] offset:4096
	s_waitcnt lgkmcnt(0)
	v_cmp_eq_u64_e32 vcc_lo, v[26:27], v[17:18]
	v_dual_mov_b32 v17, v26 :: v_dual_mov_b32 v18, v27
	s_or_b32 s42, vcc_lo, s42
	s_delay_alu instid0(SALU_CYCLE_1)
	s_and_not1_b32 exec_lo, exec_lo, s42
	s_cbranch_execnz .LBB104_22
; %bb.23:                               ;   in Loop: Header=BB104_16 Depth=3
	s_or_b32 exec_lo, exec_lo, s42
	s_delay_alu instid0(SALU_CYCLE_1)
	s_xor_b32 s42, exec_lo, -1
.LBB104_24:                             ;   in Loop: Header=BB104_16 Depth=3
	s_or_b32 exec_lo, exec_lo, s41
	s_delay_alu instid0(SALU_CYCLE_1) | instskip(SKIP_1) | instid1(SALU_CYCLE_1)
	s_and_not1_b32 s39, s39, exec_lo
	s_and_b32 s41, s42, exec_lo
	s_or_b32 s39, s39, s41
.LBB104_25:                             ;   in Loop: Header=BB104_16 Depth=3
	s_or_b32 exec_lo, exec_lo, s40
	s_delay_alu instid0(SALU_CYCLE_1)
	s_and_b32 s39, s39, exec_lo
                                        ; implicit-def: $vgpr25
.LBB104_26:                             ;   in Loop: Header=BB104_16 Depth=3
	s_and_not1_saveexec_b32 s38, s38
	s_cbranch_execz .LBB104_15
; %bb.27:                               ;   in Loop: Header=BB104_16 Depth=3
	ds_load_b64 v[17:18], v25 offset:4096
	s_mov_b32 s40, 0
.LBB104_28:                             ;   Parent Loop BB104_11 Depth=1
                                        ;     Parent Loop BB104_14 Depth=2
                                        ;       Parent Loop BB104_16 Depth=3
                                        ; =>      This Inner Loop Header: Depth=4
	s_waitcnt lgkmcnt(0)
	v_add_f64 v[26:27], v[17:18], v[13:14]
	ds_cmpstore_rtn_b64 v[26:27], v25, v[26:27], v[17:18] offset:4096
	s_waitcnt lgkmcnt(0)
	v_cmp_eq_u64_e32 vcc_lo, v[26:27], v[17:18]
	v_dual_mov_b32 v17, v26 :: v_dual_mov_b32 v18, v27
	s_or_b32 s40, vcc_lo, s40
	s_delay_alu instid0(SALU_CYCLE_1)
	s_and_not1_b32 exec_lo, exec_lo, s40
	s_cbranch_execnz .LBB104_28
; %bb.29:                               ;   in Loop: Header=BB104_16 Depth=3
	s_or_b32 exec_lo, exec_lo, s40
	s_delay_alu instid0(SALU_CYCLE_1)
	s_and_not1_b32 s39, s39, exec_lo
	s_branch .LBB104_15
.LBB104_30:
	s_or_b32 exec_lo, exec_lo, s1
.LBB104_31:
	s_delay_alu instid0(SALU_CYCLE_1)
	s_and_not1_b32 vcc_lo, exec_lo, s33
	s_cbranch_vccnz .LBB104_52
; %bb.32:
	s_waitcnt lgkmcnt(0)
	s_lshl_b64 s[2:3], s[26:27], 3
	v_sub_co_u32 v3, s1, v0, s23
	s_add_u32 s2, s4, s2
	s_addc_u32 s3, s5, s3
	v_sub_co_ci_u32_e64 v4, null, 0, 0, s1
	s_load_b128 s[12:15], s[2:3], 0x0
	s_mov_b32 s1, 0
	s_mov_b32 s4, exec_lo
	s_waitcnt lgkmcnt(0)
	v_add_co_u32 v3, vcc_lo, s12, v3
	v_add_co_ci_u32_e32 v4, vcc_lo, s13, v4, vcc_lo
	s_sub_u32 s2, s14, s23
	s_subb_u32 s3, s15, 0
	s_delay_alu instid0(VALU_DEP_1) | instid1(SALU_CYCLE_1)
	v_cmpx_gt_i64_e64 s[2:3], v[3:4]
	s_cbranch_execz .LBB104_51
; %bb.33:
	s_mov_b32 s5, s23
	s_branch .LBB104_35
.LBB104_34:                             ;   in Loop: Header=BB104_35 Depth=1
	s_or_b32 exec_lo, exec_lo, s12
	v_add_co_u32 v3, vcc_lo, 0x100, v3
	v_add_co_ci_u32_e32 v4, vcc_lo, 0, v4, vcc_lo
	s_delay_alu instid0(VALU_DEP_1) | instskip(SKIP_1) | instid1(SALU_CYCLE_1)
	v_cmp_le_i64_e32 vcc_lo, s[2:3], v[3:4]
	s_or_b32 s1, vcc_lo, s1
	s_and_not1_b32 exec_lo, exec_lo, s1
	s_cbranch_execz .LBB104_51
.LBB104_35:                             ; =>This Loop Header: Depth=1
                                        ;     Child Loop BB104_37 Depth 2
                                        ;       Child Loop BB104_43 Depth 3
                                        ;       Child Loop BB104_49 Depth 3
	v_lshlrev_b64 v[5:6], 3, v[3:4]
	s_mov_b32 s12, 0
	s_delay_alu instid0(VALU_DEP_1) | instskip(NEXT) | instid1(VALU_DEP_2)
	v_add_co_u32 v7, vcc_lo, s8, v5
	v_add_co_ci_u32_e32 v8, vcc_lo, s9, v6, vcc_lo
	v_add_co_u32 v5, vcc_lo, s6, v5
	v_add_co_ci_u32_e32 v6, vcc_lo, s7, v6, vcc_lo
	global_load_b64 v[7:8], v[7:8], off
	global_load_b64 v[9:10], v[5:6], off
	s_waitcnt vmcnt(1)
	v_mul_f64 v[5:6], v[1:2], v[7:8]
	s_waitcnt vmcnt(0)
	v_sub_co_u32 v7, vcc_lo, v9, s5
	v_subrev_co_ci_u32_e32 v8, vcc_lo, 0, v10, vcc_lo
	s_delay_alu instid0(VALU_DEP_2) | instskip(NEXT) | instid1(VALU_DEP_1)
	v_mul_lo_u32 v9, 0x89, v7
	v_and_b32_e32 v11, 0x1ff, v9
	s_branch .LBB104_37
.LBB104_36:                             ;   in Loop: Header=BB104_37 Depth=2
	s_or_b32 exec_lo, exec_lo, s13
	s_xor_b32 s13, s14, -1
	s_delay_alu instid0(SALU_CYCLE_1) | instskip(NEXT) | instid1(SALU_CYCLE_1)
	s_and_b32 s13, exec_lo, s13
	s_or_b32 s12, s13, s12
	s_delay_alu instid0(SALU_CYCLE_1)
	s_and_not1_b32 exec_lo, exec_lo, s12
	s_cbranch_execz .LBB104_34
.LBB104_37:                             ;   Parent Loop BB104_35 Depth=1
                                        ; =>  This Loop Header: Depth=2
                                        ;       Child Loop BB104_43 Depth 3
                                        ;       Child Loop BB104_49 Depth 3
	s_delay_alu instid0(VALU_DEP_1)
	v_lshl_add_u32 v12, v11, 3, 0
	s_mov_b32 s13, exec_lo
                                        ; implicit-def: $sgpr14
	ds_load_b64 v[9:10], v12
	s_waitcnt lgkmcnt(0)
	v_cmpx_ne_u64_e64 v[9:10], v[7:8]
	s_xor_b32 s13, exec_lo, s13
	s_cbranch_execz .LBB104_47
; %bb.38:                               ;   in Loop: Header=BB104_37 Depth=2
	s_mov_b32 s15, exec_lo
                                        ; implicit-def: $sgpr14
	v_cmpx_ne_u64_e64 s[24:25], v[9:10]
	s_xor_b32 s15, exec_lo, s15
; %bb.39:                               ;   in Loop: Header=BB104_37 Depth=2
	v_add_nc_u32_e32 v9, 1, v11
	s_mov_b32 s14, -1
                                        ; implicit-def: $vgpr12
	s_delay_alu instid0(VALU_DEP_1)
	v_and_b32_e32 v11, 0x1ff, v9
; %bb.40:                               ;   in Loop: Header=BB104_37 Depth=2
	s_and_not1_saveexec_b32 s15, s15
	s_cbranch_execz .LBB104_46
; %bb.41:                               ;   in Loop: Header=BB104_37 Depth=2
	v_dual_mov_b32 v9, s24 :: v_dual_mov_b32 v10, s25
	s_mov_b32 s17, -1
	s_mov_b32 s16, exec_lo
	ds_cmpstore_rtn_b64 v[9:10], v12, v[7:8], v[9:10]
	s_waitcnt lgkmcnt(0)
	v_cmpx_eq_u64_e64 s[24:25], v[9:10]
	s_cbranch_execz .LBB104_45
; %bb.42:                               ;   in Loop: Header=BB104_37 Depth=2
	ds_load_b64 v[9:10], v12 offset:4096
	s_mov_b32 s17, 0
.LBB104_43:                             ;   Parent Loop BB104_35 Depth=1
                                        ;     Parent Loop BB104_37 Depth=2
                                        ; =>    This Inner Loop Header: Depth=3
	s_waitcnt lgkmcnt(0)
	v_add_f64 v[13:14], v[9:10], v[5:6]
	ds_cmpstore_rtn_b64 v[13:14], v12, v[13:14], v[9:10] offset:4096
	s_waitcnt lgkmcnt(0)
	v_cmp_eq_u64_e32 vcc_lo, v[13:14], v[9:10]
	v_dual_mov_b32 v9, v13 :: v_dual_mov_b32 v10, v14
	s_or_b32 s17, vcc_lo, s17
	s_delay_alu instid0(SALU_CYCLE_1)
	s_and_not1_b32 exec_lo, exec_lo, s17
	s_cbranch_execnz .LBB104_43
; %bb.44:                               ;   in Loop: Header=BB104_37 Depth=2
	s_or_b32 exec_lo, exec_lo, s17
	s_delay_alu instid0(SALU_CYCLE_1)
	s_xor_b32 s17, exec_lo, -1
.LBB104_45:                             ;   in Loop: Header=BB104_37 Depth=2
	s_or_b32 exec_lo, exec_lo, s16
	s_delay_alu instid0(SALU_CYCLE_1) | instskip(SKIP_1) | instid1(SALU_CYCLE_1)
	s_and_not1_b32 s14, s14, exec_lo
	s_and_b32 s16, s17, exec_lo
	s_or_b32 s14, s14, s16
.LBB104_46:                             ;   in Loop: Header=BB104_37 Depth=2
	s_or_b32 exec_lo, exec_lo, s15
	s_delay_alu instid0(SALU_CYCLE_1)
	s_and_b32 s14, s14, exec_lo
                                        ; implicit-def: $vgpr12
.LBB104_47:                             ;   in Loop: Header=BB104_37 Depth=2
	s_and_not1_saveexec_b32 s13, s13
	s_cbranch_execz .LBB104_36
; %bb.48:                               ;   in Loop: Header=BB104_37 Depth=2
	ds_load_b64 v[9:10], v12 offset:4096
	s_mov_b32 s15, 0
.LBB104_49:                             ;   Parent Loop BB104_35 Depth=1
                                        ;     Parent Loop BB104_37 Depth=2
                                        ; =>    This Inner Loop Header: Depth=3
	s_waitcnt lgkmcnt(0)
	v_add_f64 v[13:14], v[9:10], v[5:6]
	ds_cmpstore_rtn_b64 v[13:14], v12, v[13:14], v[9:10] offset:4096
	s_waitcnt lgkmcnt(0)
	v_cmp_eq_u64_e32 vcc_lo, v[13:14], v[9:10]
	v_dual_mov_b32 v9, v13 :: v_dual_mov_b32 v10, v14
	s_or_b32 s15, vcc_lo, s15
	s_delay_alu instid0(SALU_CYCLE_1)
	s_and_not1_b32 exec_lo, exec_lo, s15
	s_cbranch_execnz .LBB104_49
; %bb.50:                               ;   in Loop: Header=BB104_37 Depth=2
	s_or_b32 exec_lo, exec_lo, s15
	s_delay_alu instid0(SALU_CYCLE_1)
	s_and_not1_b32 s14, s14, exec_lo
	s_branch .LBB104_36
.LBB104_51:
	s_or_b32 exec_lo, exec_lo, s4
.LBB104_52:
	s_waitcnt lgkmcnt(0)
	s_barrier
	buffer_gl0_inv
	s_and_saveexec_b32 s8, s0
	s_cbranch_execz .LBB104_73
; %bb.53:
	v_mbcnt_lo_u32_b32 v1, -1, 0
	v_lshl_add_u32 v12, v21, 3, 0
	v_cmp_eq_u32_e32 vcc_lo, 0xff, v0
	v_cmp_lt_u32_e64 s0, 31, v0
	v_cmp_lt_u32_e64 s1, 63, v0
	v_xor_b32_e32 v1, 63, v1
	v_cmp_lt_u32_e64 s2, 0x5f, v0
	v_cmp_lt_u32_e64 s3, 0x7f, v0
	;; [unrolled: 1-line block ×4, first 2 shown]
	v_lshrrev_b64 v[5:6], v1, -1
	v_dual_mov_b32 v6, 0 :: v_dual_mov_b32 v9, 0
	v_cmp_lt_u32_e64 s6, 0xdf, v0
	v_mov_b32_e32 v7, 0
	s_mov_b32 s9, 0
	s_branch .LBB104_55
.LBB104_54:                             ;   in Loop: Header=BB104_55 Depth=1
	s_or_b32 exec_lo, exec_lo, s7
	s_waitcnt lgkmcnt(0)
	s_barrier
	buffer_gl0_inv
	ds_load_b64 v[1:2], v9 offset:8248
	v_add_co_u32 v19, s7, 0x100, v19
	s_delay_alu instid0(VALU_DEP_1) | instskip(SKIP_3) | instid1(VALU_DEP_1)
	s_xor_b32 s12, s7, -1
	v_add_nc_u32_e32 v20, 0x800, v20
	s_waitcnt lgkmcnt(0)
	v_add_co_u32 v6, s7, v1, v6
	v_add_co_ci_u32_e64 v7, s7, v2, v7, s7
	s_and_b32 s7, exec_lo, s12
	s_delay_alu instid0(SALU_CYCLE_1) | instskip(NEXT) | instid1(SALU_CYCLE_1)
	s_or_b32 s9, s7, s9
	s_and_not1_b32 exec_lo, exec_lo, s9
	s_cbranch_execz .LBB104_73
.LBB104_55:                             ; =>This Inner Loop Header: Depth=1
	ds_load_2addr_stride64_b64 v[1:4], v20 offset1:8
	s_waitcnt lgkmcnt(0)
	s_barrier
	buffer_gl0_inv
	v_cmp_gt_i64_e64 s7, s[24:25], v[1:2]
	s_delay_alu instid0(VALU_DEP_1) | instskip(SKIP_1) | instid1(SALU_CYCLE_1)
	v_and_b32_e32 v10, s7, v5
	s_bcnt1_i32_b32 s12, s7
	v_mov_b32_e32 v8, s12
	s_delay_alu instid0(VALU_DEP_2)
	v_bcnt_u32_b32 v10, v10, 0
	ds_store_b64 v12, v[8:9] offset:8192
	s_waitcnt lgkmcnt(0)
	s_barrier
	buffer_gl0_inv
	s_and_saveexec_b32 s12, s0
	s_cbranch_execnz .LBB104_64
; %bb.56:                               ;   in Loop: Header=BB104_55 Depth=1
	s_or_b32 exec_lo, exec_lo, s12
	s_and_saveexec_b32 s12, s1
	s_cbranch_execnz .LBB104_65
.LBB104_57:                             ;   in Loop: Header=BB104_55 Depth=1
	s_or_b32 exec_lo, exec_lo, s12
	s_and_saveexec_b32 s12, s2
	s_cbranch_execnz .LBB104_66
.LBB104_58:                             ;   in Loop: Header=BB104_55 Depth=1
	s_or_b32 exec_lo, exec_lo, s12
	s_and_saveexec_b32 s12, s3
	s_cbranch_execnz .LBB104_67
.LBB104_59:                             ;   in Loop: Header=BB104_55 Depth=1
	s_or_b32 exec_lo, exec_lo, s12
	s_and_saveexec_b32 s12, s4
	s_cbranch_execnz .LBB104_68
.LBB104_60:                             ;   in Loop: Header=BB104_55 Depth=1
	s_or_b32 exec_lo, exec_lo, s12
	s_and_saveexec_b32 s12, s5
	s_cbranch_execnz .LBB104_69
.LBB104_61:                             ;   in Loop: Header=BB104_55 Depth=1
	s_or_b32 exec_lo, exec_lo, s12
	s_and_saveexec_b32 s12, s6
	s_cbranch_execnz .LBB104_70
.LBB104_62:                             ;   in Loop: Header=BB104_55 Depth=1
	s_or_b32 exec_lo, exec_lo, s12
	v_ashrrev_i32_e32 v11, 31, v10
	s_and_saveexec_b32 s12, s7
	s_cbranch_execnz .LBB104_71
.LBB104_63:                             ;   in Loop: Header=BB104_55 Depth=1
	s_or_b32 exec_lo, exec_lo, s12
	s_and_saveexec_b32 s7, vcc_lo
	s_cbranch_execz .LBB104_54
	s_branch .LBB104_72
.LBB104_64:                             ;   in Loop: Header=BB104_55 Depth=1
	ds_load_b32 v8, v9 offset:8192
	s_waitcnt lgkmcnt(0)
	v_add_nc_u32_e32 v10, v8, v10
	s_or_b32 exec_lo, exec_lo, s12
	s_and_saveexec_b32 s12, s1
	s_cbranch_execz .LBB104_57
.LBB104_65:                             ;   in Loop: Header=BB104_55 Depth=1
	ds_load_b32 v8, v9 offset:8200
	s_waitcnt lgkmcnt(0)
	v_add_nc_u32_e32 v10, v10, v8
	s_or_b32 exec_lo, exec_lo, s12
	s_and_saveexec_b32 s12, s2
	s_cbranch_execz .LBB104_58
.LBB104_66:                             ;   in Loop: Header=BB104_55 Depth=1
	ds_load_b32 v8, v9 offset:8208
	s_waitcnt lgkmcnt(0)
	v_add_nc_u32_e32 v10, v10, v8
	s_or_b32 exec_lo, exec_lo, s12
	s_and_saveexec_b32 s12, s3
	s_cbranch_execz .LBB104_59
.LBB104_67:                             ;   in Loop: Header=BB104_55 Depth=1
	ds_load_b32 v8, v9 offset:8216
	s_waitcnt lgkmcnt(0)
	v_add_nc_u32_e32 v10, v10, v8
	s_or_b32 exec_lo, exec_lo, s12
	s_and_saveexec_b32 s12, s4
	s_cbranch_execz .LBB104_60
.LBB104_68:                             ;   in Loop: Header=BB104_55 Depth=1
	ds_load_b32 v8, v9 offset:8224
	s_waitcnt lgkmcnt(0)
	v_add_nc_u32_e32 v10, v10, v8
	s_or_b32 exec_lo, exec_lo, s12
	s_and_saveexec_b32 s12, s5
	s_cbranch_execz .LBB104_61
.LBB104_69:                             ;   in Loop: Header=BB104_55 Depth=1
	ds_load_b32 v8, v9 offset:8232
	s_waitcnt lgkmcnt(0)
	v_add_nc_u32_e32 v10, v10, v8
	s_or_b32 exec_lo, exec_lo, s12
	s_and_saveexec_b32 s12, s6
	s_cbranch_execz .LBB104_62
.LBB104_70:                             ;   in Loop: Header=BB104_55 Depth=1
	ds_load_b32 v8, v9 offset:8240
	s_waitcnt lgkmcnt(0)
	v_add_nc_u32_e32 v10, v10, v8
	s_or_b32 exec_lo, exec_lo, s12
	s_delay_alu instid0(VALU_DEP_1)
	v_ashrrev_i32_e32 v11, 31, v10
	s_and_saveexec_b32 s12, s7
	s_cbranch_execz .LBB104_63
.LBB104_71:                             ;   in Loop: Header=BB104_55 Depth=1
	v_add3_u32 v8, v6, -1, v10
	s_delay_alu instid0(VALU_DEP_1)
	v_lshl_add_u32 v8, v8, 3, 0
	ds_store_2addr_stride64_b64 v8, v[1:2], v[3:4] offset1:8
	s_or_b32 exec_lo, exec_lo, s12
	s_and_saveexec_b32 s7, vcc_lo
	s_cbranch_execz .LBB104_54
.LBB104_72:                             ;   in Loop: Header=BB104_55 Depth=1
	ds_store_b64 v9, v[10:11] offset:8248
	s_branch .LBB104_54
.LBB104_73:
	s_or_b32 exec_lo, exec_lo, s8
	s_lshl_b64 s[0:1], s[26:27], 3
	v_mov_b32_e32 v1, 0
	s_add_u32 s0, s10, s0
	s_addc_u32 s1, s11, s1
	s_mov_b32 s6, exec_lo
	s_load_b128 s[0:3], s[0:1], 0x0
	s_waitcnt lgkmcnt(0)
	s_sub_u32 s4, s2, s0
	s_subb_u32 s5, s3, s1
	s_delay_alu instid0(SALU_CYCLE_1)
	v_cmpx_gt_i64_e64 s[4:5], v[0:1]
	s_cbranch_execz .LBB104_83
; %bb.74:
	s_sub_u32 s8, s0, s22
	s_subb_u32 s9, s1, 0
	s_and_b32 s6, s4, 7
	s_sub_u32 s0, s0, s2
	s_subb_u32 s1, s1, s3
	s_mov_b32 s7, 0
	v_cmp_lt_u64_e64 s12, s[0:1], -7
	s_and_b32 s2, s4, -8
	s_cmp_lg_u64 s[6:7], 0
	s_mov_b32 s3, s5
	s_cselect_b32 s13, -1, 0
	s_mov_b32 s14, s7
	s_branch .LBB104_76
.LBB104_75:                             ;   in Loop: Header=BB104_76 Depth=1
	v_add_co_u32 v0, vcc_lo, 0x100, v0
	v_add_co_ci_u32_e32 v1, vcc_lo, 0, v1, vcc_lo
	s_waitcnt lgkmcnt(0)
	v_lshlrev_b64 v[2:3], 3, v[6:7]
	s_delay_alu instid0(VALU_DEP_2) | instskip(NEXT) | instid1(VALU_DEP_2)
	v_cmp_le_i64_e32 vcc_lo, s[4:5], v[0:1]
	v_add_co_u32 v2, s0, s34, v2
	s_delay_alu instid0(VALU_DEP_1)
	v_add_co_ci_u32_e64 v3, s0, s35, v3, s0
	s_or_b32 s14, vcc_lo, s14
	global_store_b64 v[2:3], v[4:5], off
	s_and_not1_b32 exec_lo, exec_lo, s14
	s_cbranch_execz .LBB104_83
.LBB104_76:                             ; =>This Loop Header: Depth=1
                                        ;     Child Loop BB104_78 Depth 2
                                        ;     Child Loop BB104_82 Depth 2
	v_lshl_add_u32 v2, v0, 3, 0
	v_dual_mov_b32 v6, s8 :: v_dual_mov_b32 v7, s9
	s_and_not1_b32 vcc_lo, exec_lo, s12
	s_mov_b64 s[0:1], 0
	ds_load_2addr_stride64_b64 v[2:5], v2 offset1:8
	s_cbranch_vccnz .LBB104_80
; %bb.77:                               ;   in Loop: Header=BB104_76 Depth=1
	v_dual_mov_b32 v6, s8 :: v_dual_mov_b32 v7, s9
	s_mov_b64 s[10:11], 0
	s_mov_b32 s1, 0
.LBB104_78:                             ;   Parent Loop BB104_76 Depth=1
                                        ; =>  This Inner Loop Header: Depth=2
	s_delay_alu instid0(SALU_CYCLE_1)
	v_mov_b32_e32 v20, s1
	s_add_u32 s10, s10, 8
	s_addc_u32 s11, s11, 0
	s_add_i32 s1, s1, 64
	s_cmp_eq_u64 s[2:3], s[10:11]
	ds_load_2addr_b64 v[8:11], v20 offset1:1
	ds_load_2addr_b64 v[12:15], v20 offset0:2 offset1:3
	ds_load_2addr_b64 v[16:19], v20 offset0:4 offset1:5
	;; [unrolled: 1-line block ×3, first 2 shown]
	s_waitcnt lgkmcnt(3)
	v_cmp_gt_i64_e32 vcc_lo, v[2:3], v[8:9]
	v_cndmask_b32_e64 v8, 0, 1, vcc_lo
	v_cmp_gt_i64_e32 vcc_lo, v[2:3], v[10:11]
	v_cndmask_b32_e64 v9, 0, 1, vcc_lo
	s_waitcnt lgkmcnt(2)
	v_cmp_gt_i64_e32 vcc_lo, v[2:3], v[12:13]
	v_cndmask_b32_e64 v10, 0, 1, vcc_lo
	v_cmp_gt_i64_e32 vcc_lo, v[2:3], v[14:15]
	v_cndmask_b32_e64 v11, 0, 1, vcc_lo
	s_waitcnt lgkmcnt(1)
	v_cmp_gt_i64_e32 vcc_lo, v[2:3], v[16:17]
	v_cndmask_b32_e64 v12, 0, 1, vcc_lo
	v_add_co_u32 v6, vcc_lo, v6, v8
	v_add_co_ci_u32_e32 v7, vcc_lo, 0, v7, vcc_lo
	v_cmp_gt_i64_e32 vcc_lo, v[2:3], v[18:19]
	s_delay_alu instid0(VALU_DEP_3) | instskip(NEXT) | instid1(VALU_DEP_1)
	v_add_co_u32 v6, s0, v6, v9
	v_add_co_ci_u32_e64 v7, s0, 0, v7, s0
	v_cndmask_b32_e64 v8, 0, 1, vcc_lo
	s_delay_alu instid0(VALU_DEP_3) | instskip(NEXT) | instid1(VALU_DEP_3)
	v_add_co_u32 v6, vcc_lo, v6, v10
	v_add_co_ci_u32_e32 v7, vcc_lo, 0, v7, vcc_lo
	s_waitcnt lgkmcnt(0)
	v_cmp_gt_i64_e32 vcc_lo, v[2:3], v[20:21]
	s_delay_alu instid0(VALU_DEP_3) | instskip(NEXT) | instid1(VALU_DEP_1)
	v_add_co_u32 v6, s0, v6, v11
	v_add_co_ci_u32_e64 v7, s0, 0, v7, s0
	v_cndmask_b32_e64 v9, 0, 1, vcc_lo
	s_delay_alu instid0(VALU_DEP_3) | instskip(NEXT) | instid1(VALU_DEP_3)
	v_add_co_u32 v6, vcc_lo, v6, v12
	v_add_co_ci_u32_e32 v7, vcc_lo, 0, v7, vcc_lo
	v_cmp_gt_i64_e32 vcc_lo, v[2:3], v[22:23]
	s_delay_alu instid0(VALU_DEP_3) | instskip(NEXT) | instid1(VALU_DEP_1)
	v_add_co_u32 v6, s0, v6, v8
	v_add_co_ci_u32_e64 v7, s0, 0, v7, s0
	v_cndmask_b32_e64 v8, 0, 1, vcc_lo
	s_delay_alu instid0(VALU_DEP_3) | instskip(NEXT) | instid1(VALU_DEP_3)
	v_add_co_u32 v6, vcc_lo, v6, v9
	v_add_co_ci_u32_e32 v7, vcc_lo, 0, v7, vcc_lo
	s_delay_alu instid0(VALU_DEP_2) | instskip(NEXT) | instid1(VALU_DEP_2)
	v_add_co_u32 v6, vcc_lo, v6, v8
	v_add_co_ci_u32_e32 v7, vcc_lo, 0, v7, vcc_lo
	s_cbranch_scc0 .LBB104_78
; %bb.79:                               ;   in Loop: Header=BB104_76 Depth=1
	s_mov_b64 s[0:1], s[2:3]
.LBB104_80:                             ;   in Loop: Header=BB104_76 Depth=1
	s_and_not1_b32 vcc_lo, exec_lo, s13
	s_cbranch_vccnz .LBB104_75
; %bb.81:                               ;   in Loop: Header=BB104_76 Depth=1
	s_lshl_b32 s0, s0, 3
	s_delay_alu instid0(SALU_CYCLE_1)
	s_add_i32 s10, s0, 0
	s_mov_b64 s[0:1], s[6:7]
.LBB104_82:                             ;   Parent Loop BB104_76 Depth=1
                                        ; =>  This Inner Loop Header: Depth=2
	v_mov_b32_e32 v8, s10
	s_add_i32 s10, s10, 8
	s_add_u32 s0, s0, -1
	s_addc_u32 s1, s1, -1
	s_delay_alu instid0(SALU_CYCLE_1) | instskip(SKIP_4) | instid1(VALU_DEP_1)
	s_cmp_lg_u64 s[0:1], 0
	ds_load_b64 v[8:9], v8
	s_waitcnt lgkmcnt(0)
	v_cmp_gt_i64_e32 vcc_lo, v[2:3], v[8:9]
	v_cndmask_b32_e64 v8, 0, 1, vcc_lo
	v_add_co_u32 v6, vcc_lo, v6, v8
	v_add_co_ci_u32_e32 v7, vcc_lo, 0, v7, vcc_lo
	s_cbranch_scc1 .LBB104_82
	s_branch .LBB104_75
.LBB104_83:
	s_nop 0
	s_sendmsg sendmsg(MSG_DEALLOC_VGPRS)
	s_endpgm
	.section	.rodata,"a",@progbits
	.p2align	6, 0x0
	.amdhsa_kernel _ZN9rocsparseL41csrgemm_numeric_fill_block_per_row_kernelILj256ELj32ELj512ELj137ELj32ElldEEvT5_PKS1_S3_NS_24const_host_device_scalarIT6_EEPKT4_S3_PKS5_S9_S3_SB_S6_S9_S3_SB_S9_S3_PS5_21rocsparse_index_base_SD_SD_SD_bbb
		.amdhsa_group_segment_fixed_size 0
		.amdhsa_private_segment_fixed_size 0
		.amdhsa_kernarg_size 156
		.amdhsa_user_sgpr_count 15
		.amdhsa_user_sgpr_dispatch_ptr 0
		.amdhsa_user_sgpr_queue_ptr 0
		.amdhsa_user_sgpr_kernarg_segment_ptr 1
		.amdhsa_user_sgpr_dispatch_id 0
		.amdhsa_user_sgpr_private_segment_size 0
		.amdhsa_wavefront_size32 1
		.amdhsa_uses_dynamic_stack 0
		.amdhsa_enable_private_segment 0
		.amdhsa_system_sgpr_workgroup_id_x 1
		.amdhsa_system_sgpr_workgroup_id_y 0
		.amdhsa_system_sgpr_workgroup_id_z 0
		.amdhsa_system_sgpr_workgroup_info 0
		.amdhsa_system_vgpr_workitem_id 0
		.amdhsa_next_free_vgpr 28
		.amdhsa_next_free_sgpr 43
		.amdhsa_reserve_vcc 1
		.amdhsa_float_round_mode_32 0
		.amdhsa_float_round_mode_16_64 0
		.amdhsa_float_denorm_mode_32 3
		.amdhsa_float_denorm_mode_16_64 3
		.amdhsa_dx10_clamp 1
		.amdhsa_ieee_mode 1
		.amdhsa_fp16_overflow 0
		.amdhsa_workgroup_processor_mode 1
		.amdhsa_memory_ordered 1
		.amdhsa_forward_progress 0
		.amdhsa_shared_vgpr_count 0
		.amdhsa_exception_fp_ieee_invalid_op 0
		.amdhsa_exception_fp_denorm_src 0
		.amdhsa_exception_fp_ieee_div_zero 0
		.amdhsa_exception_fp_ieee_overflow 0
		.amdhsa_exception_fp_ieee_underflow 0
		.amdhsa_exception_fp_ieee_inexact 0
		.amdhsa_exception_int_div_zero 0
	.end_amdhsa_kernel
	.section	.text._ZN9rocsparseL41csrgemm_numeric_fill_block_per_row_kernelILj256ELj32ELj512ELj137ELj32ElldEEvT5_PKS1_S3_NS_24const_host_device_scalarIT6_EEPKT4_S3_PKS5_S9_S3_SB_S6_S9_S3_SB_S9_S3_PS5_21rocsparse_index_base_SD_SD_SD_bbb,"axG",@progbits,_ZN9rocsparseL41csrgemm_numeric_fill_block_per_row_kernelILj256ELj32ELj512ELj137ELj32ElldEEvT5_PKS1_S3_NS_24const_host_device_scalarIT6_EEPKT4_S3_PKS5_S9_S3_SB_S6_S9_S3_SB_S9_S3_PS5_21rocsparse_index_base_SD_SD_SD_bbb,comdat
.Lfunc_end104:
	.size	_ZN9rocsparseL41csrgemm_numeric_fill_block_per_row_kernelILj256ELj32ELj512ELj137ELj32ElldEEvT5_PKS1_S3_NS_24const_host_device_scalarIT6_EEPKT4_S3_PKS5_S9_S3_SB_S6_S9_S3_SB_S9_S3_PS5_21rocsparse_index_base_SD_SD_SD_bbb, .Lfunc_end104-_ZN9rocsparseL41csrgemm_numeric_fill_block_per_row_kernelILj256ELj32ELj512ELj137ELj32ElldEEvT5_PKS1_S3_NS_24const_host_device_scalarIT6_EEPKT4_S3_PKS5_S9_S3_SB_S6_S9_S3_SB_S9_S3_PS5_21rocsparse_index_base_SD_SD_SD_bbb
                                        ; -- End function
	.section	.AMDGPU.csdata,"",@progbits
; Kernel info:
; codeLenInByte = 3284
; NumSgprs: 45
; NumVgprs: 28
; ScratchSize: 0
; MemoryBound: 0
; FloatMode: 240
; IeeeMode: 1
; LDSByteSize: 0 bytes/workgroup (compile time only)
; SGPRBlocks: 5
; VGPRBlocks: 3
; NumSGPRsForWavesPerEU: 45
; NumVGPRsForWavesPerEU: 28
; Occupancy: 16
; WaveLimiterHint : 1
; COMPUTE_PGM_RSRC2:SCRATCH_EN: 0
; COMPUTE_PGM_RSRC2:USER_SGPR: 15
; COMPUTE_PGM_RSRC2:TRAP_HANDLER: 0
; COMPUTE_PGM_RSRC2:TGID_X_EN: 1
; COMPUTE_PGM_RSRC2:TGID_Y_EN: 0
; COMPUTE_PGM_RSRC2:TGID_Z_EN: 0
; COMPUTE_PGM_RSRC2:TIDIG_COMP_CNT: 0
	.section	.text._ZN9rocsparseL41csrgemm_numeric_fill_block_per_row_kernelILj256ELj32ELj512ELj137ELj64ElldEEvT5_PKS1_S3_NS_24const_host_device_scalarIT6_EEPKT4_S3_PKS5_S9_S3_SB_S6_S9_S3_SB_S9_S3_PS5_21rocsparse_index_base_SD_SD_SD_bbb,"axG",@progbits,_ZN9rocsparseL41csrgemm_numeric_fill_block_per_row_kernelILj256ELj32ELj512ELj137ELj64ElldEEvT5_PKS1_S3_NS_24const_host_device_scalarIT6_EEPKT4_S3_PKS5_S9_S3_SB_S6_S9_S3_SB_S9_S3_PS5_21rocsparse_index_base_SD_SD_SD_bbb,comdat
	.globl	_ZN9rocsparseL41csrgemm_numeric_fill_block_per_row_kernelILj256ELj32ELj512ELj137ELj64ElldEEvT5_PKS1_S3_NS_24const_host_device_scalarIT6_EEPKT4_S3_PKS5_S9_S3_SB_S6_S9_S3_SB_S9_S3_PS5_21rocsparse_index_base_SD_SD_SD_bbb ; -- Begin function _ZN9rocsparseL41csrgemm_numeric_fill_block_per_row_kernelILj256ELj32ELj512ELj137ELj64ElldEEvT5_PKS1_S3_NS_24const_host_device_scalarIT6_EEPKT4_S3_PKS5_S9_S3_SB_S6_S9_S3_SB_S9_S3_PS5_21rocsparse_index_base_SD_SD_SD_bbb
	.p2align	8
	.type	_ZN9rocsparseL41csrgemm_numeric_fill_block_per_row_kernelILj256ELj32ELj512ELj137ELj64ElldEEvT5_PKS1_S3_NS_24const_host_device_scalarIT6_EEPKT4_S3_PKS5_S9_S3_SB_S6_S9_S3_SB_S9_S3_PS5_21rocsparse_index_base_SD_SD_SD_bbb,@function
_ZN9rocsparseL41csrgemm_numeric_fill_block_per_row_kernelILj256ELj32ELj512ELj137ELj64ElldEEvT5_PKS1_S3_NS_24const_host_device_scalarIT6_EEPKT4_S3_PKS5_S9_S3_SB_S6_S9_S3_SB_S9_S3_PS5_21rocsparse_index_base_SD_SD_SD_bbb: ; @_ZN9rocsparseL41csrgemm_numeric_fill_block_per_row_kernelILj256ELj32ELj512ELj137ELj64ElldEEvT5_PKS1_S3_NS_24const_host_device_scalarIT6_EEPKT4_S3_PKS5_S9_S3_SB_S6_S9_S3_SB_S9_S3_PS5_21rocsparse_index_base_SD_SD_SD_bbb
; %bb.0:
	s_clause 0x2
	s_load_b32 s3, s[0:1], 0x98
	s_load_b64 s[6:7], s[0:1], 0x18
	s_load_b64 s[4:5], s[0:1], 0x50
	s_mov_b32 s2, s15
	s_waitcnt lgkmcnt(0)
	s_and_b32 s9, 1, s3
	s_bitcmp1_b32 s3, 16
	s_cselect_b32 s8, -1, 0
	s_cmp_eq_u32 s9, 1
	s_cselect_b32 s38, -1, 0
	s_delay_alu instid0(SALU_CYCLE_1)
	s_and_b32 s9, s38, exec_lo
	s_cselect_b32 s11, s7, 0
	s_cselect_b32 s10, s6, 0
	s_xor_b32 s9, s38, -1
	v_dual_mov_b32 v3, s10 :: v_dual_mov_b32 v4, s11
	s_or_b32 s9, s9, s8
	s_delay_alu instid0(SALU_CYCLE_1)
	s_and_b32 vcc_lo, exec_lo, s9
	s_cbranch_vccnz .LBB105_2
; %bb.1:
	v_dual_mov_b32 v1, s6 :: v_dual_mov_b32 v2, s7
	flat_load_b64 v[3:4], v[1:2]
.LBB105_2:
	s_load_b128 s[20:23], s[0:1], 0x88
	s_bitcmp1_b32 s3, 8
	s_cselect_b32 s33, -1, 0
	s_delay_alu instid0(SALU_CYCLE_1)
	s_and_b32 s3, s33, exec_lo
	s_cselect_b32 s7, s5, 0
	s_cselect_b32 s6, s4, 0
	s_xor_b32 s3, s33, -1
	v_dual_mov_b32 v1, s6 :: v_dual_mov_b32 v2, s7
	s_or_b32 s3, s3, s8
	s_delay_alu instid0(SALU_CYCLE_1)
	s_and_b32 vcc_lo, exec_lo, s3
	s_cbranch_vccnz .LBB105_4
; %bb.3:
	v_dual_mov_b32 v1, s4 :: v_dual_mov_b32 v2, s5
	flat_load_b64 v[1:2], v[1:2]
.LBB105_4:
	s_clause 0x5
	s_load_b64 s[34:35], s[0:1], 0x80
	s_load_b256 s[4:11], s[0:1], 0x58
	s_load_b128 s[28:31], s[0:1], 0x40
	s_load_b128 s[24:27], s[0:1], 0x0
	s_load_b64 s[36:37], s[0:1], 0x10
	s_load_b256 s[12:19], s[0:1], 0x20
	v_cmp_gt_u32_e64 s0, 0x200, v0
	v_or_b32_e32 v19, 0xffffff00, v0
	v_lshl_add_u32 v20, v0, 3, 0
	s_delay_alu instid0(VALU_DEP_3)
	s_and_saveexec_b32 s1, s0
	s_cbranch_execz .LBB105_7
; %bb.5:
	v_mov_b32_e32 v5, 0
	s_waitcnt lgkmcnt(0)
	v_mov_b32_e32 v7, s24
	v_or_b32_e32 v9, 0xffffff00, v0
	v_lshl_add_u32 v10, v0, 3, 0
	v_mov_b32_e32 v8, s25
	v_mov_b32_e32 v6, v5
	s_mov_b32 s3, 0
.LBB105_6:                              ; =>This Inner Loop Header: Depth=1
	v_add_co_u32 v9, s39, 0x100, v9
	s_delay_alu instid0(VALU_DEP_1) | instskip(SKIP_3) | instid1(SALU_CYCLE_1)
	s_xor_b32 s39, s39, -1
	ds_store_2addr_stride64_b64 v10, v[7:8], v[5:6] offset1:8
	v_add_nc_u32_e32 v10, 0x800, v10
	s_and_b32 s39, exec_lo, s39
	s_or_b32 s3, s39, s3
	s_delay_alu instid0(SALU_CYCLE_1)
	s_and_not1_b32 exec_lo, exec_lo, s3
	s_cbranch_execnz .LBB105_6
.LBB105_7:
	s_or_b32 exec_lo, exec_lo, s1
	s_waitcnt vmcnt(0) lgkmcnt(0)
	s_barrier
	buffer_gl0_inv
	s_load_b64 s[26:27], s[26:27], 0x0
	s_mov_b32 s3, 0
	s_waitcnt lgkmcnt(0)
	s_lshl_b64 s[26:27], s[26:27], 3
	s_delay_alu instid0(SALU_CYCLE_1) | instskip(SKIP_2) | instid1(SALU_CYCLE_1)
	s_add_u32 s1, s36, s26
	s_addc_u32 s26, s37, s27
	s_lshl_b64 s[2:3], s[2:3], 3
	s_add_u32 s2, s1, s2
	s_addc_u32 s3, s26, s3
	s_and_b32 vcc_lo, exec_lo, s38
	s_load_b64 s[26:27], s[2:3], 0x0
	s_cbranch_vccz .LBB105_31
; %bb.8:
	s_waitcnt lgkmcnt(0)
	s_lshl_b64 s[2:3], s[26:27], 3
	v_lshrrev_b32_e32 v5, 5, v0
	s_add_u32 s2, s12, s2
	s_addc_u32 s3, s13, s3
	s_load_b128 s[36:39], s[2:3], 0x0
	s_delay_alu instid0(VALU_DEP_1) | instskip(NEXT) | instid1(VALU_DEP_1)
	v_sub_co_u32 v5, s1, v5, s20
	v_sub_co_ci_u32_e64 v6, null, 0, 0, s1
	s_mov_b32 s1, exec_lo
	s_waitcnt lgkmcnt(0)
	s_delay_alu instid0(VALU_DEP_2) | instskip(NEXT) | instid1(VALU_DEP_2)
	v_add_co_u32 v5, vcc_lo, s36, v5
	v_add_co_ci_u32_e32 v6, vcc_lo, s37, v6, vcc_lo
	s_sub_u32 s2, s38, s20
	s_subb_u32 s3, s39, 0
	s_delay_alu instid0(VALU_DEP_1) | instid1(SALU_CYCLE_1)
	v_cmpx_gt_i64_e64 s[2:3], v[5:6]
	s_cbranch_execz .LBB105_30
; %bb.9:
	v_and_b32_e32 v7, 31, v0
	s_mov_b32 s13, s21
	s_delay_alu instid0(VALU_DEP_1) | instskip(NEXT) | instid1(VALU_DEP_1)
	v_sub_co_u32 v21, s12, v7, s21
	v_sub_co_ci_u32_e64 v22, null, 0, 0, s12
	s_mov_b32 s12, 0
	s_branch .LBB105_11
.LBB105_10:                             ;   in Loop: Header=BB105_11 Depth=1
	s_or_b32 exec_lo, exec_lo, s21
	v_add_co_u32 v5, vcc_lo, v5, 8
	v_add_co_ci_u32_e32 v6, vcc_lo, 0, v6, vcc_lo
	s_delay_alu instid0(VALU_DEP_1) | instskip(SKIP_1) | instid1(SALU_CYCLE_1)
	v_cmp_le_i64_e32 vcc_lo, s[2:3], v[5:6]
	s_or_b32 s12, vcc_lo, s12
	s_and_not1_b32 exec_lo, exec_lo, s12
	s_cbranch_execz .LBB105_30
.LBB105_11:                             ; =>This Loop Header: Depth=1
                                        ;     Child Loop BB105_14 Depth 2
                                        ;       Child Loop BB105_16 Depth 3
                                        ;         Child Loop BB105_22 Depth 4
                                        ;         Child Loop BB105_28 Depth 4
	v_lshlrev_b64 v[11:12], 3, v[5:6]
	s_mov_b32 s21, exec_lo
	s_delay_alu instid0(VALU_DEP_1) | instskip(NEXT) | instid1(VALU_DEP_2)
	v_add_co_u32 v7, vcc_lo, s14, v11
	v_add_co_ci_u32_e32 v8, vcc_lo, s15, v12, vcc_lo
	global_load_b64 v[7:8], v[7:8], off
	s_waitcnt vmcnt(0)
	v_sub_co_u32 v7, vcc_lo, v7, s20
	v_subrev_co_ci_u32_e32 v8, vcc_lo, 0, v8, vcc_lo
	s_delay_alu instid0(VALU_DEP_1) | instskip(NEXT) | instid1(VALU_DEP_1)
	v_lshlrev_b64 v[7:8], 3, v[7:8]
	v_add_co_u32 v7, vcc_lo, s18, v7
	s_delay_alu instid0(VALU_DEP_2)
	v_add_co_ci_u32_e32 v8, vcc_lo, s19, v8, vcc_lo
	global_load_b128 v[13:16], v[7:8], off
	s_waitcnt vmcnt(0)
	v_sub_co_u32 v7, vcc_lo, v15, s13
	v_subrev_co_ci_u32_e32 v8, vcc_lo, 0, v16, vcc_lo
	v_add_co_u32 v9, vcc_lo, v13, v21
	v_add_co_ci_u32_e32 v10, vcc_lo, v14, v22, vcc_lo
	s_delay_alu instid0(VALU_DEP_1)
	v_cmpx_lt_i64_e64 v[9:10], v[7:8]
	s_cbranch_execz .LBB105_10
; %bb.12:                               ;   in Loop: Header=BB105_11 Depth=1
	v_add_co_u32 v11, vcc_lo, s16, v11
	v_add_co_ci_u32_e32 v12, vcc_lo, s17, v12, vcc_lo
	s_mov_b32 s36, 0
	global_load_b64 v[11:12], v[11:12], off
	s_waitcnt vmcnt(0)
	v_mul_f64 v[11:12], v[3:4], v[11:12]
	s_branch .LBB105_14
.LBB105_13:                             ;   in Loop: Header=BB105_14 Depth=2
	s_or_b32 exec_lo, exec_lo, s37
	v_add_co_u32 v9, vcc_lo, v9, 32
	v_add_co_ci_u32_e32 v10, vcc_lo, 0, v10, vcc_lo
	s_delay_alu instid0(VALU_DEP_1) | instskip(SKIP_1) | instid1(SALU_CYCLE_1)
	v_cmp_ge_i64_e32 vcc_lo, v[9:10], v[7:8]
	s_or_b32 s36, vcc_lo, s36
	s_and_not1_b32 exec_lo, exec_lo, s36
	s_cbranch_execz .LBB105_10
.LBB105_14:                             ;   Parent Loop BB105_11 Depth=1
                                        ; =>  This Loop Header: Depth=2
                                        ;       Child Loop BB105_16 Depth 3
                                        ;         Child Loop BB105_22 Depth 4
                                        ;         Child Loop BB105_28 Depth 4
	v_lshlrev_b64 v[13:14], 3, v[9:10]
	s_mov_b32 s37, 0
	s_delay_alu instid0(VALU_DEP_1) | instskip(NEXT) | instid1(VALU_DEP_2)
	v_add_co_u32 v15, vcc_lo, s30, v13
	v_add_co_ci_u32_e32 v16, vcc_lo, s31, v14, vcc_lo
	v_add_co_u32 v13, vcc_lo, s28, v13
	v_add_co_ci_u32_e32 v14, vcc_lo, s29, v14, vcc_lo
	global_load_b64 v[15:16], v[15:16], off
	global_load_b64 v[17:18], v[13:14], off
	s_waitcnt vmcnt(1)
	v_mul_f64 v[13:14], v[11:12], v[15:16]
	s_waitcnt vmcnt(0)
	v_sub_co_u32 v15, vcc_lo, v17, s13
	v_subrev_co_ci_u32_e32 v16, vcc_lo, 0, v18, vcc_lo
	s_delay_alu instid0(VALU_DEP_2) | instskip(NEXT) | instid1(VALU_DEP_1)
	v_mul_lo_u32 v17, 0x89, v15
	v_and_b32_e32 v23, 0x1ff, v17
	s_branch .LBB105_16
.LBB105_15:                             ;   in Loop: Header=BB105_16 Depth=3
	s_or_b32 exec_lo, exec_lo, s38
	s_xor_b32 s38, s39, -1
	s_delay_alu instid0(SALU_CYCLE_1) | instskip(NEXT) | instid1(SALU_CYCLE_1)
	s_and_b32 s38, exec_lo, s38
	s_or_b32 s37, s38, s37
	s_delay_alu instid0(SALU_CYCLE_1)
	s_and_not1_b32 exec_lo, exec_lo, s37
	s_cbranch_execz .LBB105_13
.LBB105_16:                             ;   Parent Loop BB105_11 Depth=1
                                        ;     Parent Loop BB105_14 Depth=2
                                        ; =>    This Loop Header: Depth=3
                                        ;         Child Loop BB105_22 Depth 4
                                        ;         Child Loop BB105_28 Depth 4
	s_delay_alu instid0(VALU_DEP_1)
	v_lshl_add_u32 v24, v23, 3, 0
	s_mov_b32 s38, exec_lo
                                        ; implicit-def: $sgpr39
	ds_load_b64 v[17:18], v24
	s_waitcnt lgkmcnt(0)
	v_cmpx_ne_u64_e64 v[17:18], v[15:16]
	s_xor_b32 s38, exec_lo, s38
	s_cbranch_execz .LBB105_26
; %bb.17:                               ;   in Loop: Header=BB105_16 Depth=3
	s_mov_b32 s40, exec_lo
                                        ; implicit-def: $sgpr39
	v_cmpx_ne_u64_e64 s[24:25], v[17:18]
	s_xor_b32 s40, exec_lo, s40
; %bb.18:                               ;   in Loop: Header=BB105_16 Depth=3
	v_add_nc_u32_e32 v17, 1, v23
	s_mov_b32 s39, -1
                                        ; implicit-def: $vgpr24
	s_delay_alu instid0(VALU_DEP_1)
	v_and_b32_e32 v23, 0x1ff, v17
; %bb.19:                               ;   in Loop: Header=BB105_16 Depth=3
	s_and_not1_saveexec_b32 s40, s40
	s_cbranch_execz .LBB105_25
; %bb.20:                               ;   in Loop: Header=BB105_16 Depth=3
	v_dual_mov_b32 v17, s24 :: v_dual_mov_b32 v18, s25
	s_mov_b32 s42, -1
	s_mov_b32 s41, exec_lo
	ds_cmpstore_rtn_b64 v[17:18], v24, v[15:16], v[17:18]
	s_waitcnt lgkmcnt(0)
	v_cmpx_eq_u64_e64 s[24:25], v[17:18]
	s_cbranch_execz .LBB105_24
; %bb.21:                               ;   in Loop: Header=BB105_16 Depth=3
	ds_load_b64 v[17:18], v24 offset:4096
	s_mov_b32 s42, 0
.LBB105_22:                             ;   Parent Loop BB105_11 Depth=1
                                        ;     Parent Loop BB105_14 Depth=2
                                        ;       Parent Loop BB105_16 Depth=3
                                        ; =>      This Inner Loop Header: Depth=4
	s_waitcnt lgkmcnt(0)
	v_add_f64 v[25:26], v[17:18], v[13:14]
	ds_cmpstore_rtn_b64 v[25:26], v24, v[25:26], v[17:18] offset:4096
	s_waitcnt lgkmcnt(0)
	v_cmp_eq_u64_e32 vcc_lo, v[25:26], v[17:18]
	v_dual_mov_b32 v17, v25 :: v_dual_mov_b32 v18, v26
	s_or_b32 s42, vcc_lo, s42
	s_delay_alu instid0(SALU_CYCLE_1)
	s_and_not1_b32 exec_lo, exec_lo, s42
	s_cbranch_execnz .LBB105_22
; %bb.23:                               ;   in Loop: Header=BB105_16 Depth=3
	s_or_b32 exec_lo, exec_lo, s42
	s_delay_alu instid0(SALU_CYCLE_1)
	s_xor_b32 s42, exec_lo, -1
.LBB105_24:                             ;   in Loop: Header=BB105_16 Depth=3
	s_or_b32 exec_lo, exec_lo, s41
	s_delay_alu instid0(SALU_CYCLE_1) | instskip(SKIP_1) | instid1(SALU_CYCLE_1)
	s_and_not1_b32 s39, s39, exec_lo
	s_and_b32 s41, s42, exec_lo
	s_or_b32 s39, s39, s41
.LBB105_25:                             ;   in Loop: Header=BB105_16 Depth=3
	s_or_b32 exec_lo, exec_lo, s40
	s_delay_alu instid0(SALU_CYCLE_1)
	s_and_b32 s39, s39, exec_lo
                                        ; implicit-def: $vgpr24
.LBB105_26:                             ;   in Loop: Header=BB105_16 Depth=3
	s_and_not1_saveexec_b32 s38, s38
	s_cbranch_execz .LBB105_15
; %bb.27:                               ;   in Loop: Header=BB105_16 Depth=3
	ds_load_b64 v[17:18], v24 offset:4096
	s_mov_b32 s40, 0
.LBB105_28:                             ;   Parent Loop BB105_11 Depth=1
                                        ;     Parent Loop BB105_14 Depth=2
                                        ;       Parent Loop BB105_16 Depth=3
                                        ; =>      This Inner Loop Header: Depth=4
	s_waitcnt lgkmcnt(0)
	v_add_f64 v[25:26], v[17:18], v[13:14]
	ds_cmpstore_rtn_b64 v[25:26], v24, v[25:26], v[17:18] offset:4096
	s_waitcnt lgkmcnt(0)
	v_cmp_eq_u64_e32 vcc_lo, v[25:26], v[17:18]
	v_dual_mov_b32 v17, v25 :: v_dual_mov_b32 v18, v26
	s_or_b32 s40, vcc_lo, s40
	s_delay_alu instid0(SALU_CYCLE_1)
	s_and_not1_b32 exec_lo, exec_lo, s40
	s_cbranch_execnz .LBB105_28
; %bb.29:                               ;   in Loop: Header=BB105_16 Depth=3
	s_or_b32 exec_lo, exec_lo, s40
	s_delay_alu instid0(SALU_CYCLE_1)
	s_and_not1_b32 s39, s39, exec_lo
	s_branch .LBB105_15
.LBB105_30:
	s_or_b32 exec_lo, exec_lo, s1
.LBB105_31:
	s_delay_alu instid0(SALU_CYCLE_1)
	s_and_not1_b32 vcc_lo, exec_lo, s33
	s_cbranch_vccnz .LBB105_52
; %bb.32:
	s_waitcnt lgkmcnt(0)
	s_lshl_b64 s[2:3], s[26:27], 3
	v_sub_co_u32 v3, s1, v0, s23
	s_add_u32 s2, s4, s2
	s_addc_u32 s3, s5, s3
	v_sub_co_ci_u32_e64 v4, null, 0, 0, s1
	s_load_b128 s[12:15], s[2:3], 0x0
	s_mov_b32 s1, 0
	s_mov_b32 s4, exec_lo
	s_waitcnt lgkmcnt(0)
	v_add_co_u32 v3, vcc_lo, s12, v3
	v_add_co_ci_u32_e32 v4, vcc_lo, s13, v4, vcc_lo
	s_sub_u32 s2, s14, s23
	s_subb_u32 s3, s15, 0
	s_delay_alu instid0(VALU_DEP_1) | instid1(SALU_CYCLE_1)
	v_cmpx_gt_i64_e64 s[2:3], v[3:4]
	s_cbranch_execz .LBB105_51
; %bb.33:
	s_mov_b32 s5, s23
	s_branch .LBB105_35
.LBB105_34:                             ;   in Loop: Header=BB105_35 Depth=1
	s_or_b32 exec_lo, exec_lo, s12
	v_add_co_u32 v3, vcc_lo, 0x100, v3
	v_add_co_ci_u32_e32 v4, vcc_lo, 0, v4, vcc_lo
	s_delay_alu instid0(VALU_DEP_1) | instskip(SKIP_1) | instid1(SALU_CYCLE_1)
	v_cmp_le_i64_e32 vcc_lo, s[2:3], v[3:4]
	s_or_b32 s1, vcc_lo, s1
	s_and_not1_b32 exec_lo, exec_lo, s1
	s_cbranch_execz .LBB105_51
.LBB105_35:                             ; =>This Loop Header: Depth=1
                                        ;     Child Loop BB105_37 Depth 2
                                        ;       Child Loop BB105_43 Depth 3
                                        ;       Child Loop BB105_49 Depth 3
	v_lshlrev_b64 v[5:6], 3, v[3:4]
	s_mov_b32 s12, 0
	s_delay_alu instid0(VALU_DEP_1) | instskip(NEXT) | instid1(VALU_DEP_2)
	v_add_co_u32 v7, vcc_lo, s8, v5
	v_add_co_ci_u32_e32 v8, vcc_lo, s9, v6, vcc_lo
	v_add_co_u32 v5, vcc_lo, s6, v5
	v_add_co_ci_u32_e32 v6, vcc_lo, s7, v6, vcc_lo
	global_load_b64 v[7:8], v[7:8], off
	global_load_b64 v[9:10], v[5:6], off
	s_waitcnt vmcnt(1)
	v_mul_f64 v[5:6], v[1:2], v[7:8]
	s_waitcnt vmcnt(0)
	v_sub_co_u32 v7, vcc_lo, v9, s5
	v_subrev_co_ci_u32_e32 v8, vcc_lo, 0, v10, vcc_lo
	s_delay_alu instid0(VALU_DEP_2) | instskip(NEXT) | instid1(VALU_DEP_1)
	v_mul_lo_u32 v9, 0x89, v7
	v_and_b32_e32 v11, 0x1ff, v9
	s_branch .LBB105_37
.LBB105_36:                             ;   in Loop: Header=BB105_37 Depth=2
	s_or_b32 exec_lo, exec_lo, s13
	s_xor_b32 s13, s14, -1
	s_delay_alu instid0(SALU_CYCLE_1) | instskip(NEXT) | instid1(SALU_CYCLE_1)
	s_and_b32 s13, exec_lo, s13
	s_or_b32 s12, s13, s12
	s_delay_alu instid0(SALU_CYCLE_1)
	s_and_not1_b32 exec_lo, exec_lo, s12
	s_cbranch_execz .LBB105_34
.LBB105_37:                             ;   Parent Loop BB105_35 Depth=1
                                        ; =>  This Loop Header: Depth=2
                                        ;       Child Loop BB105_43 Depth 3
                                        ;       Child Loop BB105_49 Depth 3
	s_delay_alu instid0(VALU_DEP_1)
	v_lshl_add_u32 v12, v11, 3, 0
	s_mov_b32 s13, exec_lo
                                        ; implicit-def: $sgpr14
	ds_load_b64 v[9:10], v12
	s_waitcnt lgkmcnt(0)
	v_cmpx_ne_u64_e64 v[9:10], v[7:8]
	s_xor_b32 s13, exec_lo, s13
	s_cbranch_execz .LBB105_47
; %bb.38:                               ;   in Loop: Header=BB105_37 Depth=2
	s_mov_b32 s15, exec_lo
                                        ; implicit-def: $sgpr14
	v_cmpx_ne_u64_e64 s[24:25], v[9:10]
	s_xor_b32 s15, exec_lo, s15
; %bb.39:                               ;   in Loop: Header=BB105_37 Depth=2
	v_add_nc_u32_e32 v9, 1, v11
	s_mov_b32 s14, -1
                                        ; implicit-def: $vgpr12
	s_delay_alu instid0(VALU_DEP_1)
	v_and_b32_e32 v11, 0x1ff, v9
; %bb.40:                               ;   in Loop: Header=BB105_37 Depth=2
	s_and_not1_saveexec_b32 s15, s15
	s_cbranch_execz .LBB105_46
; %bb.41:                               ;   in Loop: Header=BB105_37 Depth=2
	v_dual_mov_b32 v9, s24 :: v_dual_mov_b32 v10, s25
	s_mov_b32 s17, -1
	s_mov_b32 s16, exec_lo
	ds_cmpstore_rtn_b64 v[9:10], v12, v[7:8], v[9:10]
	s_waitcnt lgkmcnt(0)
	v_cmpx_eq_u64_e64 s[24:25], v[9:10]
	s_cbranch_execz .LBB105_45
; %bb.42:                               ;   in Loop: Header=BB105_37 Depth=2
	ds_load_b64 v[9:10], v12 offset:4096
	s_mov_b32 s17, 0
.LBB105_43:                             ;   Parent Loop BB105_35 Depth=1
                                        ;     Parent Loop BB105_37 Depth=2
                                        ; =>    This Inner Loop Header: Depth=3
	s_waitcnt lgkmcnt(0)
	v_add_f64 v[13:14], v[9:10], v[5:6]
	ds_cmpstore_rtn_b64 v[13:14], v12, v[13:14], v[9:10] offset:4096
	s_waitcnt lgkmcnt(0)
	v_cmp_eq_u64_e32 vcc_lo, v[13:14], v[9:10]
	v_dual_mov_b32 v9, v13 :: v_dual_mov_b32 v10, v14
	s_or_b32 s17, vcc_lo, s17
	s_delay_alu instid0(SALU_CYCLE_1)
	s_and_not1_b32 exec_lo, exec_lo, s17
	s_cbranch_execnz .LBB105_43
; %bb.44:                               ;   in Loop: Header=BB105_37 Depth=2
	s_or_b32 exec_lo, exec_lo, s17
	s_delay_alu instid0(SALU_CYCLE_1)
	s_xor_b32 s17, exec_lo, -1
.LBB105_45:                             ;   in Loop: Header=BB105_37 Depth=2
	s_or_b32 exec_lo, exec_lo, s16
	s_delay_alu instid0(SALU_CYCLE_1) | instskip(SKIP_1) | instid1(SALU_CYCLE_1)
	s_and_not1_b32 s14, s14, exec_lo
	s_and_b32 s16, s17, exec_lo
	s_or_b32 s14, s14, s16
.LBB105_46:                             ;   in Loop: Header=BB105_37 Depth=2
	s_or_b32 exec_lo, exec_lo, s15
	s_delay_alu instid0(SALU_CYCLE_1)
	s_and_b32 s14, s14, exec_lo
                                        ; implicit-def: $vgpr12
.LBB105_47:                             ;   in Loop: Header=BB105_37 Depth=2
	s_and_not1_saveexec_b32 s13, s13
	s_cbranch_execz .LBB105_36
; %bb.48:                               ;   in Loop: Header=BB105_37 Depth=2
	ds_load_b64 v[9:10], v12 offset:4096
	s_mov_b32 s15, 0
.LBB105_49:                             ;   Parent Loop BB105_35 Depth=1
                                        ;     Parent Loop BB105_37 Depth=2
                                        ; =>    This Inner Loop Header: Depth=3
	s_waitcnt lgkmcnt(0)
	v_add_f64 v[13:14], v[9:10], v[5:6]
	ds_cmpstore_rtn_b64 v[13:14], v12, v[13:14], v[9:10] offset:4096
	s_waitcnt lgkmcnt(0)
	v_cmp_eq_u64_e32 vcc_lo, v[13:14], v[9:10]
	v_dual_mov_b32 v9, v13 :: v_dual_mov_b32 v10, v14
	s_or_b32 s15, vcc_lo, s15
	s_delay_alu instid0(SALU_CYCLE_1)
	s_and_not1_b32 exec_lo, exec_lo, s15
	s_cbranch_execnz .LBB105_49
; %bb.50:                               ;   in Loop: Header=BB105_37 Depth=2
	s_or_b32 exec_lo, exec_lo, s15
	s_delay_alu instid0(SALU_CYCLE_1)
	s_and_not1_b32 s14, s14, exec_lo
	s_branch .LBB105_36
.LBB105_51:
	s_or_b32 exec_lo, exec_lo, s4
.LBB105_52:
	s_waitcnt lgkmcnt(0)
	s_barrier
	buffer_gl0_inv
	s_and_saveexec_b32 s4, s0
	s_cbranch_execz .LBB105_65
; %bb.53:
	v_mbcnt_lo_u32_b32 v1, -1, 0
	v_lshrrev_b32_e32 v2, 3, v0
	v_cmp_eq_u32_e32 vcc_lo, 0xff, v0
	v_cmp_lt_u32_e64 s0, 63, v0
	v_cmp_lt_u32_e64 s1, 0x7f, v0
	v_xor_b32_e32 v1, 63, v1
	v_and_b32_e32 v2, 24, v2
	v_cmp_lt_u32_e64 s2, 0xbf, v0
	s_mov_b32 s5, 0
	v_mov_b32_e32 v9, 0
	v_lshrrev_b64 v[5:6], v1, -1
	v_mov_b32_e32 v6, 0
	v_dual_mov_b32 v7, 0 :: v_dual_add_nc_u32 v12, 0, v2
	s_branch .LBB105_55
.LBB105_54:                             ;   in Loop: Header=BB105_55 Depth=1
	s_or_b32 exec_lo, exec_lo, s3
	s_waitcnt lgkmcnt(0)
	s_barrier
	buffer_gl0_inv
	ds_load_b64 v[1:2], v9 offset:8216
	v_add_co_u32 v19, s3, 0x100, v19
	s_delay_alu instid0(VALU_DEP_1) | instskip(SKIP_3) | instid1(VALU_DEP_1)
	s_xor_b32 s6, s3, -1
	v_add_nc_u32_e32 v20, 0x800, v20
	s_waitcnt lgkmcnt(0)
	v_add_co_u32 v6, s3, v1, v6
	v_add_co_ci_u32_e64 v7, s3, v2, v7, s3
	s_and_b32 s3, exec_lo, s6
	s_delay_alu instid0(SALU_CYCLE_1) | instskip(NEXT) | instid1(SALU_CYCLE_1)
	s_or_b32 s5, s3, s5
	s_and_not1_b32 exec_lo, exec_lo, s5
	s_cbranch_execz .LBB105_65
.LBB105_55:                             ; =>This Inner Loop Header: Depth=1
	ds_load_2addr_stride64_b64 v[1:4], v20 offset1:8
	s_waitcnt lgkmcnt(0)
	s_barrier
	buffer_gl0_inv
	v_cmp_gt_i64_e64 s3, s[24:25], v[1:2]
	s_delay_alu instid0(VALU_DEP_1) | instskip(SKIP_1) | instid1(SALU_CYCLE_1)
	v_and_b32_e32 v10, s3, v5
	s_bcnt1_i32_b32 s6, s3
	v_mov_b32_e32 v8, s6
	s_delay_alu instid0(VALU_DEP_2)
	v_bcnt_u32_b32 v10, v10, 0
	ds_store_b64 v12, v[8:9] offset:8192
	s_waitcnt lgkmcnt(0)
	s_barrier
	buffer_gl0_inv
	s_and_saveexec_b32 s6, s0
	s_cbranch_execnz .LBB105_60
; %bb.56:                               ;   in Loop: Header=BB105_55 Depth=1
	s_or_b32 exec_lo, exec_lo, s6
	s_and_saveexec_b32 s6, s1
	s_cbranch_execnz .LBB105_61
.LBB105_57:                             ;   in Loop: Header=BB105_55 Depth=1
	s_or_b32 exec_lo, exec_lo, s6
	s_and_saveexec_b32 s6, s2
	s_cbranch_execnz .LBB105_62
.LBB105_58:                             ;   in Loop: Header=BB105_55 Depth=1
	s_or_b32 exec_lo, exec_lo, s6
	v_ashrrev_i32_e32 v11, 31, v10
	s_and_saveexec_b32 s6, s3
	s_cbranch_execnz .LBB105_63
.LBB105_59:                             ;   in Loop: Header=BB105_55 Depth=1
	s_or_b32 exec_lo, exec_lo, s6
	s_and_saveexec_b32 s3, vcc_lo
	s_cbranch_execz .LBB105_54
	s_branch .LBB105_64
.LBB105_60:                             ;   in Loop: Header=BB105_55 Depth=1
	ds_load_b32 v8, v9 offset:8192
	s_waitcnt lgkmcnt(0)
	v_add_nc_u32_e32 v10, v8, v10
	s_or_b32 exec_lo, exec_lo, s6
	s_and_saveexec_b32 s6, s1
	s_cbranch_execz .LBB105_57
.LBB105_61:                             ;   in Loop: Header=BB105_55 Depth=1
	ds_load_b32 v8, v9 offset:8200
	s_waitcnt lgkmcnt(0)
	v_add_nc_u32_e32 v10, v10, v8
	s_or_b32 exec_lo, exec_lo, s6
	s_and_saveexec_b32 s6, s2
	s_cbranch_execz .LBB105_58
.LBB105_62:                             ;   in Loop: Header=BB105_55 Depth=1
	ds_load_b32 v8, v9 offset:8208
	s_waitcnt lgkmcnt(0)
	v_add_nc_u32_e32 v10, v10, v8
	s_or_b32 exec_lo, exec_lo, s6
	s_delay_alu instid0(VALU_DEP_1)
	v_ashrrev_i32_e32 v11, 31, v10
	s_and_saveexec_b32 s6, s3
	s_cbranch_execz .LBB105_59
.LBB105_63:                             ;   in Loop: Header=BB105_55 Depth=1
	v_add3_u32 v8, v6, -1, v10
	s_delay_alu instid0(VALU_DEP_1)
	v_lshl_add_u32 v8, v8, 3, 0
	ds_store_2addr_stride64_b64 v8, v[1:2], v[3:4] offset1:8
	s_or_b32 exec_lo, exec_lo, s6
	s_and_saveexec_b32 s3, vcc_lo
	s_cbranch_execz .LBB105_54
.LBB105_64:                             ;   in Loop: Header=BB105_55 Depth=1
	ds_store_b64 v9, v[10:11] offset:8216
	s_branch .LBB105_54
.LBB105_65:
	s_or_b32 exec_lo, exec_lo, s4
	s_lshl_b64 s[0:1], s[26:27], 3
	v_mov_b32_e32 v1, 0
	s_add_u32 s0, s10, s0
	s_addc_u32 s1, s11, s1
	s_mov_b32 s6, exec_lo
	s_load_b128 s[0:3], s[0:1], 0x0
	s_waitcnt lgkmcnt(0)
	s_sub_u32 s4, s2, s0
	s_subb_u32 s5, s3, s1
	s_delay_alu instid0(SALU_CYCLE_1)
	v_cmpx_gt_i64_e64 s[4:5], v[0:1]
	s_cbranch_execz .LBB105_75
; %bb.66:
	s_sub_u32 s8, s0, s22
	s_subb_u32 s9, s1, 0
	s_and_b32 s6, s4, 7
	s_sub_u32 s0, s0, s2
	s_subb_u32 s1, s1, s3
	s_mov_b32 s7, 0
	v_cmp_lt_u64_e64 s12, s[0:1], -7
	s_and_b32 s2, s4, -8
	s_cmp_lg_u64 s[6:7], 0
	s_mov_b32 s3, s5
	s_cselect_b32 s13, -1, 0
	s_mov_b32 s14, s7
	s_branch .LBB105_68
.LBB105_67:                             ;   in Loop: Header=BB105_68 Depth=1
	v_add_co_u32 v0, vcc_lo, 0x100, v0
	v_add_co_ci_u32_e32 v1, vcc_lo, 0, v1, vcc_lo
	s_waitcnt lgkmcnt(0)
	v_lshlrev_b64 v[2:3], 3, v[6:7]
	s_delay_alu instid0(VALU_DEP_2) | instskip(NEXT) | instid1(VALU_DEP_2)
	v_cmp_le_i64_e32 vcc_lo, s[4:5], v[0:1]
	v_add_co_u32 v2, s0, s34, v2
	s_delay_alu instid0(VALU_DEP_1)
	v_add_co_ci_u32_e64 v3, s0, s35, v3, s0
	s_or_b32 s14, vcc_lo, s14
	global_store_b64 v[2:3], v[4:5], off
	s_and_not1_b32 exec_lo, exec_lo, s14
	s_cbranch_execz .LBB105_75
.LBB105_68:                             ; =>This Loop Header: Depth=1
                                        ;     Child Loop BB105_70 Depth 2
                                        ;     Child Loop BB105_74 Depth 2
	v_lshl_add_u32 v2, v0, 3, 0
	v_dual_mov_b32 v6, s8 :: v_dual_mov_b32 v7, s9
	s_and_not1_b32 vcc_lo, exec_lo, s12
	s_mov_b64 s[0:1], 0
	ds_load_2addr_stride64_b64 v[2:5], v2 offset1:8
	s_cbranch_vccnz .LBB105_72
; %bb.69:                               ;   in Loop: Header=BB105_68 Depth=1
	v_dual_mov_b32 v6, s8 :: v_dual_mov_b32 v7, s9
	s_mov_b64 s[10:11], 0
	s_mov_b32 s1, 0
.LBB105_70:                             ;   Parent Loop BB105_68 Depth=1
                                        ; =>  This Inner Loop Header: Depth=2
	s_delay_alu instid0(SALU_CYCLE_1)
	v_mov_b32_e32 v20, s1
	s_add_u32 s10, s10, 8
	s_addc_u32 s11, s11, 0
	s_add_i32 s1, s1, 64
	s_cmp_eq_u64 s[2:3], s[10:11]
	ds_load_2addr_b64 v[8:11], v20 offset1:1
	ds_load_2addr_b64 v[12:15], v20 offset0:2 offset1:3
	ds_load_2addr_b64 v[16:19], v20 offset0:4 offset1:5
	;; [unrolled: 1-line block ×3, first 2 shown]
	s_waitcnt lgkmcnt(3)
	v_cmp_gt_i64_e32 vcc_lo, v[2:3], v[8:9]
	v_cndmask_b32_e64 v8, 0, 1, vcc_lo
	v_cmp_gt_i64_e32 vcc_lo, v[2:3], v[10:11]
	v_cndmask_b32_e64 v9, 0, 1, vcc_lo
	s_waitcnt lgkmcnt(2)
	v_cmp_gt_i64_e32 vcc_lo, v[2:3], v[12:13]
	v_cndmask_b32_e64 v10, 0, 1, vcc_lo
	v_cmp_gt_i64_e32 vcc_lo, v[2:3], v[14:15]
	v_cndmask_b32_e64 v11, 0, 1, vcc_lo
	s_waitcnt lgkmcnt(1)
	v_cmp_gt_i64_e32 vcc_lo, v[2:3], v[16:17]
	v_cndmask_b32_e64 v12, 0, 1, vcc_lo
	v_add_co_u32 v6, vcc_lo, v6, v8
	v_add_co_ci_u32_e32 v7, vcc_lo, 0, v7, vcc_lo
	v_cmp_gt_i64_e32 vcc_lo, v[2:3], v[18:19]
	s_delay_alu instid0(VALU_DEP_3) | instskip(NEXT) | instid1(VALU_DEP_1)
	v_add_co_u32 v6, s0, v6, v9
	v_add_co_ci_u32_e64 v7, s0, 0, v7, s0
	v_cndmask_b32_e64 v8, 0, 1, vcc_lo
	s_delay_alu instid0(VALU_DEP_3) | instskip(NEXT) | instid1(VALU_DEP_3)
	v_add_co_u32 v6, vcc_lo, v6, v10
	v_add_co_ci_u32_e32 v7, vcc_lo, 0, v7, vcc_lo
	s_waitcnt lgkmcnt(0)
	v_cmp_gt_i64_e32 vcc_lo, v[2:3], v[20:21]
	s_delay_alu instid0(VALU_DEP_3) | instskip(NEXT) | instid1(VALU_DEP_1)
	v_add_co_u32 v6, s0, v6, v11
	v_add_co_ci_u32_e64 v7, s0, 0, v7, s0
	v_cndmask_b32_e64 v9, 0, 1, vcc_lo
	s_delay_alu instid0(VALU_DEP_3) | instskip(NEXT) | instid1(VALU_DEP_3)
	v_add_co_u32 v6, vcc_lo, v6, v12
	v_add_co_ci_u32_e32 v7, vcc_lo, 0, v7, vcc_lo
	v_cmp_gt_i64_e32 vcc_lo, v[2:3], v[22:23]
	s_delay_alu instid0(VALU_DEP_3) | instskip(NEXT) | instid1(VALU_DEP_1)
	v_add_co_u32 v6, s0, v6, v8
	v_add_co_ci_u32_e64 v7, s0, 0, v7, s0
	v_cndmask_b32_e64 v8, 0, 1, vcc_lo
	s_delay_alu instid0(VALU_DEP_3) | instskip(NEXT) | instid1(VALU_DEP_3)
	v_add_co_u32 v6, vcc_lo, v6, v9
	v_add_co_ci_u32_e32 v7, vcc_lo, 0, v7, vcc_lo
	s_delay_alu instid0(VALU_DEP_2) | instskip(NEXT) | instid1(VALU_DEP_2)
	v_add_co_u32 v6, vcc_lo, v6, v8
	v_add_co_ci_u32_e32 v7, vcc_lo, 0, v7, vcc_lo
	s_cbranch_scc0 .LBB105_70
; %bb.71:                               ;   in Loop: Header=BB105_68 Depth=1
	s_mov_b64 s[0:1], s[2:3]
.LBB105_72:                             ;   in Loop: Header=BB105_68 Depth=1
	s_and_not1_b32 vcc_lo, exec_lo, s13
	s_cbranch_vccnz .LBB105_67
; %bb.73:                               ;   in Loop: Header=BB105_68 Depth=1
	s_lshl_b32 s0, s0, 3
	s_delay_alu instid0(SALU_CYCLE_1)
	s_add_i32 s10, s0, 0
	s_mov_b64 s[0:1], s[6:7]
.LBB105_74:                             ;   Parent Loop BB105_68 Depth=1
                                        ; =>  This Inner Loop Header: Depth=2
	v_mov_b32_e32 v8, s10
	s_add_i32 s10, s10, 8
	s_add_u32 s0, s0, -1
	s_addc_u32 s1, s1, -1
	s_delay_alu instid0(SALU_CYCLE_1) | instskip(SKIP_4) | instid1(VALU_DEP_1)
	s_cmp_lg_u64 s[0:1], 0
	ds_load_b64 v[8:9], v8
	s_waitcnt lgkmcnt(0)
	v_cmp_gt_i64_e32 vcc_lo, v[2:3], v[8:9]
	v_cndmask_b32_e64 v8, 0, 1, vcc_lo
	v_add_co_u32 v6, vcc_lo, v6, v8
	v_add_co_ci_u32_e32 v7, vcc_lo, 0, v7, vcc_lo
	s_cbranch_scc1 .LBB105_74
	s_branch .LBB105_67
.LBB105_75:
	s_nop 0
	s_sendmsg sendmsg(MSG_DEALLOC_VGPRS)
	s_endpgm
	.section	.rodata,"a",@progbits
	.p2align	6, 0x0
	.amdhsa_kernel _ZN9rocsparseL41csrgemm_numeric_fill_block_per_row_kernelILj256ELj32ELj512ELj137ELj64ElldEEvT5_PKS1_S3_NS_24const_host_device_scalarIT6_EEPKT4_S3_PKS5_S9_S3_SB_S6_S9_S3_SB_S9_S3_PS5_21rocsparse_index_base_SD_SD_SD_bbb
		.amdhsa_group_segment_fixed_size 0
		.amdhsa_private_segment_fixed_size 0
		.amdhsa_kernarg_size 156
		.amdhsa_user_sgpr_count 15
		.amdhsa_user_sgpr_dispatch_ptr 0
		.amdhsa_user_sgpr_queue_ptr 0
		.amdhsa_user_sgpr_kernarg_segment_ptr 1
		.amdhsa_user_sgpr_dispatch_id 0
		.amdhsa_user_sgpr_private_segment_size 0
		.amdhsa_wavefront_size32 1
		.amdhsa_uses_dynamic_stack 0
		.amdhsa_enable_private_segment 0
		.amdhsa_system_sgpr_workgroup_id_x 1
		.amdhsa_system_sgpr_workgroup_id_y 0
		.amdhsa_system_sgpr_workgroup_id_z 0
		.amdhsa_system_sgpr_workgroup_info 0
		.amdhsa_system_vgpr_workitem_id 0
		.amdhsa_next_free_vgpr 27
		.amdhsa_next_free_sgpr 43
		.amdhsa_reserve_vcc 1
		.amdhsa_float_round_mode_32 0
		.amdhsa_float_round_mode_16_64 0
		.amdhsa_float_denorm_mode_32 3
		.amdhsa_float_denorm_mode_16_64 3
		.amdhsa_dx10_clamp 1
		.amdhsa_ieee_mode 1
		.amdhsa_fp16_overflow 0
		.amdhsa_workgroup_processor_mode 1
		.amdhsa_memory_ordered 1
		.amdhsa_forward_progress 0
		.amdhsa_shared_vgpr_count 0
		.amdhsa_exception_fp_ieee_invalid_op 0
		.amdhsa_exception_fp_denorm_src 0
		.amdhsa_exception_fp_ieee_div_zero 0
		.amdhsa_exception_fp_ieee_overflow 0
		.amdhsa_exception_fp_ieee_underflow 0
		.amdhsa_exception_fp_ieee_inexact 0
		.amdhsa_exception_int_div_zero 0
	.end_amdhsa_kernel
	.section	.text._ZN9rocsparseL41csrgemm_numeric_fill_block_per_row_kernelILj256ELj32ELj512ELj137ELj64ElldEEvT5_PKS1_S3_NS_24const_host_device_scalarIT6_EEPKT4_S3_PKS5_S9_S3_SB_S6_S9_S3_SB_S9_S3_PS5_21rocsparse_index_base_SD_SD_SD_bbb,"axG",@progbits,_ZN9rocsparseL41csrgemm_numeric_fill_block_per_row_kernelILj256ELj32ELj512ELj137ELj64ElldEEvT5_PKS1_S3_NS_24const_host_device_scalarIT6_EEPKT4_S3_PKS5_S9_S3_SB_S6_S9_S3_SB_S9_S3_PS5_21rocsparse_index_base_SD_SD_SD_bbb,comdat
.Lfunc_end105:
	.size	_ZN9rocsparseL41csrgemm_numeric_fill_block_per_row_kernelILj256ELj32ELj512ELj137ELj64ElldEEvT5_PKS1_S3_NS_24const_host_device_scalarIT6_EEPKT4_S3_PKS5_S9_S3_SB_S6_S9_S3_SB_S9_S3_PS5_21rocsparse_index_base_SD_SD_SD_bbb, .Lfunc_end105-_ZN9rocsparseL41csrgemm_numeric_fill_block_per_row_kernelILj256ELj32ELj512ELj137ELj64ElldEEvT5_PKS1_S3_NS_24const_host_device_scalarIT6_EEPKT4_S3_PKS5_S9_S3_SB_S6_S9_S3_SB_S9_S3_PS5_21rocsparse_index_base_SD_SD_SD_bbb
                                        ; -- End function
	.section	.AMDGPU.csdata,"",@progbits
; Kernel info:
; codeLenInByte = 3092
; NumSgprs: 45
; NumVgprs: 27
; ScratchSize: 0
; MemoryBound: 0
; FloatMode: 240
; IeeeMode: 1
; LDSByteSize: 0 bytes/workgroup (compile time only)
; SGPRBlocks: 5
; VGPRBlocks: 3
; NumSGPRsForWavesPerEU: 45
; NumVGPRsForWavesPerEU: 27
; Occupancy: 16
; WaveLimiterHint : 1
; COMPUTE_PGM_RSRC2:SCRATCH_EN: 0
; COMPUTE_PGM_RSRC2:USER_SGPR: 15
; COMPUTE_PGM_RSRC2:TRAP_HANDLER: 0
; COMPUTE_PGM_RSRC2:TGID_X_EN: 1
; COMPUTE_PGM_RSRC2:TGID_Y_EN: 0
; COMPUTE_PGM_RSRC2:TGID_Z_EN: 0
; COMPUTE_PGM_RSRC2:TIDIG_COMP_CNT: 0
	.section	.text._ZN9rocsparseL41csrgemm_numeric_fill_block_per_row_kernelILj512ELj32ELj1024ELj137ELj32ElldEEvT5_PKS1_S3_NS_24const_host_device_scalarIT6_EEPKT4_S3_PKS5_S9_S3_SB_S6_S9_S3_SB_S9_S3_PS5_21rocsparse_index_base_SD_SD_SD_bbb,"axG",@progbits,_ZN9rocsparseL41csrgemm_numeric_fill_block_per_row_kernelILj512ELj32ELj1024ELj137ELj32ElldEEvT5_PKS1_S3_NS_24const_host_device_scalarIT6_EEPKT4_S3_PKS5_S9_S3_SB_S6_S9_S3_SB_S9_S3_PS5_21rocsparse_index_base_SD_SD_SD_bbb,comdat
	.globl	_ZN9rocsparseL41csrgemm_numeric_fill_block_per_row_kernelILj512ELj32ELj1024ELj137ELj32ElldEEvT5_PKS1_S3_NS_24const_host_device_scalarIT6_EEPKT4_S3_PKS5_S9_S3_SB_S6_S9_S3_SB_S9_S3_PS5_21rocsparse_index_base_SD_SD_SD_bbb ; -- Begin function _ZN9rocsparseL41csrgemm_numeric_fill_block_per_row_kernelILj512ELj32ELj1024ELj137ELj32ElldEEvT5_PKS1_S3_NS_24const_host_device_scalarIT6_EEPKT4_S3_PKS5_S9_S3_SB_S6_S9_S3_SB_S9_S3_PS5_21rocsparse_index_base_SD_SD_SD_bbb
	.p2align	8
	.type	_ZN9rocsparseL41csrgemm_numeric_fill_block_per_row_kernelILj512ELj32ELj1024ELj137ELj32ElldEEvT5_PKS1_S3_NS_24const_host_device_scalarIT6_EEPKT4_S3_PKS5_S9_S3_SB_S6_S9_S3_SB_S9_S3_PS5_21rocsparse_index_base_SD_SD_SD_bbb,@function
_ZN9rocsparseL41csrgemm_numeric_fill_block_per_row_kernelILj512ELj32ELj1024ELj137ELj32ElldEEvT5_PKS1_S3_NS_24const_host_device_scalarIT6_EEPKT4_S3_PKS5_S9_S3_SB_S6_S9_S3_SB_S9_S3_PS5_21rocsparse_index_base_SD_SD_SD_bbb: ; @_ZN9rocsparseL41csrgemm_numeric_fill_block_per_row_kernelILj512ELj32ELj1024ELj137ELj32ElldEEvT5_PKS1_S3_NS_24const_host_device_scalarIT6_EEPKT4_S3_PKS5_S9_S3_SB_S6_S9_S3_SB_S9_S3_PS5_21rocsparse_index_base_SD_SD_SD_bbb
; %bb.0:
	s_clause 0x3
	s_load_b32 s3, s[0:1], 0x98
	s_load_b64 s[4:5], s[0:1], 0x18
	s_load_b128 s[20:23], s[0:1], 0x88
	s_load_b64 s[36:37], s[0:1], 0x50
	s_mov_b32 s2, s15
	s_waitcnt lgkmcnt(0)
	s_and_b32 s6, 1, s3
	s_bitcmp1_b32 s3, 16
	s_cselect_b32 s39, -1, 0
	s_cmp_eq_u32 s6, 1
	s_cselect_b32 s38, -1, 0
	s_delay_alu instid0(SALU_CYCLE_1)
	s_and_b32 s6, s38, exec_lo
	s_cselect_b32 s7, s5, 0
	s_cselect_b32 s6, s4, 0
	s_xor_b32 s8, s38, -1
	v_dual_mov_b32 v3, s6 :: v_dual_mov_b32 v4, s7
	s_or_b32 s8, s8, s39
	s_delay_alu instid0(SALU_CYCLE_1)
	s_and_b32 vcc_lo, exec_lo, s8
	s_cbranch_vccnz .LBB106_2
; %bb.1:
	v_dual_mov_b32 v1, s4 :: v_dual_mov_b32 v2, s5
	flat_load_b64 v[3:4], v[1:2]
.LBB106_2:
	s_clause 0x4
	s_load_b64 s[34:35], s[0:1], 0x80
	s_load_b256 s[12:19], s[0:1], 0x58
	s_load_b128 s[24:27], s[0:1], 0x40
	s_load_b128 s[28:31], s[0:1], 0x8
	s_load_b256 s[4:11], s[0:1], 0x20
	s_bitcmp1_b32 s3, 8
	s_cselect_b32 s33, -1, 0
	s_delay_alu instid0(SALU_CYCLE_1)
	s_and_b32 s3, s33, exec_lo
	s_cselect_b32 s41, s37, 0
	s_cselect_b32 s40, s36, 0
	s_xor_b32 s3, s33, -1
	v_dual_mov_b32 v1, s40 :: v_dual_mov_b32 v2, s41
	s_or_b32 s3, s3, s39
	s_delay_alu instid0(SALU_CYCLE_1)
	s_and_b32 vcc_lo, exec_lo, s3
	s_cbranch_vccnz .LBB106_4
; %bb.3:
	v_dual_mov_b32 v1, s36 :: v_dual_mov_b32 v2, s37
	flat_load_b64 v[1:2], v[1:2]
.LBB106_4:
	s_load_b64 s[36:37], s[0:1], 0x0
	v_mov_b32_e32 v5, 0
	v_lshl_add_u32 v19, v0, 3, 0
	v_or_b32_e32 v20, 0xfffffe00, v0
	s_mov_b32 s0, 0
	s_delay_alu instid0(VALU_DEP_1)
	v_dual_mov_b32 v9, v19 :: v_dual_mov_b32 v10, v20
	s_waitcnt lgkmcnt(0)
	v_dual_mov_b32 v7, s36 :: v_dual_mov_b32 v8, s37
	v_mov_b32_e32 v6, v5
.LBB106_5:                              ; =>This Inner Loop Header: Depth=1
	s_delay_alu instid0(VALU_DEP_3) | instskip(NEXT) | instid1(VALU_DEP_1)
	v_add_co_u32 v10, s1, 0x200, v10
	s_xor_b32 s1, s1, -1
	ds_store_2addr_stride64_b64 v9, v[7:8], v[5:6] offset1:16
	v_add_nc_u32_e32 v9, 0x1000, v9
	s_and_b32 s1, exec_lo, s1
	s_delay_alu instid0(SALU_CYCLE_1) | instskip(NEXT) | instid1(SALU_CYCLE_1)
	s_or_b32 s0, s1, s0
	s_and_not1_b32 exec_lo, exec_lo, s0
	s_cbranch_execnz .LBB106_5
; %bb.6:
	s_or_b32 exec_lo, exec_lo, s0
	s_waitcnt vmcnt(0) lgkmcnt(0)
	s_barrier
	buffer_gl0_inv
	s_load_b64 s[0:1], s[28:29], 0x0
	s_mov_b32 s3, 0
	v_lshrrev_b32_e32 v21, 5, v0
	s_waitcnt lgkmcnt(0)
	s_lshl_b64 s[0:1], s[0:1], 3
	s_delay_alu instid0(SALU_CYCLE_1) | instskip(SKIP_2) | instid1(SALU_CYCLE_1)
	s_add_u32 s28, s30, s0
	s_addc_u32 s29, s31, s1
	s_lshl_b64 s[0:1], s[2:3], 3
	s_add_u32 s0, s28, s0
	s_addc_u32 s1, s29, s1
	s_and_b32 vcc_lo, exec_lo, s38
	s_load_b64 s[28:29], s[0:1], 0x0
	s_cbranch_vccz .LBB106_30
; %bb.7:
	s_waitcnt lgkmcnt(0)
	s_lshl_b64 s[0:1], s[28:29], 3
	s_delay_alu instid0(SALU_CYCLE_1)
	s_add_u32 s0, s4, s0
	s_addc_u32 s1, s5, s1
	v_sub_co_u32 v5, s4, v21, s20
	s_load_b128 s[0:3], s[0:1], 0x0
	v_sub_co_ci_u32_e64 v6, null, 0, 0, s4
	s_waitcnt lgkmcnt(0)
	s_delay_alu instid0(VALU_DEP_2) | instskip(NEXT) | instid1(VALU_DEP_2)
	v_add_co_u32 v5, vcc_lo, s0, v5
	v_add_co_ci_u32_e32 v6, vcc_lo, s1, v6, vcc_lo
	s_sub_u32 s0, s2, s20
	s_subb_u32 s1, s3, 0
	s_mov_b32 s2, exec_lo
	s_delay_alu instid0(VALU_DEP_1)
	v_cmpx_gt_i64_e64 s[0:1], v[5:6]
	s_cbranch_execz .LBB106_29
; %bb.8:
	v_and_b32_e32 v7, 31, v0
	s_mov_b32 s4, s21
	s_delay_alu instid0(VALU_DEP_1) | instskip(NEXT) | instid1(VALU_DEP_1)
	v_sub_co_u32 v22, s3, v7, s21
	v_sub_co_ci_u32_e64 v23, null, 0, 0, s3
	s_mov_b32 s3, 0
	s_branch .LBB106_10
.LBB106_9:                              ;   in Loop: Header=BB106_10 Depth=1
	s_or_b32 exec_lo, exec_lo, s5
	v_add_co_u32 v5, vcc_lo, v5, 16
	v_add_co_ci_u32_e32 v6, vcc_lo, 0, v6, vcc_lo
	s_delay_alu instid0(VALU_DEP_1) | instskip(SKIP_1) | instid1(SALU_CYCLE_1)
	v_cmp_le_i64_e32 vcc_lo, s[0:1], v[5:6]
	s_or_b32 s3, vcc_lo, s3
	s_and_not1_b32 exec_lo, exec_lo, s3
	s_cbranch_execz .LBB106_29
.LBB106_10:                             ; =>This Loop Header: Depth=1
                                        ;     Child Loop BB106_13 Depth 2
                                        ;       Child Loop BB106_15 Depth 3
                                        ;         Child Loop BB106_21 Depth 4
                                        ;         Child Loop BB106_27 Depth 4
	v_lshlrev_b64 v[11:12], 3, v[5:6]
	s_mov_b32 s5, exec_lo
	s_delay_alu instid0(VALU_DEP_1) | instskip(NEXT) | instid1(VALU_DEP_2)
	v_add_co_u32 v7, vcc_lo, s6, v11
	v_add_co_ci_u32_e32 v8, vcc_lo, s7, v12, vcc_lo
	global_load_b64 v[7:8], v[7:8], off
	s_waitcnt vmcnt(0)
	v_sub_co_u32 v7, vcc_lo, v7, s20
	v_subrev_co_ci_u32_e32 v8, vcc_lo, 0, v8, vcc_lo
	s_delay_alu instid0(VALU_DEP_1) | instskip(NEXT) | instid1(VALU_DEP_1)
	v_lshlrev_b64 v[7:8], 3, v[7:8]
	v_add_co_u32 v7, vcc_lo, s10, v7
	s_delay_alu instid0(VALU_DEP_2)
	v_add_co_ci_u32_e32 v8, vcc_lo, s11, v8, vcc_lo
	global_load_b128 v[13:16], v[7:8], off
	s_waitcnt vmcnt(0)
	v_sub_co_u32 v7, vcc_lo, v15, s4
	v_subrev_co_ci_u32_e32 v8, vcc_lo, 0, v16, vcc_lo
	v_add_co_u32 v9, vcc_lo, v13, v22
	v_add_co_ci_u32_e32 v10, vcc_lo, v14, v23, vcc_lo
	s_delay_alu instid0(VALU_DEP_1)
	v_cmpx_lt_i64_e64 v[9:10], v[7:8]
	s_cbranch_execz .LBB106_9
; %bb.11:                               ;   in Loop: Header=BB106_10 Depth=1
	v_add_co_u32 v11, vcc_lo, s8, v11
	v_add_co_ci_u32_e32 v12, vcc_lo, s9, v12, vcc_lo
	s_mov_b32 s21, 0
	global_load_b64 v[11:12], v[11:12], off
	s_waitcnt vmcnt(0)
	v_mul_f64 v[11:12], v[3:4], v[11:12]
	s_branch .LBB106_13
.LBB106_12:                             ;   in Loop: Header=BB106_13 Depth=2
	s_or_b32 exec_lo, exec_lo, s30
	v_add_co_u32 v9, vcc_lo, v9, 32
	v_add_co_ci_u32_e32 v10, vcc_lo, 0, v10, vcc_lo
	s_delay_alu instid0(VALU_DEP_1) | instskip(SKIP_1) | instid1(SALU_CYCLE_1)
	v_cmp_ge_i64_e32 vcc_lo, v[9:10], v[7:8]
	s_or_b32 s21, vcc_lo, s21
	s_and_not1_b32 exec_lo, exec_lo, s21
	s_cbranch_execz .LBB106_9
.LBB106_13:                             ;   Parent Loop BB106_10 Depth=1
                                        ; =>  This Loop Header: Depth=2
                                        ;       Child Loop BB106_15 Depth 3
                                        ;         Child Loop BB106_21 Depth 4
                                        ;         Child Loop BB106_27 Depth 4
	v_lshlrev_b64 v[13:14], 3, v[9:10]
	s_mov_b32 s30, 0
	s_delay_alu instid0(VALU_DEP_1) | instskip(NEXT) | instid1(VALU_DEP_2)
	v_add_co_u32 v15, vcc_lo, s26, v13
	v_add_co_ci_u32_e32 v16, vcc_lo, s27, v14, vcc_lo
	v_add_co_u32 v13, vcc_lo, s24, v13
	v_add_co_ci_u32_e32 v14, vcc_lo, s25, v14, vcc_lo
	global_load_b64 v[15:16], v[15:16], off
	global_load_b64 v[17:18], v[13:14], off
	s_waitcnt vmcnt(1)
	v_mul_f64 v[13:14], v[11:12], v[15:16]
	s_waitcnt vmcnt(0)
	v_sub_co_u32 v15, vcc_lo, v17, s4
	v_subrev_co_ci_u32_e32 v16, vcc_lo, 0, v18, vcc_lo
	s_delay_alu instid0(VALU_DEP_2) | instskip(NEXT) | instid1(VALU_DEP_1)
	v_mul_lo_u32 v17, 0x89, v15
	v_and_b32_e32 v24, 0x3ff, v17
	s_branch .LBB106_15
.LBB106_14:                             ;   in Loop: Header=BB106_15 Depth=3
	s_or_b32 exec_lo, exec_lo, s31
	s_xor_b32 s31, s38, -1
	s_delay_alu instid0(SALU_CYCLE_1) | instskip(NEXT) | instid1(SALU_CYCLE_1)
	s_and_b32 s31, exec_lo, s31
	s_or_b32 s30, s31, s30
	s_delay_alu instid0(SALU_CYCLE_1)
	s_and_not1_b32 exec_lo, exec_lo, s30
	s_cbranch_execz .LBB106_12
.LBB106_15:                             ;   Parent Loop BB106_10 Depth=1
                                        ;     Parent Loop BB106_13 Depth=2
                                        ; =>    This Loop Header: Depth=3
                                        ;         Child Loop BB106_21 Depth 4
                                        ;         Child Loop BB106_27 Depth 4
	s_delay_alu instid0(VALU_DEP_1)
	v_lshl_add_u32 v25, v24, 3, 0
	s_mov_b32 s31, exec_lo
                                        ; implicit-def: $sgpr38
	ds_load_b64 v[17:18], v25
	s_waitcnt lgkmcnt(0)
	v_cmpx_ne_u64_e64 v[17:18], v[15:16]
	s_xor_b32 s31, exec_lo, s31
	s_cbranch_execz .LBB106_25
; %bb.16:                               ;   in Loop: Header=BB106_15 Depth=3
	s_mov_b32 s39, exec_lo
                                        ; implicit-def: $sgpr38
	v_cmpx_ne_u64_e64 s[36:37], v[17:18]
	s_xor_b32 s39, exec_lo, s39
; %bb.17:                               ;   in Loop: Header=BB106_15 Depth=3
	v_add_nc_u32_e32 v17, 1, v24
	s_mov_b32 s38, -1
                                        ; implicit-def: $vgpr25
	s_delay_alu instid0(VALU_DEP_1)
	v_and_b32_e32 v24, 0x3ff, v17
; %bb.18:                               ;   in Loop: Header=BB106_15 Depth=3
	s_and_not1_saveexec_b32 s39, s39
	s_cbranch_execz .LBB106_24
; %bb.19:                               ;   in Loop: Header=BB106_15 Depth=3
	v_dual_mov_b32 v17, s36 :: v_dual_mov_b32 v18, s37
	s_mov_b32 s41, -1
	s_mov_b32 s40, exec_lo
	ds_cmpstore_rtn_b64 v[17:18], v25, v[15:16], v[17:18]
	s_waitcnt lgkmcnt(0)
	v_cmpx_eq_u64_e64 s[36:37], v[17:18]
	s_cbranch_execz .LBB106_23
; %bb.20:                               ;   in Loop: Header=BB106_15 Depth=3
	ds_load_b64 v[17:18], v25 offset:8192
	s_mov_b32 s41, 0
.LBB106_21:                             ;   Parent Loop BB106_10 Depth=1
                                        ;     Parent Loop BB106_13 Depth=2
                                        ;       Parent Loop BB106_15 Depth=3
                                        ; =>      This Inner Loop Header: Depth=4
	s_waitcnt lgkmcnt(0)
	v_add_f64 v[26:27], v[17:18], v[13:14]
	ds_cmpstore_rtn_b64 v[26:27], v25, v[26:27], v[17:18] offset:8192
	s_waitcnt lgkmcnt(0)
	v_cmp_eq_u64_e32 vcc_lo, v[26:27], v[17:18]
	v_dual_mov_b32 v17, v26 :: v_dual_mov_b32 v18, v27
	s_or_b32 s41, vcc_lo, s41
	s_delay_alu instid0(SALU_CYCLE_1)
	s_and_not1_b32 exec_lo, exec_lo, s41
	s_cbranch_execnz .LBB106_21
; %bb.22:                               ;   in Loop: Header=BB106_15 Depth=3
	s_or_b32 exec_lo, exec_lo, s41
	s_delay_alu instid0(SALU_CYCLE_1)
	s_xor_b32 s41, exec_lo, -1
.LBB106_23:                             ;   in Loop: Header=BB106_15 Depth=3
	s_or_b32 exec_lo, exec_lo, s40
	s_delay_alu instid0(SALU_CYCLE_1) | instskip(SKIP_1) | instid1(SALU_CYCLE_1)
	s_and_not1_b32 s38, s38, exec_lo
	s_and_b32 s40, s41, exec_lo
	s_or_b32 s38, s38, s40
.LBB106_24:                             ;   in Loop: Header=BB106_15 Depth=3
	s_or_b32 exec_lo, exec_lo, s39
	s_delay_alu instid0(SALU_CYCLE_1)
	s_and_b32 s38, s38, exec_lo
                                        ; implicit-def: $vgpr25
.LBB106_25:                             ;   in Loop: Header=BB106_15 Depth=3
	s_and_not1_saveexec_b32 s31, s31
	s_cbranch_execz .LBB106_14
; %bb.26:                               ;   in Loop: Header=BB106_15 Depth=3
	ds_load_b64 v[17:18], v25 offset:8192
	s_mov_b32 s39, 0
.LBB106_27:                             ;   Parent Loop BB106_10 Depth=1
                                        ;     Parent Loop BB106_13 Depth=2
                                        ;       Parent Loop BB106_15 Depth=3
                                        ; =>      This Inner Loop Header: Depth=4
	s_waitcnt lgkmcnt(0)
	v_add_f64 v[26:27], v[17:18], v[13:14]
	ds_cmpstore_rtn_b64 v[26:27], v25, v[26:27], v[17:18] offset:8192
	s_waitcnt lgkmcnt(0)
	v_cmp_eq_u64_e32 vcc_lo, v[26:27], v[17:18]
	v_dual_mov_b32 v17, v26 :: v_dual_mov_b32 v18, v27
	s_or_b32 s39, vcc_lo, s39
	s_delay_alu instid0(SALU_CYCLE_1)
	s_and_not1_b32 exec_lo, exec_lo, s39
	s_cbranch_execnz .LBB106_27
; %bb.28:                               ;   in Loop: Header=BB106_15 Depth=3
	s_or_b32 exec_lo, exec_lo, s39
	s_delay_alu instid0(SALU_CYCLE_1)
	s_and_not1_b32 s38, s38, exec_lo
	s_branch .LBB106_14
.LBB106_29:
	s_or_b32 exec_lo, exec_lo, s2
.LBB106_30:
	s_delay_alu instid0(SALU_CYCLE_1)
	s_and_not1_b32 vcc_lo, exec_lo, s33
	s_cbranch_vccnz .LBB106_51
; %bb.31:
	s_waitcnt lgkmcnt(0)
	s_lshl_b64 s[0:1], s[28:29], 3
	v_sub_co_u32 v3, s4, v0, s23
	s_add_u32 s0, s12, s0
	s_addc_u32 s1, s13, s1
	v_sub_co_ci_u32_e64 v4, null, 0, 0, s4
	s_load_b128 s[0:3], s[0:1], 0x0
	s_waitcnt lgkmcnt(0)
	v_add_co_u32 v3, vcc_lo, s0, v3
	s_delay_alu instid0(VALU_DEP_2)
	v_add_co_ci_u32_e32 v4, vcc_lo, s1, v4, vcc_lo
	s_sub_u32 s0, s2, s23
	s_subb_u32 s1, s3, 0
	s_mov_b32 s2, 0
	s_mov_b32 s3, exec_lo
	v_cmpx_gt_i64_e64 s[0:1], v[3:4]
	s_cbranch_execz .LBB106_50
; %bb.32:
	s_mov_b32 s4, s23
	s_branch .LBB106_34
.LBB106_33:                             ;   in Loop: Header=BB106_34 Depth=1
	s_or_b32 exec_lo, exec_lo, s5
	v_add_co_u32 v3, vcc_lo, 0x200, v3
	v_add_co_ci_u32_e32 v4, vcc_lo, 0, v4, vcc_lo
	s_delay_alu instid0(VALU_DEP_1) | instskip(SKIP_1) | instid1(SALU_CYCLE_1)
	v_cmp_le_i64_e32 vcc_lo, s[0:1], v[3:4]
	s_or_b32 s2, vcc_lo, s2
	s_and_not1_b32 exec_lo, exec_lo, s2
	s_cbranch_execz .LBB106_50
.LBB106_34:                             ; =>This Loop Header: Depth=1
                                        ;     Child Loop BB106_36 Depth 2
                                        ;       Child Loop BB106_42 Depth 3
                                        ;       Child Loop BB106_48 Depth 3
	v_lshlrev_b64 v[5:6], 3, v[3:4]
	s_mov_b32 s5, 0
	s_delay_alu instid0(VALU_DEP_1) | instskip(NEXT) | instid1(VALU_DEP_2)
	v_add_co_u32 v7, vcc_lo, s16, v5
	v_add_co_ci_u32_e32 v8, vcc_lo, s17, v6, vcc_lo
	v_add_co_u32 v5, vcc_lo, s14, v5
	v_add_co_ci_u32_e32 v6, vcc_lo, s15, v6, vcc_lo
	global_load_b64 v[7:8], v[7:8], off
	global_load_b64 v[9:10], v[5:6], off
	s_waitcnt vmcnt(1)
	v_mul_f64 v[5:6], v[1:2], v[7:8]
	s_waitcnt vmcnt(0)
	v_sub_co_u32 v7, vcc_lo, v9, s4
	v_subrev_co_ci_u32_e32 v8, vcc_lo, 0, v10, vcc_lo
	s_delay_alu instid0(VALU_DEP_2) | instskip(NEXT) | instid1(VALU_DEP_1)
	v_mul_lo_u32 v9, 0x89, v7
	v_and_b32_e32 v11, 0x3ff, v9
	s_branch .LBB106_36
.LBB106_35:                             ;   in Loop: Header=BB106_36 Depth=2
	s_or_b32 exec_lo, exec_lo, s6
	s_xor_b32 s6, s7, -1
	s_delay_alu instid0(SALU_CYCLE_1) | instskip(NEXT) | instid1(SALU_CYCLE_1)
	s_and_b32 s6, exec_lo, s6
	s_or_b32 s5, s6, s5
	s_delay_alu instid0(SALU_CYCLE_1)
	s_and_not1_b32 exec_lo, exec_lo, s5
	s_cbranch_execz .LBB106_33
.LBB106_36:                             ;   Parent Loop BB106_34 Depth=1
                                        ; =>  This Loop Header: Depth=2
                                        ;       Child Loop BB106_42 Depth 3
                                        ;       Child Loop BB106_48 Depth 3
	s_delay_alu instid0(VALU_DEP_1)
	v_lshl_add_u32 v12, v11, 3, 0
	s_mov_b32 s6, exec_lo
                                        ; implicit-def: $sgpr7
	ds_load_b64 v[9:10], v12
	s_waitcnt lgkmcnt(0)
	v_cmpx_ne_u64_e64 v[9:10], v[7:8]
	s_xor_b32 s6, exec_lo, s6
	s_cbranch_execz .LBB106_46
; %bb.37:                               ;   in Loop: Header=BB106_36 Depth=2
	s_mov_b32 s8, exec_lo
                                        ; implicit-def: $sgpr7
	v_cmpx_ne_u64_e64 s[36:37], v[9:10]
	s_xor_b32 s8, exec_lo, s8
; %bb.38:                               ;   in Loop: Header=BB106_36 Depth=2
	v_add_nc_u32_e32 v9, 1, v11
	s_mov_b32 s7, -1
                                        ; implicit-def: $vgpr12
	s_delay_alu instid0(VALU_DEP_1)
	v_and_b32_e32 v11, 0x3ff, v9
; %bb.39:                               ;   in Loop: Header=BB106_36 Depth=2
	s_and_not1_saveexec_b32 s8, s8
	s_cbranch_execz .LBB106_45
; %bb.40:                               ;   in Loop: Header=BB106_36 Depth=2
	v_dual_mov_b32 v9, s36 :: v_dual_mov_b32 v10, s37
	s_mov_b32 s10, -1
	s_mov_b32 s9, exec_lo
	ds_cmpstore_rtn_b64 v[9:10], v12, v[7:8], v[9:10]
	s_waitcnt lgkmcnt(0)
	v_cmpx_eq_u64_e64 s[36:37], v[9:10]
	s_cbranch_execz .LBB106_44
; %bb.41:                               ;   in Loop: Header=BB106_36 Depth=2
	ds_load_b64 v[9:10], v12 offset:8192
	s_mov_b32 s10, 0
.LBB106_42:                             ;   Parent Loop BB106_34 Depth=1
                                        ;     Parent Loop BB106_36 Depth=2
                                        ; =>    This Inner Loop Header: Depth=3
	s_waitcnt lgkmcnt(0)
	v_add_f64 v[13:14], v[9:10], v[5:6]
	ds_cmpstore_rtn_b64 v[13:14], v12, v[13:14], v[9:10] offset:8192
	s_waitcnt lgkmcnt(0)
	v_cmp_eq_u64_e32 vcc_lo, v[13:14], v[9:10]
	v_dual_mov_b32 v9, v13 :: v_dual_mov_b32 v10, v14
	s_or_b32 s10, vcc_lo, s10
	s_delay_alu instid0(SALU_CYCLE_1)
	s_and_not1_b32 exec_lo, exec_lo, s10
	s_cbranch_execnz .LBB106_42
; %bb.43:                               ;   in Loop: Header=BB106_36 Depth=2
	s_or_b32 exec_lo, exec_lo, s10
	s_delay_alu instid0(SALU_CYCLE_1)
	s_xor_b32 s10, exec_lo, -1
.LBB106_44:                             ;   in Loop: Header=BB106_36 Depth=2
	s_or_b32 exec_lo, exec_lo, s9
	s_delay_alu instid0(SALU_CYCLE_1) | instskip(SKIP_1) | instid1(SALU_CYCLE_1)
	s_and_not1_b32 s7, s7, exec_lo
	s_and_b32 s9, s10, exec_lo
	s_or_b32 s7, s7, s9
.LBB106_45:                             ;   in Loop: Header=BB106_36 Depth=2
	s_or_b32 exec_lo, exec_lo, s8
	s_delay_alu instid0(SALU_CYCLE_1)
	s_and_b32 s7, s7, exec_lo
                                        ; implicit-def: $vgpr12
.LBB106_46:                             ;   in Loop: Header=BB106_36 Depth=2
	s_and_not1_saveexec_b32 s6, s6
	s_cbranch_execz .LBB106_35
; %bb.47:                               ;   in Loop: Header=BB106_36 Depth=2
	ds_load_b64 v[9:10], v12 offset:8192
	s_mov_b32 s8, 0
.LBB106_48:                             ;   Parent Loop BB106_34 Depth=1
                                        ;     Parent Loop BB106_36 Depth=2
                                        ; =>    This Inner Loop Header: Depth=3
	s_waitcnt lgkmcnt(0)
	v_add_f64 v[13:14], v[9:10], v[5:6]
	ds_cmpstore_rtn_b64 v[13:14], v12, v[13:14], v[9:10] offset:8192
	s_waitcnt lgkmcnt(0)
	v_cmp_eq_u64_e32 vcc_lo, v[13:14], v[9:10]
	v_dual_mov_b32 v9, v13 :: v_dual_mov_b32 v10, v14
	s_or_b32 s8, vcc_lo, s8
	s_delay_alu instid0(SALU_CYCLE_1)
	s_and_not1_b32 exec_lo, exec_lo, s8
	s_cbranch_execnz .LBB106_48
; %bb.49:                               ;   in Loop: Header=BB106_36 Depth=2
	s_or_b32 exec_lo, exec_lo, s8
	s_delay_alu instid0(SALU_CYCLE_1)
	s_and_not1_b32 s7, s7, exec_lo
	s_branch .LBB106_35
.LBB106_50:
	s_or_b32 exec_lo, exec_lo, s3
.LBB106_51:
	v_mbcnt_lo_u32_b32 v1, -1, 0
	v_lshl_add_u32 v12, v21, 3, 0
	v_cmp_eq_u32_e32 vcc_lo, 0x1ff, v0
	v_cmp_lt_u32_e64 s0, 31, v0
	v_cmp_lt_u32_e64 s1, 63, v0
	v_xor_b32_e32 v1, 63, v1
	v_cmp_lt_u32_e64 s2, 0x5f, v0
	v_cmp_lt_u32_e64 s3, 0x7f, v0
	;; [unrolled: 1-line block ×4, first 2 shown]
	v_lshrrev_b64 v[5:6], v1, -1
	v_dual_mov_b32 v6, 0 :: v_dual_mov_b32 v9, 0
	v_cmp_lt_u32_e64 s6, 0xdf, v0
	v_cmp_lt_u32_e64 s7, 0xff, v0
	;; [unrolled: 1-line block ×9, first 2 shown]
	v_mov_b32_e32 v7, 0
	s_mov_b32 s16, 0
	s_waitcnt lgkmcnt(0)
	s_barrier
	buffer_gl0_inv
	s_branch .LBB106_53
.LBB106_52:                             ;   in Loop: Header=BB106_53 Depth=1
	s_or_b32 exec_lo, exec_lo, s15
	s_waitcnt lgkmcnt(0)
	s_barrier
	buffer_gl0_inv
	ds_load_b64 v[1:2], v9 offset:16504
	v_add_co_u32 v20, s15, 0x200, v20
	s_delay_alu instid0(VALU_DEP_1) | instskip(SKIP_3) | instid1(VALU_DEP_1)
	s_xor_b32 s17, s15, -1
	v_add_nc_u32_e32 v19, 0x1000, v19
	s_waitcnt lgkmcnt(0)
	v_add_co_u32 v6, s15, v1, v6
	v_add_co_ci_u32_e64 v7, s15, v2, v7, s15
	s_and_b32 s15, exec_lo, s17
	s_delay_alu instid0(SALU_CYCLE_1) | instskip(NEXT) | instid1(SALU_CYCLE_1)
	s_or_b32 s16, s15, s16
	s_and_not1_b32 exec_lo, exec_lo, s16
	s_cbranch_execz .LBB106_87
.LBB106_53:                             ; =>This Inner Loop Header: Depth=1
	ds_load_2addr_stride64_b64 v[1:4], v19 offset1:16
	s_waitcnt lgkmcnt(0)
	s_barrier
	buffer_gl0_inv
	v_cmp_gt_i64_e64 s15, s[36:37], v[1:2]
	s_delay_alu instid0(VALU_DEP_1) | instskip(SKIP_1) | instid1(SALU_CYCLE_1)
	v_and_b32_e32 v10, s15, v5
	s_bcnt1_i32_b32 s17, s15
	v_mov_b32_e32 v8, s17
	s_delay_alu instid0(VALU_DEP_2)
	v_bcnt_u32_b32 v10, v10, 0
	ds_store_b64 v12, v[8:9] offset:16384
	s_waitcnt lgkmcnt(0)
	s_barrier
	buffer_gl0_inv
	s_and_saveexec_b32 s17, s0
	s_cbranch_execnz .LBB106_70
; %bb.54:                               ;   in Loop: Header=BB106_53 Depth=1
	s_or_b32 exec_lo, exec_lo, s17
	s_and_saveexec_b32 s17, s1
	s_cbranch_execnz .LBB106_71
.LBB106_55:                             ;   in Loop: Header=BB106_53 Depth=1
	s_or_b32 exec_lo, exec_lo, s17
	s_and_saveexec_b32 s17, s2
	s_cbranch_execnz .LBB106_72
.LBB106_56:                             ;   in Loop: Header=BB106_53 Depth=1
	s_or_b32 exec_lo, exec_lo, s17
	s_and_saveexec_b32 s17, s3
	s_cbranch_execnz .LBB106_73
.LBB106_57:                             ;   in Loop: Header=BB106_53 Depth=1
	s_or_b32 exec_lo, exec_lo, s17
	s_and_saveexec_b32 s17, s4
	s_cbranch_execnz .LBB106_74
.LBB106_58:                             ;   in Loop: Header=BB106_53 Depth=1
	s_or_b32 exec_lo, exec_lo, s17
	s_and_saveexec_b32 s17, s5
	s_cbranch_execnz .LBB106_75
.LBB106_59:                             ;   in Loop: Header=BB106_53 Depth=1
	s_or_b32 exec_lo, exec_lo, s17
	s_and_saveexec_b32 s17, s6
	s_cbranch_execnz .LBB106_76
.LBB106_60:                             ;   in Loop: Header=BB106_53 Depth=1
	s_or_b32 exec_lo, exec_lo, s17
	s_and_saveexec_b32 s17, s7
	s_cbranch_execnz .LBB106_77
.LBB106_61:                             ;   in Loop: Header=BB106_53 Depth=1
	s_or_b32 exec_lo, exec_lo, s17
	s_and_saveexec_b32 s17, s8
	s_cbranch_execnz .LBB106_78
.LBB106_62:                             ;   in Loop: Header=BB106_53 Depth=1
	s_or_b32 exec_lo, exec_lo, s17
	s_and_saveexec_b32 s17, s9
	s_cbranch_execnz .LBB106_79
.LBB106_63:                             ;   in Loop: Header=BB106_53 Depth=1
	s_or_b32 exec_lo, exec_lo, s17
	s_and_saveexec_b32 s17, s10
	s_cbranch_execnz .LBB106_80
.LBB106_64:                             ;   in Loop: Header=BB106_53 Depth=1
	s_or_b32 exec_lo, exec_lo, s17
	s_and_saveexec_b32 s17, s11
	s_cbranch_execnz .LBB106_81
.LBB106_65:                             ;   in Loop: Header=BB106_53 Depth=1
	s_or_b32 exec_lo, exec_lo, s17
	s_and_saveexec_b32 s17, s12
	s_cbranch_execnz .LBB106_82
.LBB106_66:                             ;   in Loop: Header=BB106_53 Depth=1
	s_or_b32 exec_lo, exec_lo, s17
	s_and_saveexec_b32 s17, s13
	s_cbranch_execnz .LBB106_83
.LBB106_67:                             ;   in Loop: Header=BB106_53 Depth=1
	s_or_b32 exec_lo, exec_lo, s17
	s_and_saveexec_b32 s17, s14
	s_cbranch_execnz .LBB106_84
.LBB106_68:                             ;   in Loop: Header=BB106_53 Depth=1
	s_or_b32 exec_lo, exec_lo, s17
	v_ashrrev_i32_e32 v11, 31, v10
	s_and_saveexec_b32 s17, s15
	s_cbranch_execnz .LBB106_85
.LBB106_69:                             ;   in Loop: Header=BB106_53 Depth=1
	s_or_b32 exec_lo, exec_lo, s17
	s_and_saveexec_b32 s15, vcc_lo
	s_cbranch_execz .LBB106_52
	s_branch .LBB106_86
.LBB106_70:                             ;   in Loop: Header=BB106_53 Depth=1
	ds_load_b32 v8, v9 offset:16384
	s_waitcnt lgkmcnt(0)
	v_add_nc_u32_e32 v10, v8, v10
	s_or_b32 exec_lo, exec_lo, s17
	s_and_saveexec_b32 s17, s1
	s_cbranch_execz .LBB106_55
.LBB106_71:                             ;   in Loop: Header=BB106_53 Depth=1
	ds_load_b32 v8, v9 offset:16392
	s_waitcnt lgkmcnt(0)
	v_add_nc_u32_e32 v10, v10, v8
	s_or_b32 exec_lo, exec_lo, s17
	s_and_saveexec_b32 s17, s2
	s_cbranch_execz .LBB106_56
.LBB106_72:                             ;   in Loop: Header=BB106_53 Depth=1
	ds_load_b32 v8, v9 offset:16400
	s_waitcnt lgkmcnt(0)
	v_add_nc_u32_e32 v10, v10, v8
	s_or_b32 exec_lo, exec_lo, s17
	s_and_saveexec_b32 s17, s3
	s_cbranch_execz .LBB106_57
.LBB106_73:                             ;   in Loop: Header=BB106_53 Depth=1
	ds_load_b32 v8, v9 offset:16408
	s_waitcnt lgkmcnt(0)
	v_add_nc_u32_e32 v10, v10, v8
	s_or_b32 exec_lo, exec_lo, s17
	s_and_saveexec_b32 s17, s4
	s_cbranch_execz .LBB106_58
.LBB106_74:                             ;   in Loop: Header=BB106_53 Depth=1
	ds_load_b32 v8, v9 offset:16416
	s_waitcnt lgkmcnt(0)
	v_add_nc_u32_e32 v10, v10, v8
	s_or_b32 exec_lo, exec_lo, s17
	s_and_saveexec_b32 s17, s5
	s_cbranch_execz .LBB106_59
.LBB106_75:                             ;   in Loop: Header=BB106_53 Depth=1
	ds_load_b32 v8, v9 offset:16424
	s_waitcnt lgkmcnt(0)
	v_add_nc_u32_e32 v10, v10, v8
	s_or_b32 exec_lo, exec_lo, s17
	s_and_saveexec_b32 s17, s6
	s_cbranch_execz .LBB106_60
.LBB106_76:                             ;   in Loop: Header=BB106_53 Depth=1
	ds_load_b32 v8, v9 offset:16432
	s_waitcnt lgkmcnt(0)
	v_add_nc_u32_e32 v10, v10, v8
	s_or_b32 exec_lo, exec_lo, s17
	s_and_saveexec_b32 s17, s7
	s_cbranch_execz .LBB106_61
.LBB106_77:                             ;   in Loop: Header=BB106_53 Depth=1
	ds_load_b32 v8, v9 offset:16440
	s_waitcnt lgkmcnt(0)
	v_add_nc_u32_e32 v10, v10, v8
	s_or_b32 exec_lo, exec_lo, s17
	s_and_saveexec_b32 s17, s8
	s_cbranch_execz .LBB106_62
.LBB106_78:                             ;   in Loop: Header=BB106_53 Depth=1
	ds_load_b32 v8, v9 offset:16448
	s_waitcnt lgkmcnt(0)
	v_add_nc_u32_e32 v10, v10, v8
	s_or_b32 exec_lo, exec_lo, s17
	s_and_saveexec_b32 s17, s9
	s_cbranch_execz .LBB106_63
.LBB106_79:                             ;   in Loop: Header=BB106_53 Depth=1
	ds_load_b32 v8, v9 offset:16456
	s_waitcnt lgkmcnt(0)
	v_add_nc_u32_e32 v10, v10, v8
	s_or_b32 exec_lo, exec_lo, s17
	s_and_saveexec_b32 s17, s10
	s_cbranch_execz .LBB106_64
.LBB106_80:                             ;   in Loop: Header=BB106_53 Depth=1
	ds_load_b32 v8, v9 offset:16464
	s_waitcnt lgkmcnt(0)
	v_add_nc_u32_e32 v10, v10, v8
	s_or_b32 exec_lo, exec_lo, s17
	s_and_saveexec_b32 s17, s11
	s_cbranch_execz .LBB106_65
.LBB106_81:                             ;   in Loop: Header=BB106_53 Depth=1
	ds_load_b32 v8, v9 offset:16472
	s_waitcnt lgkmcnt(0)
	v_add_nc_u32_e32 v10, v10, v8
	s_or_b32 exec_lo, exec_lo, s17
	s_and_saveexec_b32 s17, s12
	s_cbranch_execz .LBB106_66
.LBB106_82:                             ;   in Loop: Header=BB106_53 Depth=1
	ds_load_b32 v8, v9 offset:16480
	s_waitcnt lgkmcnt(0)
	v_add_nc_u32_e32 v10, v10, v8
	s_or_b32 exec_lo, exec_lo, s17
	s_and_saveexec_b32 s17, s13
	s_cbranch_execz .LBB106_67
.LBB106_83:                             ;   in Loop: Header=BB106_53 Depth=1
	ds_load_b32 v8, v9 offset:16488
	s_waitcnt lgkmcnt(0)
	v_add_nc_u32_e32 v10, v10, v8
	s_or_b32 exec_lo, exec_lo, s17
	s_and_saveexec_b32 s17, s14
	s_cbranch_execz .LBB106_68
.LBB106_84:                             ;   in Loop: Header=BB106_53 Depth=1
	ds_load_b32 v8, v9 offset:16496
	s_waitcnt lgkmcnt(0)
	v_add_nc_u32_e32 v10, v10, v8
	s_or_b32 exec_lo, exec_lo, s17
	s_delay_alu instid0(VALU_DEP_1)
	v_ashrrev_i32_e32 v11, 31, v10
	s_and_saveexec_b32 s17, s15
	s_cbranch_execz .LBB106_69
.LBB106_85:                             ;   in Loop: Header=BB106_53 Depth=1
	v_add3_u32 v8, v6, -1, v10
	s_delay_alu instid0(VALU_DEP_1)
	v_lshl_add_u32 v8, v8, 3, 0
	ds_store_2addr_stride64_b64 v8, v[1:2], v[3:4] offset1:16
	s_or_b32 exec_lo, exec_lo, s17
	s_and_saveexec_b32 s15, vcc_lo
	s_cbranch_execz .LBB106_52
.LBB106_86:                             ;   in Loop: Header=BB106_53 Depth=1
	ds_store_b64 v9, v[10:11] offset:16504
	s_branch .LBB106_52
.LBB106_87:
	s_or_b32 exec_lo, exec_lo, s16
	s_lshl_b64 s[0:1], s[28:29], 3
	v_mov_b32_e32 v1, 0
	s_add_u32 s0, s18, s0
	s_addc_u32 s1, s19, s1
	s_mov_b32 s6, exec_lo
	s_load_b128 s[0:3], s[0:1], 0x0
	s_waitcnt lgkmcnt(0)
	s_sub_u32 s4, s2, s0
	s_subb_u32 s5, s3, s1
	s_delay_alu instid0(SALU_CYCLE_1)
	v_cmpx_gt_i64_e64 s[4:5], v[0:1]
	s_cbranch_execz .LBB106_97
; %bb.88:
	s_sub_u32 s8, s0, s22
	s_subb_u32 s9, s1, 0
	s_and_b32 s6, s4, 7
	s_sub_u32 s0, s0, s2
	s_subb_u32 s1, s1, s3
	s_mov_b32 s7, 0
	v_cmp_lt_u64_e64 s12, s[0:1], -7
	s_and_b32 s2, s4, -8
	s_cmp_lg_u64 s[6:7], 0
	s_mov_b32 s3, s5
	s_cselect_b32 s13, -1, 0
	s_mov_b32 s14, s7
	s_branch .LBB106_90
.LBB106_89:                             ;   in Loop: Header=BB106_90 Depth=1
	v_add_co_u32 v0, vcc_lo, 0x200, v0
	v_add_co_ci_u32_e32 v1, vcc_lo, 0, v1, vcc_lo
	s_waitcnt lgkmcnt(0)
	v_lshlrev_b64 v[2:3], 3, v[6:7]
	s_delay_alu instid0(VALU_DEP_2) | instskip(NEXT) | instid1(VALU_DEP_2)
	v_cmp_le_i64_e32 vcc_lo, s[4:5], v[0:1]
	v_add_co_u32 v2, s0, s34, v2
	s_delay_alu instid0(VALU_DEP_1)
	v_add_co_ci_u32_e64 v3, s0, s35, v3, s0
	s_or_b32 s14, vcc_lo, s14
	global_store_b64 v[2:3], v[4:5], off
	s_and_not1_b32 exec_lo, exec_lo, s14
	s_cbranch_execz .LBB106_97
.LBB106_90:                             ; =>This Loop Header: Depth=1
                                        ;     Child Loop BB106_92 Depth 2
                                        ;     Child Loop BB106_96 Depth 2
	v_lshl_add_u32 v2, v0, 3, 0
	v_dual_mov_b32 v6, s8 :: v_dual_mov_b32 v7, s9
	s_and_not1_b32 vcc_lo, exec_lo, s12
	s_mov_b64 s[0:1], 0
	ds_load_2addr_stride64_b64 v[2:5], v2 offset1:16
	s_cbranch_vccnz .LBB106_94
; %bb.91:                               ;   in Loop: Header=BB106_90 Depth=1
	v_dual_mov_b32 v6, s8 :: v_dual_mov_b32 v7, s9
	s_mov_b64 s[10:11], 0
	s_mov_b32 s1, 0
.LBB106_92:                             ;   Parent Loop BB106_90 Depth=1
                                        ; =>  This Inner Loop Header: Depth=2
	s_delay_alu instid0(SALU_CYCLE_1)
	v_mov_b32_e32 v20, s1
	s_add_u32 s10, s10, 8
	s_addc_u32 s11, s11, 0
	s_add_i32 s1, s1, 64
	s_cmp_eq_u64 s[2:3], s[10:11]
	ds_load_2addr_b64 v[8:11], v20 offset1:1
	ds_load_2addr_b64 v[12:15], v20 offset0:2 offset1:3
	ds_load_2addr_b64 v[16:19], v20 offset0:4 offset1:5
	;; [unrolled: 1-line block ×3, first 2 shown]
	s_waitcnt lgkmcnt(3)
	v_cmp_gt_i64_e32 vcc_lo, v[2:3], v[8:9]
	v_cndmask_b32_e64 v8, 0, 1, vcc_lo
	v_cmp_gt_i64_e32 vcc_lo, v[2:3], v[10:11]
	v_cndmask_b32_e64 v9, 0, 1, vcc_lo
	s_waitcnt lgkmcnt(2)
	v_cmp_gt_i64_e32 vcc_lo, v[2:3], v[12:13]
	v_cndmask_b32_e64 v10, 0, 1, vcc_lo
	v_cmp_gt_i64_e32 vcc_lo, v[2:3], v[14:15]
	v_cndmask_b32_e64 v11, 0, 1, vcc_lo
	s_waitcnt lgkmcnt(1)
	v_cmp_gt_i64_e32 vcc_lo, v[2:3], v[16:17]
	v_cndmask_b32_e64 v12, 0, 1, vcc_lo
	v_add_co_u32 v6, vcc_lo, v6, v8
	v_add_co_ci_u32_e32 v7, vcc_lo, 0, v7, vcc_lo
	v_cmp_gt_i64_e32 vcc_lo, v[2:3], v[18:19]
	s_delay_alu instid0(VALU_DEP_3) | instskip(NEXT) | instid1(VALU_DEP_1)
	v_add_co_u32 v6, s0, v6, v9
	v_add_co_ci_u32_e64 v7, s0, 0, v7, s0
	v_cndmask_b32_e64 v8, 0, 1, vcc_lo
	s_delay_alu instid0(VALU_DEP_3) | instskip(NEXT) | instid1(VALU_DEP_3)
	v_add_co_u32 v6, vcc_lo, v6, v10
	v_add_co_ci_u32_e32 v7, vcc_lo, 0, v7, vcc_lo
	s_waitcnt lgkmcnt(0)
	v_cmp_gt_i64_e32 vcc_lo, v[2:3], v[20:21]
	s_delay_alu instid0(VALU_DEP_3) | instskip(NEXT) | instid1(VALU_DEP_1)
	v_add_co_u32 v6, s0, v6, v11
	v_add_co_ci_u32_e64 v7, s0, 0, v7, s0
	v_cndmask_b32_e64 v9, 0, 1, vcc_lo
	s_delay_alu instid0(VALU_DEP_3) | instskip(NEXT) | instid1(VALU_DEP_3)
	v_add_co_u32 v6, vcc_lo, v6, v12
	v_add_co_ci_u32_e32 v7, vcc_lo, 0, v7, vcc_lo
	v_cmp_gt_i64_e32 vcc_lo, v[2:3], v[22:23]
	s_delay_alu instid0(VALU_DEP_3) | instskip(NEXT) | instid1(VALU_DEP_1)
	v_add_co_u32 v6, s0, v6, v8
	v_add_co_ci_u32_e64 v7, s0, 0, v7, s0
	v_cndmask_b32_e64 v8, 0, 1, vcc_lo
	s_delay_alu instid0(VALU_DEP_3) | instskip(NEXT) | instid1(VALU_DEP_3)
	v_add_co_u32 v6, vcc_lo, v6, v9
	v_add_co_ci_u32_e32 v7, vcc_lo, 0, v7, vcc_lo
	s_delay_alu instid0(VALU_DEP_2) | instskip(NEXT) | instid1(VALU_DEP_2)
	v_add_co_u32 v6, vcc_lo, v6, v8
	v_add_co_ci_u32_e32 v7, vcc_lo, 0, v7, vcc_lo
	s_cbranch_scc0 .LBB106_92
; %bb.93:                               ;   in Loop: Header=BB106_90 Depth=1
	s_mov_b64 s[0:1], s[2:3]
.LBB106_94:                             ;   in Loop: Header=BB106_90 Depth=1
	s_and_not1_b32 vcc_lo, exec_lo, s13
	s_cbranch_vccnz .LBB106_89
; %bb.95:                               ;   in Loop: Header=BB106_90 Depth=1
	s_lshl_b32 s0, s0, 3
	s_delay_alu instid0(SALU_CYCLE_1)
	s_add_i32 s10, s0, 0
	s_mov_b64 s[0:1], s[6:7]
.LBB106_96:                             ;   Parent Loop BB106_90 Depth=1
                                        ; =>  This Inner Loop Header: Depth=2
	v_mov_b32_e32 v8, s10
	s_add_i32 s10, s10, 8
	s_add_u32 s0, s0, -1
	s_addc_u32 s1, s1, -1
	s_delay_alu instid0(SALU_CYCLE_1) | instskip(SKIP_4) | instid1(VALU_DEP_1)
	s_cmp_lg_u64 s[0:1], 0
	ds_load_b64 v[8:9], v8
	s_waitcnt lgkmcnt(0)
	v_cmp_gt_i64_e32 vcc_lo, v[2:3], v[8:9]
	v_cndmask_b32_e64 v8, 0, 1, vcc_lo
	v_add_co_u32 v6, vcc_lo, v6, v8
	v_add_co_ci_u32_e32 v7, vcc_lo, 0, v7, vcc_lo
	s_cbranch_scc1 .LBB106_96
	s_branch .LBB106_89
.LBB106_97:
	s_nop 0
	s_sendmsg sendmsg(MSG_DEALLOC_VGPRS)
	s_endpgm
	.section	.rodata,"a",@progbits
	.p2align	6, 0x0
	.amdhsa_kernel _ZN9rocsparseL41csrgemm_numeric_fill_block_per_row_kernelILj512ELj32ELj1024ELj137ELj32ElldEEvT5_PKS1_S3_NS_24const_host_device_scalarIT6_EEPKT4_S3_PKS5_S9_S3_SB_S6_S9_S3_SB_S9_S3_PS5_21rocsparse_index_base_SD_SD_SD_bbb
		.amdhsa_group_segment_fixed_size 0
		.amdhsa_private_segment_fixed_size 0
		.amdhsa_kernarg_size 156
		.amdhsa_user_sgpr_count 15
		.amdhsa_user_sgpr_dispatch_ptr 0
		.amdhsa_user_sgpr_queue_ptr 0
		.amdhsa_user_sgpr_kernarg_segment_ptr 1
		.amdhsa_user_sgpr_dispatch_id 0
		.amdhsa_user_sgpr_private_segment_size 0
		.amdhsa_wavefront_size32 1
		.amdhsa_uses_dynamic_stack 0
		.amdhsa_enable_private_segment 0
		.amdhsa_system_sgpr_workgroup_id_x 1
		.amdhsa_system_sgpr_workgroup_id_y 0
		.amdhsa_system_sgpr_workgroup_id_z 0
		.amdhsa_system_sgpr_workgroup_info 0
		.amdhsa_system_vgpr_workitem_id 0
		.amdhsa_next_free_vgpr 28
		.amdhsa_next_free_sgpr 42
		.amdhsa_reserve_vcc 1
		.amdhsa_float_round_mode_32 0
		.amdhsa_float_round_mode_16_64 0
		.amdhsa_float_denorm_mode_32 3
		.amdhsa_float_denorm_mode_16_64 3
		.amdhsa_dx10_clamp 1
		.amdhsa_ieee_mode 1
		.amdhsa_fp16_overflow 0
		.amdhsa_workgroup_processor_mode 1
		.amdhsa_memory_ordered 1
		.amdhsa_forward_progress 0
		.amdhsa_shared_vgpr_count 0
		.amdhsa_exception_fp_ieee_invalid_op 0
		.amdhsa_exception_fp_denorm_src 0
		.amdhsa_exception_fp_ieee_div_zero 0
		.amdhsa_exception_fp_ieee_overflow 0
		.amdhsa_exception_fp_ieee_underflow 0
		.amdhsa_exception_fp_ieee_inexact 0
		.amdhsa_exception_int_div_zero 0
	.end_amdhsa_kernel
	.section	.text._ZN9rocsparseL41csrgemm_numeric_fill_block_per_row_kernelILj512ELj32ELj1024ELj137ELj32ElldEEvT5_PKS1_S3_NS_24const_host_device_scalarIT6_EEPKT4_S3_PKS5_S9_S3_SB_S6_S9_S3_SB_S9_S3_PS5_21rocsparse_index_base_SD_SD_SD_bbb,"axG",@progbits,_ZN9rocsparseL41csrgemm_numeric_fill_block_per_row_kernelILj512ELj32ELj1024ELj137ELj32ElldEEvT5_PKS1_S3_NS_24const_host_device_scalarIT6_EEPKT4_S3_PKS5_S9_S3_SB_S6_S9_S3_SB_S9_S3_PS5_21rocsparse_index_base_SD_SD_SD_bbb,comdat
.Lfunc_end106:
	.size	_ZN9rocsparseL41csrgemm_numeric_fill_block_per_row_kernelILj512ELj32ELj1024ELj137ELj32ElldEEvT5_PKS1_S3_NS_24const_host_device_scalarIT6_EEPKT4_S3_PKS5_S9_S3_SB_S6_S9_S3_SB_S9_S3_PS5_21rocsparse_index_base_SD_SD_SD_bbb, .Lfunc_end106-_ZN9rocsparseL41csrgemm_numeric_fill_block_per_row_kernelILj512ELj32ELj1024ELj137ELj32ElldEEvT5_PKS1_S3_NS_24const_host_device_scalarIT6_EEPKT4_S3_PKS5_S9_S3_SB_S6_S9_S3_SB_S9_S3_PS5_21rocsparse_index_base_SD_SD_SD_bbb
                                        ; -- End function
	.section	.AMDGPU.csdata,"",@progbits
; Kernel info:
; codeLenInByte = 3672
; NumSgprs: 44
; NumVgprs: 28
; ScratchSize: 0
; MemoryBound: 0
; FloatMode: 240
; IeeeMode: 1
; LDSByteSize: 0 bytes/workgroup (compile time only)
; SGPRBlocks: 5
; VGPRBlocks: 3
; NumSGPRsForWavesPerEU: 44
; NumVGPRsForWavesPerEU: 28
; Occupancy: 16
; WaveLimiterHint : 1
; COMPUTE_PGM_RSRC2:SCRATCH_EN: 0
; COMPUTE_PGM_RSRC2:USER_SGPR: 15
; COMPUTE_PGM_RSRC2:TRAP_HANDLER: 0
; COMPUTE_PGM_RSRC2:TGID_X_EN: 1
; COMPUTE_PGM_RSRC2:TGID_Y_EN: 0
; COMPUTE_PGM_RSRC2:TGID_Z_EN: 0
; COMPUTE_PGM_RSRC2:TIDIG_COMP_CNT: 0
	.section	.text._ZN9rocsparseL41csrgemm_numeric_fill_block_per_row_kernelILj512ELj32ELj1024ELj137ELj64ElldEEvT5_PKS1_S3_NS_24const_host_device_scalarIT6_EEPKT4_S3_PKS5_S9_S3_SB_S6_S9_S3_SB_S9_S3_PS5_21rocsparse_index_base_SD_SD_SD_bbb,"axG",@progbits,_ZN9rocsparseL41csrgemm_numeric_fill_block_per_row_kernelILj512ELj32ELj1024ELj137ELj64ElldEEvT5_PKS1_S3_NS_24const_host_device_scalarIT6_EEPKT4_S3_PKS5_S9_S3_SB_S6_S9_S3_SB_S9_S3_PS5_21rocsparse_index_base_SD_SD_SD_bbb,comdat
	.globl	_ZN9rocsparseL41csrgemm_numeric_fill_block_per_row_kernelILj512ELj32ELj1024ELj137ELj64ElldEEvT5_PKS1_S3_NS_24const_host_device_scalarIT6_EEPKT4_S3_PKS5_S9_S3_SB_S6_S9_S3_SB_S9_S3_PS5_21rocsparse_index_base_SD_SD_SD_bbb ; -- Begin function _ZN9rocsparseL41csrgemm_numeric_fill_block_per_row_kernelILj512ELj32ELj1024ELj137ELj64ElldEEvT5_PKS1_S3_NS_24const_host_device_scalarIT6_EEPKT4_S3_PKS5_S9_S3_SB_S6_S9_S3_SB_S9_S3_PS5_21rocsparse_index_base_SD_SD_SD_bbb
	.p2align	8
	.type	_ZN9rocsparseL41csrgemm_numeric_fill_block_per_row_kernelILj512ELj32ELj1024ELj137ELj64ElldEEvT5_PKS1_S3_NS_24const_host_device_scalarIT6_EEPKT4_S3_PKS5_S9_S3_SB_S6_S9_S3_SB_S9_S3_PS5_21rocsparse_index_base_SD_SD_SD_bbb,@function
_ZN9rocsparseL41csrgemm_numeric_fill_block_per_row_kernelILj512ELj32ELj1024ELj137ELj64ElldEEvT5_PKS1_S3_NS_24const_host_device_scalarIT6_EEPKT4_S3_PKS5_S9_S3_SB_S6_S9_S3_SB_S9_S3_PS5_21rocsparse_index_base_SD_SD_SD_bbb: ; @_ZN9rocsparseL41csrgemm_numeric_fill_block_per_row_kernelILj512ELj32ELj1024ELj137ELj64ElldEEvT5_PKS1_S3_NS_24const_host_device_scalarIT6_EEPKT4_S3_PKS5_S9_S3_SB_S6_S9_S3_SB_S9_S3_PS5_21rocsparse_index_base_SD_SD_SD_bbb
; %bb.0:
	s_clause 0x3
	s_load_b32 s3, s[0:1], 0x98
	s_load_b64 s[4:5], s[0:1], 0x18
	s_load_b128 s[20:23], s[0:1], 0x88
	s_load_b64 s[36:37], s[0:1], 0x50
	s_mov_b32 s2, s15
	s_waitcnt lgkmcnt(0)
	s_and_b32 s6, 1, s3
	s_bitcmp1_b32 s3, 16
	s_cselect_b32 s39, -1, 0
	s_cmp_eq_u32 s6, 1
	s_cselect_b32 s38, -1, 0
	s_delay_alu instid0(SALU_CYCLE_1)
	s_and_b32 s6, s38, exec_lo
	s_cselect_b32 s7, s5, 0
	s_cselect_b32 s6, s4, 0
	s_xor_b32 s8, s38, -1
	v_dual_mov_b32 v3, s6 :: v_dual_mov_b32 v4, s7
	s_or_b32 s8, s8, s39
	s_delay_alu instid0(SALU_CYCLE_1)
	s_and_b32 vcc_lo, exec_lo, s8
	s_cbranch_vccnz .LBB107_2
; %bb.1:
	v_dual_mov_b32 v1, s4 :: v_dual_mov_b32 v2, s5
	flat_load_b64 v[3:4], v[1:2]
.LBB107_2:
	s_clause 0x4
	s_load_b64 s[34:35], s[0:1], 0x80
	s_load_b256 s[4:11], s[0:1], 0x58
	s_load_b128 s[24:27], s[0:1], 0x40
	s_load_b128 s[28:31], s[0:1], 0x8
	s_load_b256 s[12:19], s[0:1], 0x20
	s_bitcmp1_b32 s3, 8
	s_cselect_b32 s33, -1, 0
	s_delay_alu instid0(SALU_CYCLE_1)
	s_and_b32 s3, s33, exec_lo
	s_cselect_b32 s41, s37, 0
	s_cselect_b32 s40, s36, 0
	s_xor_b32 s3, s33, -1
	v_dual_mov_b32 v1, s40 :: v_dual_mov_b32 v2, s41
	s_or_b32 s3, s3, s39
	s_delay_alu instid0(SALU_CYCLE_1)
	s_and_b32 vcc_lo, exec_lo, s3
	s_cbranch_vccnz .LBB107_4
; %bb.3:
	v_dual_mov_b32 v1, s36 :: v_dual_mov_b32 v2, s37
	flat_load_b64 v[1:2], v[1:2]
.LBB107_4:
	s_load_b64 s[36:37], s[0:1], 0x0
	v_mov_b32_e32 v5, 0
	v_lshl_add_u32 v19, v0, 3, 0
	v_or_b32_e32 v20, 0xfffffe00, v0
	s_mov_b32 s0, 0
	s_delay_alu instid0(VALU_DEP_1)
	v_dual_mov_b32 v9, v19 :: v_dual_mov_b32 v10, v20
	s_waitcnt lgkmcnt(0)
	v_dual_mov_b32 v7, s36 :: v_dual_mov_b32 v8, s37
	v_mov_b32_e32 v6, v5
.LBB107_5:                              ; =>This Inner Loop Header: Depth=1
	s_delay_alu instid0(VALU_DEP_3) | instskip(NEXT) | instid1(VALU_DEP_1)
	v_add_co_u32 v10, s1, 0x200, v10
	s_xor_b32 s1, s1, -1
	ds_store_2addr_stride64_b64 v9, v[7:8], v[5:6] offset1:16
	v_add_nc_u32_e32 v9, 0x1000, v9
	s_and_b32 s1, exec_lo, s1
	s_delay_alu instid0(SALU_CYCLE_1) | instskip(NEXT) | instid1(SALU_CYCLE_1)
	s_or_b32 s0, s1, s0
	s_and_not1_b32 exec_lo, exec_lo, s0
	s_cbranch_execnz .LBB107_5
; %bb.6:
	s_or_b32 exec_lo, exec_lo, s0
	s_waitcnt vmcnt(0) lgkmcnt(0)
	s_barrier
	buffer_gl0_inv
	s_load_b64 s[0:1], s[28:29], 0x0
	s_mov_b32 s3, 0
	s_waitcnt lgkmcnt(0)
	s_lshl_b64 s[0:1], s[0:1], 3
	s_delay_alu instid0(SALU_CYCLE_1) | instskip(SKIP_2) | instid1(SALU_CYCLE_1)
	s_add_u32 s28, s30, s0
	s_addc_u32 s29, s31, s1
	s_lshl_b64 s[0:1], s[2:3], 3
	s_add_u32 s0, s28, s0
	s_addc_u32 s1, s29, s1
	s_and_b32 vcc_lo, exec_lo, s38
	s_load_b64 s[28:29], s[0:1], 0x0
	s_cbranch_vccz .LBB107_30
; %bb.7:
	s_waitcnt lgkmcnt(0)
	s_lshl_b64 s[0:1], s[28:29], 3
	v_lshrrev_b32_e32 v5, 5, v0
	s_add_u32 s0, s12, s0
	s_addc_u32 s1, s13, s1
	s_load_b128 s[0:3], s[0:1], 0x0
	s_delay_alu instid0(VALU_DEP_1) | instskip(NEXT) | instid1(VALU_DEP_1)
	v_sub_co_u32 v5, s12, v5, s20
	v_sub_co_ci_u32_e64 v6, null, 0, 0, s12
	s_waitcnt lgkmcnt(0)
	s_delay_alu instid0(VALU_DEP_2) | instskip(NEXT) | instid1(VALU_DEP_2)
	v_add_co_u32 v5, vcc_lo, s0, v5
	v_add_co_ci_u32_e32 v6, vcc_lo, s1, v6, vcc_lo
	s_sub_u32 s0, s2, s20
	s_subb_u32 s1, s3, 0
	s_mov_b32 s2, exec_lo
	s_delay_alu instid0(VALU_DEP_1)
	v_cmpx_gt_i64_e64 s[0:1], v[5:6]
	s_cbranch_execz .LBB107_29
; %bb.8:
	v_and_b32_e32 v7, 31, v0
	s_mov_b32 s12, s21
	s_delay_alu instid0(VALU_DEP_1) | instskip(NEXT) | instid1(VALU_DEP_1)
	v_sub_co_u32 v21, s3, v7, s21
	v_sub_co_ci_u32_e64 v22, null, 0, 0, s3
	s_mov_b32 s3, 0
	s_branch .LBB107_10
.LBB107_9:                              ;   in Loop: Header=BB107_10 Depth=1
	s_or_b32 exec_lo, exec_lo, s13
	v_add_co_u32 v5, vcc_lo, v5, 16
	v_add_co_ci_u32_e32 v6, vcc_lo, 0, v6, vcc_lo
	s_delay_alu instid0(VALU_DEP_1) | instskip(SKIP_1) | instid1(SALU_CYCLE_1)
	v_cmp_le_i64_e32 vcc_lo, s[0:1], v[5:6]
	s_or_b32 s3, vcc_lo, s3
	s_and_not1_b32 exec_lo, exec_lo, s3
	s_cbranch_execz .LBB107_29
.LBB107_10:                             ; =>This Loop Header: Depth=1
                                        ;     Child Loop BB107_13 Depth 2
                                        ;       Child Loop BB107_15 Depth 3
                                        ;         Child Loop BB107_21 Depth 4
                                        ;         Child Loop BB107_27 Depth 4
	v_lshlrev_b64 v[11:12], 3, v[5:6]
	s_mov_b32 s13, exec_lo
	s_delay_alu instid0(VALU_DEP_1) | instskip(NEXT) | instid1(VALU_DEP_2)
	v_add_co_u32 v7, vcc_lo, s14, v11
	v_add_co_ci_u32_e32 v8, vcc_lo, s15, v12, vcc_lo
	global_load_b64 v[7:8], v[7:8], off
	s_waitcnt vmcnt(0)
	v_sub_co_u32 v7, vcc_lo, v7, s20
	v_subrev_co_ci_u32_e32 v8, vcc_lo, 0, v8, vcc_lo
	s_delay_alu instid0(VALU_DEP_1) | instskip(NEXT) | instid1(VALU_DEP_1)
	v_lshlrev_b64 v[7:8], 3, v[7:8]
	v_add_co_u32 v7, vcc_lo, s18, v7
	s_delay_alu instid0(VALU_DEP_2)
	v_add_co_ci_u32_e32 v8, vcc_lo, s19, v8, vcc_lo
	global_load_b128 v[13:16], v[7:8], off
	s_waitcnt vmcnt(0)
	v_sub_co_u32 v7, vcc_lo, v15, s12
	v_subrev_co_ci_u32_e32 v8, vcc_lo, 0, v16, vcc_lo
	v_add_co_u32 v9, vcc_lo, v13, v21
	v_add_co_ci_u32_e32 v10, vcc_lo, v14, v22, vcc_lo
	s_delay_alu instid0(VALU_DEP_1)
	v_cmpx_lt_i64_e64 v[9:10], v[7:8]
	s_cbranch_execz .LBB107_9
; %bb.11:                               ;   in Loop: Header=BB107_10 Depth=1
	v_add_co_u32 v11, vcc_lo, s16, v11
	v_add_co_ci_u32_e32 v12, vcc_lo, s17, v12, vcc_lo
	s_mov_b32 s21, 0
	global_load_b64 v[11:12], v[11:12], off
	s_waitcnt vmcnt(0)
	v_mul_f64 v[11:12], v[3:4], v[11:12]
	s_branch .LBB107_13
.LBB107_12:                             ;   in Loop: Header=BB107_13 Depth=2
	s_or_b32 exec_lo, exec_lo, s30
	v_add_co_u32 v9, vcc_lo, v9, 32
	v_add_co_ci_u32_e32 v10, vcc_lo, 0, v10, vcc_lo
	s_delay_alu instid0(VALU_DEP_1) | instskip(SKIP_1) | instid1(SALU_CYCLE_1)
	v_cmp_ge_i64_e32 vcc_lo, v[9:10], v[7:8]
	s_or_b32 s21, vcc_lo, s21
	s_and_not1_b32 exec_lo, exec_lo, s21
	s_cbranch_execz .LBB107_9
.LBB107_13:                             ;   Parent Loop BB107_10 Depth=1
                                        ; =>  This Loop Header: Depth=2
                                        ;       Child Loop BB107_15 Depth 3
                                        ;         Child Loop BB107_21 Depth 4
                                        ;         Child Loop BB107_27 Depth 4
	v_lshlrev_b64 v[13:14], 3, v[9:10]
	s_mov_b32 s30, 0
	s_delay_alu instid0(VALU_DEP_1) | instskip(NEXT) | instid1(VALU_DEP_2)
	v_add_co_u32 v15, vcc_lo, s26, v13
	v_add_co_ci_u32_e32 v16, vcc_lo, s27, v14, vcc_lo
	v_add_co_u32 v13, vcc_lo, s24, v13
	v_add_co_ci_u32_e32 v14, vcc_lo, s25, v14, vcc_lo
	global_load_b64 v[15:16], v[15:16], off
	global_load_b64 v[17:18], v[13:14], off
	s_waitcnt vmcnt(1)
	v_mul_f64 v[13:14], v[11:12], v[15:16]
	s_waitcnt vmcnt(0)
	v_sub_co_u32 v15, vcc_lo, v17, s12
	v_subrev_co_ci_u32_e32 v16, vcc_lo, 0, v18, vcc_lo
	s_delay_alu instid0(VALU_DEP_2) | instskip(NEXT) | instid1(VALU_DEP_1)
	v_mul_lo_u32 v17, 0x89, v15
	v_and_b32_e32 v23, 0x3ff, v17
	s_branch .LBB107_15
.LBB107_14:                             ;   in Loop: Header=BB107_15 Depth=3
	s_or_b32 exec_lo, exec_lo, s31
	s_xor_b32 s31, s38, -1
	s_delay_alu instid0(SALU_CYCLE_1) | instskip(NEXT) | instid1(SALU_CYCLE_1)
	s_and_b32 s31, exec_lo, s31
	s_or_b32 s30, s31, s30
	s_delay_alu instid0(SALU_CYCLE_1)
	s_and_not1_b32 exec_lo, exec_lo, s30
	s_cbranch_execz .LBB107_12
.LBB107_15:                             ;   Parent Loop BB107_10 Depth=1
                                        ;     Parent Loop BB107_13 Depth=2
                                        ; =>    This Loop Header: Depth=3
                                        ;         Child Loop BB107_21 Depth 4
                                        ;         Child Loop BB107_27 Depth 4
	s_delay_alu instid0(VALU_DEP_1)
	v_lshl_add_u32 v24, v23, 3, 0
	s_mov_b32 s31, exec_lo
                                        ; implicit-def: $sgpr38
	ds_load_b64 v[17:18], v24
	s_waitcnt lgkmcnt(0)
	v_cmpx_ne_u64_e64 v[17:18], v[15:16]
	s_xor_b32 s31, exec_lo, s31
	s_cbranch_execz .LBB107_25
; %bb.16:                               ;   in Loop: Header=BB107_15 Depth=3
	s_mov_b32 s39, exec_lo
                                        ; implicit-def: $sgpr38
	v_cmpx_ne_u64_e64 s[36:37], v[17:18]
	s_xor_b32 s39, exec_lo, s39
; %bb.17:                               ;   in Loop: Header=BB107_15 Depth=3
	v_add_nc_u32_e32 v17, 1, v23
	s_mov_b32 s38, -1
                                        ; implicit-def: $vgpr24
	s_delay_alu instid0(VALU_DEP_1)
	v_and_b32_e32 v23, 0x3ff, v17
; %bb.18:                               ;   in Loop: Header=BB107_15 Depth=3
	s_and_not1_saveexec_b32 s39, s39
	s_cbranch_execz .LBB107_24
; %bb.19:                               ;   in Loop: Header=BB107_15 Depth=3
	v_dual_mov_b32 v17, s36 :: v_dual_mov_b32 v18, s37
	s_mov_b32 s41, -1
	s_mov_b32 s40, exec_lo
	ds_cmpstore_rtn_b64 v[17:18], v24, v[15:16], v[17:18]
	s_waitcnt lgkmcnt(0)
	v_cmpx_eq_u64_e64 s[36:37], v[17:18]
	s_cbranch_execz .LBB107_23
; %bb.20:                               ;   in Loop: Header=BB107_15 Depth=3
	ds_load_b64 v[17:18], v24 offset:8192
	s_mov_b32 s41, 0
.LBB107_21:                             ;   Parent Loop BB107_10 Depth=1
                                        ;     Parent Loop BB107_13 Depth=2
                                        ;       Parent Loop BB107_15 Depth=3
                                        ; =>      This Inner Loop Header: Depth=4
	s_waitcnt lgkmcnt(0)
	v_add_f64 v[25:26], v[17:18], v[13:14]
	ds_cmpstore_rtn_b64 v[25:26], v24, v[25:26], v[17:18] offset:8192
	s_waitcnt lgkmcnt(0)
	v_cmp_eq_u64_e32 vcc_lo, v[25:26], v[17:18]
	v_dual_mov_b32 v17, v25 :: v_dual_mov_b32 v18, v26
	s_or_b32 s41, vcc_lo, s41
	s_delay_alu instid0(SALU_CYCLE_1)
	s_and_not1_b32 exec_lo, exec_lo, s41
	s_cbranch_execnz .LBB107_21
; %bb.22:                               ;   in Loop: Header=BB107_15 Depth=3
	s_or_b32 exec_lo, exec_lo, s41
	s_delay_alu instid0(SALU_CYCLE_1)
	s_xor_b32 s41, exec_lo, -1
.LBB107_23:                             ;   in Loop: Header=BB107_15 Depth=3
	s_or_b32 exec_lo, exec_lo, s40
	s_delay_alu instid0(SALU_CYCLE_1) | instskip(SKIP_1) | instid1(SALU_CYCLE_1)
	s_and_not1_b32 s38, s38, exec_lo
	s_and_b32 s40, s41, exec_lo
	s_or_b32 s38, s38, s40
.LBB107_24:                             ;   in Loop: Header=BB107_15 Depth=3
	s_or_b32 exec_lo, exec_lo, s39
	s_delay_alu instid0(SALU_CYCLE_1)
	s_and_b32 s38, s38, exec_lo
                                        ; implicit-def: $vgpr24
.LBB107_25:                             ;   in Loop: Header=BB107_15 Depth=3
	s_and_not1_saveexec_b32 s31, s31
	s_cbranch_execz .LBB107_14
; %bb.26:                               ;   in Loop: Header=BB107_15 Depth=3
	ds_load_b64 v[17:18], v24 offset:8192
	s_mov_b32 s39, 0
.LBB107_27:                             ;   Parent Loop BB107_10 Depth=1
                                        ;     Parent Loop BB107_13 Depth=2
                                        ;       Parent Loop BB107_15 Depth=3
                                        ; =>      This Inner Loop Header: Depth=4
	s_waitcnt lgkmcnt(0)
	v_add_f64 v[25:26], v[17:18], v[13:14]
	ds_cmpstore_rtn_b64 v[25:26], v24, v[25:26], v[17:18] offset:8192
	s_waitcnt lgkmcnt(0)
	v_cmp_eq_u64_e32 vcc_lo, v[25:26], v[17:18]
	v_dual_mov_b32 v17, v25 :: v_dual_mov_b32 v18, v26
	s_or_b32 s39, vcc_lo, s39
	s_delay_alu instid0(SALU_CYCLE_1)
	s_and_not1_b32 exec_lo, exec_lo, s39
	s_cbranch_execnz .LBB107_27
; %bb.28:                               ;   in Loop: Header=BB107_15 Depth=3
	s_or_b32 exec_lo, exec_lo, s39
	s_delay_alu instid0(SALU_CYCLE_1)
	s_and_not1_b32 s38, s38, exec_lo
	s_branch .LBB107_14
.LBB107_29:
	s_or_b32 exec_lo, exec_lo, s2
.LBB107_30:
	s_delay_alu instid0(SALU_CYCLE_1)
	s_and_not1_b32 vcc_lo, exec_lo, s33
	s_cbranch_vccnz .LBB107_51
; %bb.31:
	s_waitcnt lgkmcnt(0)
	s_lshl_b64 s[0:1], s[28:29], 3
	s_delay_alu instid0(SALU_CYCLE_1)
	s_add_u32 s0, s4, s0
	s_addc_u32 s1, s5, s1
	v_sub_co_u32 v3, s4, v0, s23
	s_load_b128 s[0:3], s[0:1], 0x0
	v_sub_co_ci_u32_e64 v4, null, 0, 0, s4
	s_waitcnt lgkmcnt(0)
	s_delay_alu instid0(VALU_DEP_2) | instskip(NEXT) | instid1(VALU_DEP_2)
	v_add_co_u32 v3, vcc_lo, s0, v3
	v_add_co_ci_u32_e32 v4, vcc_lo, s1, v4, vcc_lo
	s_sub_u32 s0, s2, s23
	s_subb_u32 s1, s3, 0
	s_mov_b32 s2, 0
	s_mov_b32 s3, exec_lo
	v_cmpx_gt_i64_e64 s[0:1], v[3:4]
	s_cbranch_execz .LBB107_50
; %bb.32:
	s_mov_b32 s4, s23
	s_branch .LBB107_34
.LBB107_33:                             ;   in Loop: Header=BB107_34 Depth=1
	s_or_b32 exec_lo, exec_lo, s5
	v_add_co_u32 v3, vcc_lo, 0x200, v3
	v_add_co_ci_u32_e32 v4, vcc_lo, 0, v4, vcc_lo
	s_delay_alu instid0(VALU_DEP_1) | instskip(SKIP_1) | instid1(SALU_CYCLE_1)
	v_cmp_le_i64_e32 vcc_lo, s[0:1], v[3:4]
	s_or_b32 s2, vcc_lo, s2
	s_and_not1_b32 exec_lo, exec_lo, s2
	s_cbranch_execz .LBB107_50
.LBB107_34:                             ; =>This Loop Header: Depth=1
                                        ;     Child Loop BB107_36 Depth 2
                                        ;       Child Loop BB107_42 Depth 3
                                        ;       Child Loop BB107_48 Depth 3
	v_lshlrev_b64 v[5:6], 3, v[3:4]
	s_mov_b32 s5, 0
	s_delay_alu instid0(VALU_DEP_1) | instskip(NEXT) | instid1(VALU_DEP_2)
	v_add_co_u32 v7, vcc_lo, s8, v5
	v_add_co_ci_u32_e32 v8, vcc_lo, s9, v6, vcc_lo
	v_add_co_u32 v5, vcc_lo, s6, v5
	v_add_co_ci_u32_e32 v6, vcc_lo, s7, v6, vcc_lo
	global_load_b64 v[7:8], v[7:8], off
	global_load_b64 v[9:10], v[5:6], off
	s_waitcnt vmcnt(1)
	v_mul_f64 v[5:6], v[1:2], v[7:8]
	s_waitcnt vmcnt(0)
	v_sub_co_u32 v7, vcc_lo, v9, s4
	v_subrev_co_ci_u32_e32 v8, vcc_lo, 0, v10, vcc_lo
	s_delay_alu instid0(VALU_DEP_2) | instskip(NEXT) | instid1(VALU_DEP_1)
	v_mul_lo_u32 v9, 0x89, v7
	v_and_b32_e32 v11, 0x3ff, v9
	s_branch .LBB107_36
.LBB107_35:                             ;   in Loop: Header=BB107_36 Depth=2
	s_or_b32 exec_lo, exec_lo, s12
	s_xor_b32 s12, s13, -1
	s_delay_alu instid0(SALU_CYCLE_1) | instskip(NEXT) | instid1(SALU_CYCLE_1)
	s_and_b32 s12, exec_lo, s12
	s_or_b32 s5, s12, s5
	s_delay_alu instid0(SALU_CYCLE_1)
	s_and_not1_b32 exec_lo, exec_lo, s5
	s_cbranch_execz .LBB107_33
.LBB107_36:                             ;   Parent Loop BB107_34 Depth=1
                                        ; =>  This Loop Header: Depth=2
                                        ;       Child Loop BB107_42 Depth 3
                                        ;       Child Loop BB107_48 Depth 3
	s_delay_alu instid0(VALU_DEP_1)
	v_lshl_add_u32 v12, v11, 3, 0
	s_mov_b32 s12, exec_lo
                                        ; implicit-def: $sgpr13
	ds_load_b64 v[9:10], v12
	s_waitcnt lgkmcnt(0)
	v_cmpx_ne_u64_e64 v[9:10], v[7:8]
	s_xor_b32 s12, exec_lo, s12
	s_cbranch_execz .LBB107_46
; %bb.37:                               ;   in Loop: Header=BB107_36 Depth=2
	s_mov_b32 s14, exec_lo
                                        ; implicit-def: $sgpr13
	v_cmpx_ne_u64_e64 s[36:37], v[9:10]
	s_xor_b32 s14, exec_lo, s14
; %bb.38:                               ;   in Loop: Header=BB107_36 Depth=2
	v_add_nc_u32_e32 v9, 1, v11
	s_mov_b32 s13, -1
                                        ; implicit-def: $vgpr12
	s_delay_alu instid0(VALU_DEP_1)
	v_and_b32_e32 v11, 0x3ff, v9
; %bb.39:                               ;   in Loop: Header=BB107_36 Depth=2
	s_and_not1_saveexec_b32 s14, s14
	s_cbranch_execz .LBB107_45
; %bb.40:                               ;   in Loop: Header=BB107_36 Depth=2
	v_dual_mov_b32 v9, s36 :: v_dual_mov_b32 v10, s37
	s_mov_b32 s16, -1
	s_mov_b32 s15, exec_lo
	ds_cmpstore_rtn_b64 v[9:10], v12, v[7:8], v[9:10]
	s_waitcnt lgkmcnt(0)
	v_cmpx_eq_u64_e64 s[36:37], v[9:10]
	s_cbranch_execz .LBB107_44
; %bb.41:                               ;   in Loop: Header=BB107_36 Depth=2
	ds_load_b64 v[9:10], v12 offset:8192
	s_mov_b32 s16, 0
.LBB107_42:                             ;   Parent Loop BB107_34 Depth=1
                                        ;     Parent Loop BB107_36 Depth=2
                                        ; =>    This Inner Loop Header: Depth=3
	s_waitcnt lgkmcnt(0)
	v_add_f64 v[13:14], v[9:10], v[5:6]
	ds_cmpstore_rtn_b64 v[13:14], v12, v[13:14], v[9:10] offset:8192
	s_waitcnt lgkmcnt(0)
	v_cmp_eq_u64_e32 vcc_lo, v[13:14], v[9:10]
	v_dual_mov_b32 v9, v13 :: v_dual_mov_b32 v10, v14
	s_or_b32 s16, vcc_lo, s16
	s_delay_alu instid0(SALU_CYCLE_1)
	s_and_not1_b32 exec_lo, exec_lo, s16
	s_cbranch_execnz .LBB107_42
; %bb.43:                               ;   in Loop: Header=BB107_36 Depth=2
	s_or_b32 exec_lo, exec_lo, s16
	s_delay_alu instid0(SALU_CYCLE_1)
	s_xor_b32 s16, exec_lo, -1
.LBB107_44:                             ;   in Loop: Header=BB107_36 Depth=2
	s_or_b32 exec_lo, exec_lo, s15
	s_delay_alu instid0(SALU_CYCLE_1) | instskip(SKIP_1) | instid1(SALU_CYCLE_1)
	s_and_not1_b32 s13, s13, exec_lo
	s_and_b32 s15, s16, exec_lo
	s_or_b32 s13, s13, s15
.LBB107_45:                             ;   in Loop: Header=BB107_36 Depth=2
	s_or_b32 exec_lo, exec_lo, s14
	s_delay_alu instid0(SALU_CYCLE_1)
	s_and_b32 s13, s13, exec_lo
                                        ; implicit-def: $vgpr12
.LBB107_46:                             ;   in Loop: Header=BB107_36 Depth=2
	s_and_not1_saveexec_b32 s12, s12
	s_cbranch_execz .LBB107_35
; %bb.47:                               ;   in Loop: Header=BB107_36 Depth=2
	ds_load_b64 v[9:10], v12 offset:8192
	s_mov_b32 s14, 0
.LBB107_48:                             ;   Parent Loop BB107_34 Depth=1
                                        ;     Parent Loop BB107_36 Depth=2
                                        ; =>    This Inner Loop Header: Depth=3
	s_waitcnt lgkmcnt(0)
	v_add_f64 v[13:14], v[9:10], v[5:6]
	ds_cmpstore_rtn_b64 v[13:14], v12, v[13:14], v[9:10] offset:8192
	s_waitcnt lgkmcnt(0)
	v_cmp_eq_u64_e32 vcc_lo, v[13:14], v[9:10]
	v_dual_mov_b32 v9, v13 :: v_dual_mov_b32 v10, v14
	s_or_b32 s14, vcc_lo, s14
	s_delay_alu instid0(SALU_CYCLE_1)
	s_and_not1_b32 exec_lo, exec_lo, s14
	s_cbranch_execnz .LBB107_48
; %bb.49:                               ;   in Loop: Header=BB107_36 Depth=2
	s_or_b32 exec_lo, exec_lo, s14
	s_delay_alu instid0(SALU_CYCLE_1)
	s_and_not1_b32 s13, s13, exec_lo
	s_branch .LBB107_35
.LBB107_50:
	s_or_b32 exec_lo, exec_lo, s3
.LBB107_51:
	v_mbcnt_lo_u32_b32 v1, -1, 0
	v_lshrrev_b32_e32 v2, 3, v0
	v_cmp_eq_u32_e32 vcc_lo, 0x1ff, v0
	v_cmp_lt_u32_e64 s0, 63, v0
	v_cmp_lt_u32_e64 s1, 0x7f, v0
	v_xor_b32_e32 v1, 63, v1
	v_and_b32_e32 v2, 56, v2
	v_cmp_lt_u32_e64 s2, 0xbf, v0
	v_cmp_lt_u32_e64 s3, 0xff, v0
	;; [unrolled: 1-line block ×3, first 2 shown]
	v_lshrrev_b64 v[5:6], v1, -1
	v_mov_b32_e32 v6, 0
	v_dual_mov_b32 v7, 0 :: v_dual_add_nc_u32 v12, 0, v2
	v_mov_b32_e32 v9, 0
	v_cmp_lt_u32_e64 s5, 0x17f, v0
	v_cmp_lt_u32_e64 s6, 0x1bf, v0
	s_mov_b32 s8, 0
	s_waitcnt lgkmcnt(0)
	s_barrier
	buffer_gl0_inv
	s_branch .LBB107_53
.LBB107_52:                             ;   in Loop: Header=BB107_53 Depth=1
	s_or_b32 exec_lo, exec_lo, s7
	s_waitcnt lgkmcnt(0)
	s_barrier
	buffer_gl0_inv
	ds_load_b64 v[1:2], v9 offset:16440
	v_add_co_u32 v20, s7, 0x200, v20
	s_delay_alu instid0(VALU_DEP_1) | instskip(SKIP_3) | instid1(VALU_DEP_1)
	s_xor_b32 s9, s7, -1
	v_add_nc_u32_e32 v19, 0x1000, v19
	s_waitcnt lgkmcnt(0)
	v_add_co_u32 v6, s7, v1, v6
	v_add_co_ci_u32_e64 v7, s7, v2, v7, s7
	s_and_b32 s7, exec_lo, s9
	s_delay_alu instid0(SALU_CYCLE_1) | instskip(NEXT) | instid1(SALU_CYCLE_1)
	s_or_b32 s8, s7, s8
	s_and_not1_b32 exec_lo, exec_lo, s8
	s_cbranch_execz .LBB107_71
.LBB107_53:                             ; =>This Inner Loop Header: Depth=1
	ds_load_2addr_stride64_b64 v[1:4], v19 offset1:16
	s_waitcnt lgkmcnt(0)
	s_barrier
	buffer_gl0_inv
	v_cmp_gt_i64_e64 s7, s[36:37], v[1:2]
	s_delay_alu instid0(VALU_DEP_1) | instskip(SKIP_1) | instid1(SALU_CYCLE_1)
	v_and_b32_e32 v10, s7, v5
	s_bcnt1_i32_b32 s9, s7
	v_mov_b32_e32 v8, s9
	s_delay_alu instid0(VALU_DEP_2)
	v_bcnt_u32_b32 v10, v10, 0
	ds_store_b64 v12, v[8:9] offset:16384
	s_waitcnt lgkmcnt(0)
	s_barrier
	buffer_gl0_inv
	s_and_saveexec_b32 s9, s0
	s_cbranch_execnz .LBB107_62
; %bb.54:                               ;   in Loop: Header=BB107_53 Depth=1
	s_or_b32 exec_lo, exec_lo, s9
	s_and_saveexec_b32 s9, s1
	s_cbranch_execnz .LBB107_63
.LBB107_55:                             ;   in Loop: Header=BB107_53 Depth=1
	s_or_b32 exec_lo, exec_lo, s9
	s_and_saveexec_b32 s9, s2
	s_cbranch_execnz .LBB107_64
.LBB107_56:                             ;   in Loop: Header=BB107_53 Depth=1
	s_or_b32 exec_lo, exec_lo, s9
	s_and_saveexec_b32 s9, s3
	s_cbranch_execnz .LBB107_65
.LBB107_57:                             ;   in Loop: Header=BB107_53 Depth=1
	s_or_b32 exec_lo, exec_lo, s9
	s_and_saveexec_b32 s9, s4
	s_cbranch_execnz .LBB107_66
.LBB107_58:                             ;   in Loop: Header=BB107_53 Depth=1
	s_or_b32 exec_lo, exec_lo, s9
	s_and_saveexec_b32 s9, s5
	s_cbranch_execnz .LBB107_67
.LBB107_59:                             ;   in Loop: Header=BB107_53 Depth=1
	s_or_b32 exec_lo, exec_lo, s9
	s_and_saveexec_b32 s9, s6
	s_cbranch_execnz .LBB107_68
.LBB107_60:                             ;   in Loop: Header=BB107_53 Depth=1
	s_or_b32 exec_lo, exec_lo, s9
	v_ashrrev_i32_e32 v11, 31, v10
	s_and_saveexec_b32 s9, s7
	s_cbranch_execnz .LBB107_69
.LBB107_61:                             ;   in Loop: Header=BB107_53 Depth=1
	s_or_b32 exec_lo, exec_lo, s9
	s_and_saveexec_b32 s7, vcc_lo
	s_cbranch_execz .LBB107_52
	s_branch .LBB107_70
.LBB107_62:                             ;   in Loop: Header=BB107_53 Depth=1
	ds_load_b32 v8, v9 offset:16384
	s_waitcnt lgkmcnt(0)
	v_add_nc_u32_e32 v10, v8, v10
	s_or_b32 exec_lo, exec_lo, s9
	s_and_saveexec_b32 s9, s1
	s_cbranch_execz .LBB107_55
.LBB107_63:                             ;   in Loop: Header=BB107_53 Depth=1
	ds_load_b32 v8, v9 offset:16392
	s_waitcnt lgkmcnt(0)
	v_add_nc_u32_e32 v10, v10, v8
	s_or_b32 exec_lo, exec_lo, s9
	s_and_saveexec_b32 s9, s2
	s_cbranch_execz .LBB107_56
.LBB107_64:                             ;   in Loop: Header=BB107_53 Depth=1
	ds_load_b32 v8, v9 offset:16400
	s_waitcnt lgkmcnt(0)
	v_add_nc_u32_e32 v10, v10, v8
	s_or_b32 exec_lo, exec_lo, s9
	s_and_saveexec_b32 s9, s3
	s_cbranch_execz .LBB107_57
.LBB107_65:                             ;   in Loop: Header=BB107_53 Depth=1
	ds_load_b32 v8, v9 offset:16408
	s_waitcnt lgkmcnt(0)
	v_add_nc_u32_e32 v10, v10, v8
	s_or_b32 exec_lo, exec_lo, s9
	s_and_saveexec_b32 s9, s4
	s_cbranch_execz .LBB107_58
.LBB107_66:                             ;   in Loop: Header=BB107_53 Depth=1
	ds_load_b32 v8, v9 offset:16416
	s_waitcnt lgkmcnt(0)
	v_add_nc_u32_e32 v10, v10, v8
	s_or_b32 exec_lo, exec_lo, s9
	s_and_saveexec_b32 s9, s5
	s_cbranch_execz .LBB107_59
.LBB107_67:                             ;   in Loop: Header=BB107_53 Depth=1
	ds_load_b32 v8, v9 offset:16424
	s_waitcnt lgkmcnt(0)
	v_add_nc_u32_e32 v10, v10, v8
	s_or_b32 exec_lo, exec_lo, s9
	s_and_saveexec_b32 s9, s6
	s_cbranch_execz .LBB107_60
.LBB107_68:                             ;   in Loop: Header=BB107_53 Depth=1
	ds_load_b32 v8, v9 offset:16432
	s_waitcnt lgkmcnt(0)
	v_add_nc_u32_e32 v10, v10, v8
	s_or_b32 exec_lo, exec_lo, s9
	s_delay_alu instid0(VALU_DEP_1)
	v_ashrrev_i32_e32 v11, 31, v10
	s_and_saveexec_b32 s9, s7
	s_cbranch_execz .LBB107_61
.LBB107_69:                             ;   in Loop: Header=BB107_53 Depth=1
	v_add3_u32 v8, v6, -1, v10
	s_delay_alu instid0(VALU_DEP_1)
	v_lshl_add_u32 v8, v8, 3, 0
	ds_store_2addr_stride64_b64 v8, v[1:2], v[3:4] offset1:16
	s_or_b32 exec_lo, exec_lo, s9
	s_and_saveexec_b32 s7, vcc_lo
	s_cbranch_execz .LBB107_52
.LBB107_70:                             ;   in Loop: Header=BB107_53 Depth=1
	ds_store_b64 v9, v[10:11] offset:16440
	s_branch .LBB107_52
.LBB107_71:
	s_or_b32 exec_lo, exec_lo, s8
	s_lshl_b64 s[0:1], s[28:29], 3
	v_mov_b32_e32 v1, 0
	s_add_u32 s0, s10, s0
	s_addc_u32 s1, s11, s1
	s_mov_b32 s6, exec_lo
	s_load_b128 s[0:3], s[0:1], 0x0
	s_waitcnt lgkmcnt(0)
	s_sub_u32 s4, s2, s0
	s_subb_u32 s5, s3, s1
	s_delay_alu instid0(SALU_CYCLE_1)
	v_cmpx_gt_i64_e64 s[4:5], v[0:1]
	s_cbranch_execz .LBB107_81
; %bb.72:
	s_sub_u32 s8, s0, s22
	s_subb_u32 s9, s1, 0
	s_and_b32 s6, s4, 7
	s_sub_u32 s0, s0, s2
	s_subb_u32 s1, s1, s3
	s_mov_b32 s7, 0
	v_cmp_lt_u64_e64 s12, s[0:1], -7
	s_and_b32 s2, s4, -8
	s_cmp_lg_u64 s[6:7], 0
	s_mov_b32 s3, s5
	s_cselect_b32 s13, -1, 0
	s_mov_b32 s14, s7
	s_branch .LBB107_74
.LBB107_73:                             ;   in Loop: Header=BB107_74 Depth=1
	v_add_co_u32 v0, vcc_lo, 0x200, v0
	v_add_co_ci_u32_e32 v1, vcc_lo, 0, v1, vcc_lo
	s_waitcnt lgkmcnt(0)
	v_lshlrev_b64 v[2:3], 3, v[6:7]
	s_delay_alu instid0(VALU_DEP_2) | instskip(NEXT) | instid1(VALU_DEP_2)
	v_cmp_le_i64_e32 vcc_lo, s[4:5], v[0:1]
	v_add_co_u32 v2, s0, s34, v2
	s_delay_alu instid0(VALU_DEP_1)
	v_add_co_ci_u32_e64 v3, s0, s35, v3, s0
	s_or_b32 s14, vcc_lo, s14
	global_store_b64 v[2:3], v[4:5], off
	s_and_not1_b32 exec_lo, exec_lo, s14
	s_cbranch_execz .LBB107_81
.LBB107_74:                             ; =>This Loop Header: Depth=1
                                        ;     Child Loop BB107_76 Depth 2
                                        ;     Child Loop BB107_80 Depth 2
	v_lshl_add_u32 v2, v0, 3, 0
	v_dual_mov_b32 v6, s8 :: v_dual_mov_b32 v7, s9
	s_and_not1_b32 vcc_lo, exec_lo, s12
	s_mov_b64 s[0:1], 0
	ds_load_2addr_stride64_b64 v[2:5], v2 offset1:16
	s_cbranch_vccnz .LBB107_78
; %bb.75:                               ;   in Loop: Header=BB107_74 Depth=1
	v_dual_mov_b32 v6, s8 :: v_dual_mov_b32 v7, s9
	s_mov_b64 s[10:11], 0
	s_mov_b32 s1, 0
.LBB107_76:                             ;   Parent Loop BB107_74 Depth=1
                                        ; =>  This Inner Loop Header: Depth=2
	s_delay_alu instid0(SALU_CYCLE_1)
	v_mov_b32_e32 v20, s1
	s_add_u32 s10, s10, 8
	s_addc_u32 s11, s11, 0
	s_add_i32 s1, s1, 64
	s_cmp_eq_u64 s[2:3], s[10:11]
	ds_load_2addr_b64 v[8:11], v20 offset1:1
	ds_load_2addr_b64 v[12:15], v20 offset0:2 offset1:3
	ds_load_2addr_b64 v[16:19], v20 offset0:4 offset1:5
	;; [unrolled: 1-line block ×3, first 2 shown]
	s_waitcnt lgkmcnt(3)
	v_cmp_gt_i64_e32 vcc_lo, v[2:3], v[8:9]
	v_cndmask_b32_e64 v8, 0, 1, vcc_lo
	v_cmp_gt_i64_e32 vcc_lo, v[2:3], v[10:11]
	v_cndmask_b32_e64 v9, 0, 1, vcc_lo
	s_waitcnt lgkmcnt(2)
	v_cmp_gt_i64_e32 vcc_lo, v[2:3], v[12:13]
	v_cndmask_b32_e64 v10, 0, 1, vcc_lo
	v_cmp_gt_i64_e32 vcc_lo, v[2:3], v[14:15]
	v_cndmask_b32_e64 v11, 0, 1, vcc_lo
	s_waitcnt lgkmcnt(1)
	v_cmp_gt_i64_e32 vcc_lo, v[2:3], v[16:17]
	v_cndmask_b32_e64 v12, 0, 1, vcc_lo
	v_add_co_u32 v6, vcc_lo, v6, v8
	v_add_co_ci_u32_e32 v7, vcc_lo, 0, v7, vcc_lo
	v_cmp_gt_i64_e32 vcc_lo, v[2:3], v[18:19]
	s_delay_alu instid0(VALU_DEP_3) | instskip(NEXT) | instid1(VALU_DEP_1)
	v_add_co_u32 v6, s0, v6, v9
	v_add_co_ci_u32_e64 v7, s0, 0, v7, s0
	v_cndmask_b32_e64 v8, 0, 1, vcc_lo
	s_delay_alu instid0(VALU_DEP_3) | instskip(NEXT) | instid1(VALU_DEP_3)
	v_add_co_u32 v6, vcc_lo, v6, v10
	v_add_co_ci_u32_e32 v7, vcc_lo, 0, v7, vcc_lo
	s_waitcnt lgkmcnt(0)
	v_cmp_gt_i64_e32 vcc_lo, v[2:3], v[20:21]
	s_delay_alu instid0(VALU_DEP_3) | instskip(NEXT) | instid1(VALU_DEP_1)
	v_add_co_u32 v6, s0, v6, v11
	v_add_co_ci_u32_e64 v7, s0, 0, v7, s0
	v_cndmask_b32_e64 v9, 0, 1, vcc_lo
	s_delay_alu instid0(VALU_DEP_3) | instskip(NEXT) | instid1(VALU_DEP_3)
	v_add_co_u32 v6, vcc_lo, v6, v12
	v_add_co_ci_u32_e32 v7, vcc_lo, 0, v7, vcc_lo
	v_cmp_gt_i64_e32 vcc_lo, v[2:3], v[22:23]
	s_delay_alu instid0(VALU_DEP_3) | instskip(NEXT) | instid1(VALU_DEP_1)
	v_add_co_u32 v6, s0, v6, v8
	v_add_co_ci_u32_e64 v7, s0, 0, v7, s0
	v_cndmask_b32_e64 v8, 0, 1, vcc_lo
	s_delay_alu instid0(VALU_DEP_3) | instskip(NEXT) | instid1(VALU_DEP_3)
	v_add_co_u32 v6, vcc_lo, v6, v9
	v_add_co_ci_u32_e32 v7, vcc_lo, 0, v7, vcc_lo
	s_delay_alu instid0(VALU_DEP_2) | instskip(NEXT) | instid1(VALU_DEP_2)
	v_add_co_u32 v6, vcc_lo, v6, v8
	v_add_co_ci_u32_e32 v7, vcc_lo, 0, v7, vcc_lo
	s_cbranch_scc0 .LBB107_76
; %bb.77:                               ;   in Loop: Header=BB107_74 Depth=1
	s_mov_b64 s[0:1], s[2:3]
.LBB107_78:                             ;   in Loop: Header=BB107_74 Depth=1
	s_and_not1_b32 vcc_lo, exec_lo, s13
	s_cbranch_vccnz .LBB107_73
; %bb.79:                               ;   in Loop: Header=BB107_74 Depth=1
	s_lshl_b32 s0, s0, 3
	s_delay_alu instid0(SALU_CYCLE_1)
	s_add_i32 s10, s0, 0
	s_mov_b64 s[0:1], s[6:7]
.LBB107_80:                             ;   Parent Loop BB107_74 Depth=1
                                        ; =>  This Inner Loop Header: Depth=2
	v_mov_b32_e32 v8, s10
	s_add_i32 s10, s10, 8
	s_add_u32 s0, s0, -1
	s_addc_u32 s1, s1, -1
	s_delay_alu instid0(SALU_CYCLE_1) | instskip(SKIP_4) | instid1(VALU_DEP_1)
	s_cmp_lg_u64 s[0:1], 0
	ds_load_b64 v[8:9], v8
	s_waitcnt lgkmcnt(0)
	v_cmp_gt_i64_e32 vcc_lo, v[2:3], v[8:9]
	v_cndmask_b32_e64 v8, 0, 1, vcc_lo
	v_add_co_u32 v6, vcc_lo, v6, v8
	v_add_co_ci_u32_e32 v7, vcc_lo, 0, v7, vcc_lo
	s_cbranch_scc1 .LBB107_80
	s_branch .LBB107_73
.LBB107_81:
	s_nop 0
	s_sendmsg sendmsg(MSG_DEALLOC_VGPRS)
	s_endpgm
	.section	.rodata,"a",@progbits
	.p2align	6, 0x0
	.amdhsa_kernel _ZN9rocsparseL41csrgemm_numeric_fill_block_per_row_kernelILj512ELj32ELj1024ELj137ELj64ElldEEvT5_PKS1_S3_NS_24const_host_device_scalarIT6_EEPKT4_S3_PKS5_S9_S3_SB_S6_S9_S3_SB_S9_S3_PS5_21rocsparse_index_base_SD_SD_SD_bbb
		.amdhsa_group_segment_fixed_size 0
		.amdhsa_private_segment_fixed_size 0
		.amdhsa_kernarg_size 156
		.amdhsa_user_sgpr_count 15
		.amdhsa_user_sgpr_dispatch_ptr 0
		.amdhsa_user_sgpr_queue_ptr 0
		.amdhsa_user_sgpr_kernarg_segment_ptr 1
		.amdhsa_user_sgpr_dispatch_id 0
		.amdhsa_user_sgpr_private_segment_size 0
		.amdhsa_wavefront_size32 1
		.amdhsa_uses_dynamic_stack 0
		.amdhsa_enable_private_segment 0
		.amdhsa_system_sgpr_workgroup_id_x 1
		.amdhsa_system_sgpr_workgroup_id_y 0
		.amdhsa_system_sgpr_workgroup_id_z 0
		.amdhsa_system_sgpr_workgroup_info 0
		.amdhsa_system_vgpr_workitem_id 0
		.amdhsa_next_free_vgpr 27
		.amdhsa_next_free_sgpr 42
		.amdhsa_reserve_vcc 1
		.amdhsa_float_round_mode_32 0
		.amdhsa_float_round_mode_16_64 0
		.amdhsa_float_denorm_mode_32 3
		.amdhsa_float_denorm_mode_16_64 3
		.amdhsa_dx10_clamp 1
		.amdhsa_ieee_mode 1
		.amdhsa_fp16_overflow 0
		.amdhsa_workgroup_processor_mode 1
		.amdhsa_memory_ordered 1
		.amdhsa_forward_progress 0
		.amdhsa_shared_vgpr_count 0
		.amdhsa_exception_fp_ieee_invalid_op 0
		.amdhsa_exception_fp_denorm_src 0
		.amdhsa_exception_fp_ieee_div_zero 0
		.amdhsa_exception_fp_ieee_overflow 0
		.amdhsa_exception_fp_ieee_underflow 0
		.amdhsa_exception_fp_ieee_inexact 0
		.amdhsa_exception_int_div_zero 0
	.end_amdhsa_kernel
	.section	.text._ZN9rocsparseL41csrgemm_numeric_fill_block_per_row_kernelILj512ELj32ELj1024ELj137ELj64ElldEEvT5_PKS1_S3_NS_24const_host_device_scalarIT6_EEPKT4_S3_PKS5_S9_S3_SB_S6_S9_S3_SB_S9_S3_PS5_21rocsparse_index_base_SD_SD_SD_bbb,"axG",@progbits,_ZN9rocsparseL41csrgemm_numeric_fill_block_per_row_kernelILj512ELj32ELj1024ELj137ELj64ElldEEvT5_PKS1_S3_NS_24const_host_device_scalarIT6_EEPKT4_S3_PKS5_S9_S3_SB_S6_S9_S3_SB_S9_S3_PS5_21rocsparse_index_base_SD_SD_SD_bbb,comdat
.Lfunc_end107:
	.size	_ZN9rocsparseL41csrgemm_numeric_fill_block_per_row_kernelILj512ELj32ELj1024ELj137ELj64ElldEEvT5_PKS1_S3_NS_24const_host_device_scalarIT6_EEPKT4_S3_PKS5_S9_S3_SB_S6_S9_S3_SB_S9_S3_PS5_21rocsparse_index_base_SD_SD_SD_bbb, .Lfunc_end107-_ZN9rocsparseL41csrgemm_numeric_fill_block_per_row_kernelILj512ELj32ELj1024ELj137ELj64ElldEEvT5_PKS1_S3_NS_24const_host_device_scalarIT6_EEPKT4_S3_PKS5_S9_S3_SB_S6_S9_S3_SB_S9_S3_PS5_21rocsparse_index_base_SD_SD_SD_bbb
                                        ; -- End function
	.section	.AMDGPU.csdata,"",@progbits
; Kernel info:
; codeLenInByte = 3268
; NumSgprs: 44
; NumVgprs: 27
; ScratchSize: 0
; MemoryBound: 0
; FloatMode: 240
; IeeeMode: 1
; LDSByteSize: 0 bytes/workgroup (compile time only)
; SGPRBlocks: 5
; VGPRBlocks: 3
; NumSGPRsForWavesPerEU: 44
; NumVGPRsForWavesPerEU: 27
; Occupancy: 16
; WaveLimiterHint : 1
; COMPUTE_PGM_RSRC2:SCRATCH_EN: 0
; COMPUTE_PGM_RSRC2:USER_SGPR: 15
; COMPUTE_PGM_RSRC2:TRAP_HANDLER: 0
; COMPUTE_PGM_RSRC2:TGID_X_EN: 1
; COMPUTE_PGM_RSRC2:TGID_Y_EN: 0
; COMPUTE_PGM_RSRC2:TGID_Z_EN: 0
; COMPUTE_PGM_RSRC2:TIDIG_COMP_CNT: 0
	.section	.text._ZN9rocsparseL41csrgemm_numeric_fill_block_per_row_kernelILj1024ELj32ELj2048ELj137ELj32ElldEEvT5_PKS1_S3_NS_24const_host_device_scalarIT6_EEPKT4_S3_PKS5_S9_S3_SB_S6_S9_S3_SB_S9_S3_PS5_21rocsparse_index_base_SD_SD_SD_bbb,"axG",@progbits,_ZN9rocsparseL41csrgemm_numeric_fill_block_per_row_kernelILj1024ELj32ELj2048ELj137ELj32ElldEEvT5_PKS1_S3_NS_24const_host_device_scalarIT6_EEPKT4_S3_PKS5_S9_S3_SB_S6_S9_S3_SB_S9_S3_PS5_21rocsparse_index_base_SD_SD_SD_bbb,comdat
	.globl	_ZN9rocsparseL41csrgemm_numeric_fill_block_per_row_kernelILj1024ELj32ELj2048ELj137ELj32ElldEEvT5_PKS1_S3_NS_24const_host_device_scalarIT6_EEPKT4_S3_PKS5_S9_S3_SB_S6_S9_S3_SB_S9_S3_PS5_21rocsparse_index_base_SD_SD_SD_bbb ; -- Begin function _ZN9rocsparseL41csrgemm_numeric_fill_block_per_row_kernelILj1024ELj32ELj2048ELj137ELj32ElldEEvT5_PKS1_S3_NS_24const_host_device_scalarIT6_EEPKT4_S3_PKS5_S9_S3_SB_S6_S9_S3_SB_S9_S3_PS5_21rocsparse_index_base_SD_SD_SD_bbb
	.p2align	8
	.type	_ZN9rocsparseL41csrgemm_numeric_fill_block_per_row_kernelILj1024ELj32ELj2048ELj137ELj32ElldEEvT5_PKS1_S3_NS_24const_host_device_scalarIT6_EEPKT4_S3_PKS5_S9_S3_SB_S6_S9_S3_SB_S9_S3_PS5_21rocsparse_index_base_SD_SD_SD_bbb,@function
_ZN9rocsparseL41csrgemm_numeric_fill_block_per_row_kernelILj1024ELj32ELj2048ELj137ELj32ElldEEvT5_PKS1_S3_NS_24const_host_device_scalarIT6_EEPKT4_S3_PKS5_S9_S3_SB_S6_S9_S3_SB_S9_S3_PS5_21rocsparse_index_base_SD_SD_SD_bbb: ; @_ZN9rocsparseL41csrgemm_numeric_fill_block_per_row_kernelILj1024ELj32ELj2048ELj137ELj32ElldEEvT5_PKS1_S3_NS_24const_host_device_scalarIT6_EEPKT4_S3_PKS5_S9_S3_SB_S6_S9_S3_SB_S9_S3_PS5_21rocsparse_index_base_SD_SD_SD_bbb
; %bb.0:
	s_clause 0x3
	s_load_b32 s3, s[0:1], 0x98
	s_load_b64 s[4:5], s[0:1], 0x18
	s_load_b128 s[44:47], s[0:1], 0x88
	s_load_b64 s[20:21], s[0:1], 0x50
	s_mov_b32 s2, s15
	s_waitcnt lgkmcnt(0)
	s_and_b32 s6, 1, s3
	s_bitcmp1_b32 s3, 16
	s_cselect_b32 s24, -1, 0
	s_cmp_eq_u32 s6, 1
	s_cselect_b32 s23, -1, 0
	s_delay_alu instid0(SALU_CYCLE_1)
	s_and_b32 s6, s23, exec_lo
	s_cselect_b32 s7, s5, 0
	s_cselect_b32 s6, s4, 0
	s_xor_b32 s8, s23, -1
	v_dual_mov_b32 v3, s6 :: v_dual_mov_b32 v4, s7
	s_or_b32 s8, s8, s24
	s_delay_alu instid0(SALU_CYCLE_1)
	s_and_b32 vcc_lo, exec_lo, s8
	s_cbranch_vccnz .LBB108_2
; %bb.1:
	v_dual_mov_b32 v1, s4 :: v_dual_mov_b32 v2, s5
	flat_load_b64 v[3:4], v[1:2]
.LBB108_2:
	s_clause 0x4
	s_load_b64 s[34:35], s[0:1], 0x80
	s_load_b256 s[36:43], s[0:1], 0x58
	s_load_b128 s[12:15], s[0:1], 0x40
	s_load_b128 s[16:19], s[0:1], 0x8
	s_load_b256 s[4:11], s[0:1], 0x20
	s_bitcmp1_b32 s3, 8
	s_cselect_b32 s22, -1, 0
	s_delay_alu instid0(SALU_CYCLE_1)
	s_and_b32 s3, s22, exec_lo
	s_cselect_b32 s27, s21, 0
	s_cselect_b32 s26, s20, 0
	s_xor_b32 s3, s22, -1
	v_dual_mov_b32 v1, s26 :: v_dual_mov_b32 v2, s27
	s_or_b32 s3, s3, s24
	s_delay_alu instid0(SALU_CYCLE_1)
	s_and_b32 vcc_lo, exec_lo, s3
	s_cbranch_vccnz .LBB108_4
; %bb.3:
	v_dual_mov_b32 v1, s20 :: v_dual_mov_b32 v2, s21
	flat_load_b64 v[1:2], v[1:2]
.LBB108_4:
	s_load_b64 s[48:49], s[0:1], 0x0
	v_mov_b32_e32 v5, 0
	v_lshl_add_u32 v19, v0, 3, 0
	v_or_b32_e32 v20, 0xfffffc00, v0
	s_mov_b32 s0, 0
	s_delay_alu instid0(VALU_DEP_1)
	v_dual_mov_b32 v9, v19 :: v_dual_mov_b32 v10, v20
	s_waitcnt lgkmcnt(0)
	v_dual_mov_b32 v7, s48 :: v_dual_mov_b32 v8, s49
	v_mov_b32_e32 v6, v5
.LBB108_5:                              ; =>This Inner Loop Header: Depth=1
	s_delay_alu instid0(VALU_DEP_3) | instskip(NEXT) | instid1(VALU_DEP_1)
	v_add_co_u32 v10, s1, 0x400, v10
	s_xor_b32 s1, s1, -1
	ds_store_2addr_stride64_b64 v9, v[7:8], v[5:6] offset1:32
	v_add_nc_u32_e32 v9, 0x2000, v9
	s_and_b32 s1, exec_lo, s1
	s_delay_alu instid0(SALU_CYCLE_1) | instskip(NEXT) | instid1(SALU_CYCLE_1)
	s_or_b32 s0, s1, s0
	s_and_not1_b32 exec_lo, exec_lo, s0
	s_cbranch_execnz .LBB108_5
; %bb.6:
	s_or_b32 exec_lo, exec_lo, s0
	s_waitcnt vmcnt(0) lgkmcnt(0)
	s_barrier
	buffer_gl0_inv
	s_load_b64 s[0:1], s[16:17], 0x0
	s_mov_b32 s3, 0
	v_lshrrev_b32_e32 v21, 5, v0
	s_waitcnt lgkmcnt(0)
	s_lshl_b64 s[0:1], s[0:1], 3
	s_delay_alu instid0(SALU_CYCLE_1) | instskip(SKIP_2) | instid1(SALU_CYCLE_1)
	s_add_u32 s16, s18, s0
	s_addc_u32 s17, s19, s1
	s_lshl_b64 s[0:1], s[2:3], 3
	s_add_u32 s0, s16, s0
	s_addc_u32 s1, s17, s1
	s_and_b32 vcc_lo, exec_lo, s23
	s_load_b64 s[50:51], s[0:1], 0x0
	s_cbranch_vccz .LBB108_30
; %bb.7:
	s_waitcnt lgkmcnt(0)
	s_lshl_b64 s[0:1], s[50:51], 3
	s_delay_alu instid0(SALU_CYCLE_1)
	s_add_u32 s0, s4, s0
	s_addc_u32 s1, s5, s1
	v_sub_co_u32 v5, s4, v21, s44
	s_load_b128 s[0:3], s[0:1], 0x0
	v_sub_co_ci_u32_e64 v6, null, 0, 0, s4
	s_waitcnt lgkmcnt(0)
	s_delay_alu instid0(VALU_DEP_2) | instskip(NEXT) | instid1(VALU_DEP_2)
	v_add_co_u32 v5, vcc_lo, s0, v5
	v_add_co_ci_u32_e32 v6, vcc_lo, s1, v6, vcc_lo
	s_sub_u32 s0, s2, s44
	s_subb_u32 s1, s3, 0
	s_mov_b32 s2, exec_lo
	s_delay_alu instid0(VALU_DEP_1)
	v_cmpx_gt_i64_e64 s[0:1], v[5:6]
	s_cbranch_execz .LBB108_29
; %bb.8:
	v_and_b32_e32 v7, 31, v0
	s_mov_b32 s4, s45
	s_delay_alu instid0(VALU_DEP_1) | instskip(NEXT) | instid1(VALU_DEP_1)
	v_sub_co_u32 v22, s3, v7, s45
	v_sub_co_ci_u32_e64 v23, null, 0, 0, s3
	s_mov_b32 s3, 0
	s_branch .LBB108_10
.LBB108_9:                              ;   in Loop: Header=BB108_10 Depth=1
	s_or_b32 exec_lo, exec_lo, s5
	v_add_co_u32 v5, vcc_lo, v5, 32
	v_add_co_ci_u32_e32 v6, vcc_lo, 0, v6, vcc_lo
	s_delay_alu instid0(VALU_DEP_1) | instskip(SKIP_1) | instid1(SALU_CYCLE_1)
	v_cmp_le_i64_e32 vcc_lo, s[0:1], v[5:6]
	s_or_b32 s3, vcc_lo, s3
	s_and_not1_b32 exec_lo, exec_lo, s3
	s_cbranch_execz .LBB108_29
.LBB108_10:                             ; =>This Loop Header: Depth=1
                                        ;     Child Loop BB108_13 Depth 2
                                        ;       Child Loop BB108_15 Depth 3
                                        ;         Child Loop BB108_21 Depth 4
                                        ;         Child Loop BB108_27 Depth 4
	v_lshlrev_b64 v[11:12], 3, v[5:6]
	s_mov_b32 s5, exec_lo
	s_delay_alu instid0(VALU_DEP_1) | instskip(NEXT) | instid1(VALU_DEP_2)
	v_add_co_u32 v7, vcc_lo, s6, v11
	v_add_co_ci_u32_e32 v8, vcc_lo, s7, v12, vcc_lo
	global_load_b64 v[7:8], v[7:8], off
	s_waitcnt vmcnt(0)
	v_sub_co_u32 v7, vcc_lo, v7, s44
	v_subrev_co_ci_u32_e32 v8, vcc_lo, 0, v8, vcc_lo
	s_delay_alu instid0(VALU_DEP_1) | instskip(NEXT) | instid1(VALU_DEP_1)
	v_lshlrev_b64 v[7:8], 3, v[7:8]
	v_add_co_u32 v7, vcc_lo, s10, v7
	s_delay_alu instid0(VALU_DEP_2)
	v_add_co_ci_u32_e32 v8, vcc_lo, s11, v8, vcc_lo
	global_load_b128 v[13:16], v[7:8], off
	s_waitcnt vmcnt(0)
	v_sub_co_u32 v7, vcc_lo, v15, s4
	v_subrev_co_ci_u32_e32 v8, vcc_lo, 0, v16, vcc_lo
	v_add_co_u32 v9, vcc_lo, v13, v22
	v_add_co_ci_u32_e32 v10, vcc_lo, v14, v23, vcc_lo
	s_delay_alu instid0(VALU_DEP_1)
	v_cmpx_lt_i64_e64 v[9:10], v[7:8]
	s_cbranch_execz .LBB108_9
; %bb.11:                               ;   in Loop: Header=BB108_10 Depth=1
	v_add_co_u32 v11, vcc_lo, s8, v11
	v_add_co_ci_u32_e32 v12, vcc_lo, s9, v12, vcc_lo
	s_mov_b32 s16, 0
	global_load_b64 v[11:12], v[11:12], off
	s_waitcnt vmcnt(0)
	v_mul_f64 v[11:12], v[3:4], v[11:12]
	s_branch .LBB108_13
.LBB108_12:                             ;   in Loop: Header=BB108_13 Depth=2
	s_or_b32 exec_lo, exec_lo, s17
	v_add_co_u32 v9, vcc_lo, v9, 32
	v_add_co_ci_u32_e32 v10, vcc_lo, 0, v10, vcc_lo
	s_delay_alu instid0(VALU_DEP_1) | instskip(SKIP_1) | instid1(SALU_CYCLE_1)
	v_cmp_ge_i64_e32 vcc_lo, v[9:10], v[7:8]
	s_or_b32 s16, vcc_lo, s16
	s_and_not1_b32 exec_lo, exec_lo, s16
	s_cbranch_execz .LBB108_9
.LBB108_13:                             ;   Parent Loop BB108_10 Depth=1
                                        ; =>  This Loop Header: Depth=2
                                        ;       Child Loop BB108_15 Depth 3
                                        ;         Child Loop BB108_21 Depth 4
                                        ;         Child Loop BB108_27 Depth 4
	v_lshlrev_b64 v[13:14], 3, v[9:10]
	s_mov_b32 s17, 0
	s_delay_alu instid0(VALU_DEP_1) | instskip(NEXT) | instid1(VALU_DEP_2)
	v_add_co_u32 v15, vcc_lo, s14, v13
	v_add_co_ci_u32_e32 v16, vcc_lo, s15, v14, vcc_lo
	v_add_co_u32 v13, vcc_lo, s12, v13
	v_add_co_ci_u32_e32 v14, vcc_lo, s13, v14, vcc_lo
	global_load_b64 v[15:16], v[15:16], off
	global_load_b64 v[17:18], v[13:14], off
	s_waitcnt vmcnt(1)
	v_mul_f64 v[13:14], v[11:12], v[15:16]
	s_waitcnt vmcnt(0)
	v_sub_co_u32 v15, vcc_lo, v17, s4
	v_subrev_co_ci_u32_e32 v16, vcc_lo, 0, v18, vcc_lo
	s_delay_alu instid0(VALU_DEP_2) | instskip(NEXT) | instid1(VALU_DEP_1)
	v_mul_lo_u32 v17, 0x89, v15
	v_and_b32_e32 v24, 0x7ff, v17
	s_branch .LBB108_15
.LBB108_14:                             ;   in Loop: Header=BB108_15 Depth=3
	s_or_b32 exec_lo, exec_lo, s18
	s_xor_b32 s18, s19, -1
	s_delay_alu instid0(SALU_CYCLE_1) | instskip(NEXT) | instid1(SALU_CYCLE_1)
	s_and_b32 s18, exec_lo, s18
	s_or_b32 s17, s18, s17
	s_delay_alu instid0(SALU_CYCLE_1)
	s_and_not1_b32 exec_lo, exec_lo, s17
	s_cbranch_execz .LBB108_12
.LBB108_15:                             ;   Parent Loop BB108_10 Depth=1
                                        ;     Parent Loop BB108_13 Depth=2
                                        ; =>    This Loop Header: Depth=3
                                        ;         Child Loop BB108_21 Depth 4
                                        ;         Child Loop BB108_27 Depth 4
	s_delay_alu instid0(VALU_DEP_1)
	v_lshl_add_u32 v25, v24, 3, 0
	s_mov_b32 s18, exec_lo
                                        ; implicit-def: $sgpr19
	ds_load_b64 v[17:18], v25
	s_waitcnt lgkmcnt(0)
	v_cmpx_ne_u64_e64 v[17:18], v[15:16]
	s_xor_b32 s18, exec_lo, s18
	s_cbranch_execz .LBB108_25
; %bb.16:                               ;   in Loop: Header=BB108_15 Depth=3
	s_mov_b32 s20, exec_lo
                                        ; implicit-def: $sgpr19
	v_cmpx_ne_u64_e64 s[48:49], v[17:18]
	s_xor_b32 s20, exec_lo, s20
; %bb.17:                               ;   in Loop: Header=BB108_15 Depth=3
	v_add_nc_u32_e32 v17, 1, v24
	s_mov_b32 s19, -1
                                        ; implicit-def: $vgpr25
	s_delay_alu instid0(VALU_DEP_1)
	v_and_b32_e32 v24, 0x7ff, v17
; %bb.18:                               ;   in Loop: Header=BB108_15 Depth=3
	s_and_not1_saveexec_b32 s20, s20
	s_cbranch_execz .LBB108_24
; %bb.19:                               ;   in Loop: Header=BB108_15 Depth=3
	v_dual_mov_b32 v17, s48 :: v_dual_mov_b32 v18, s49
	s_mov_b32 s23, -1
	s_mov_b32 s21, exec_lo
	ds_cmpstore_rtn_b64 v[17:18], v25, v[15:16], v[17:18]
	s_waitcnt lgkmcnt(0)
	v_cmpx_eq_u64_e64 s[48:49], v[17:18]
	s_cbranch_execz .LBB108_23
; %bb.20:                               ;   in Loop: Header=BB108_15 Depth=3
	ds_load_b64 v[17:18], v25 offset:16384
	s_mov_b32 s23, 0
.LBB108_21:                             ;   Parent Loop BB108_10 Depth=1
                                        ;     Parent Loop BB108_13 Depth=2
                                        ;       Parent Loop BB108_15 Depth=3
                                        ; =>      This Inner Loop Header: Depth=4
	s_waitcnt lgkmcnt(0)
	v_add_f64 v[26:27], v[17:18], v[13:14]
	ds_cmpstore_rtn_b64 v[26:27], v25, v[26:27], v[17:18] offset:16384
	s_waitcnt lgkmcnt(0)
	v_cmp_eq_u64_e32 vcc_lo, v[26:27], v[17:18]
	v_dual_mov_b32 v17, v26 :: v_dual_mov_b32 v18, v27
	s_or_b32 s23, vcc_lo, s23
	s_delay_alu instid0(SALU_CYCLE_1)
	s_and_not1_b32 exec_lo, exec_lo, s23
	s_cbranch_execnz .LBB108_21
; %bb.22:                               ;   in Loop: Header=BB108_15 Depth=3
	s_or_b32 exec_lo, exec_lo, s23
	s_delay_alu instid0(SALU_CYCLE_1)
	s_xor_b32 s23, exec_lo, -1
.LBB108_23:                             ;   in Loop: Header=BB108_15 Depth=3
	s_or_b32 exec_lo, exec_lo, s21
	s_delay_alu instid0(SALU_CYCLE_1) | instskip(SKIP_1) | instid1(SALU_CYCLE_1)
	s_and_not1_b32 s19, s19, exec_lo
	s_and_b32 s21, s23, exec_lo
	s_or_b32 s19, s19, s21
.LBB108_24:                             ;   in Loop: Header=BB108_15 Depth=3
	s_or_b32 exec_lo, exec_lo, s20
	s_delay_alu instid0(SALU_CYCLE_1)
	s_and_b32 s19, s19, exec_lo
                                        ; implicit-def: $vgpr25
.LBB108_25:                             ;   in Loop: Header=BB108_15 Depth=3
	s_and_not1_saveexec_b32 s18, s18
	s_cbranch_execz .LBB108_14
; %bb.26:                               ;   in Loop: Header=BB108_15 Depth=3
	ds_load_b64 v[17:18], v25 offset:16384
	s_mov_b32 s20, 0
.LBB108_27:                             ;   Parent Loop BB108_10 Depth=1
                                        ;     Parent Loop BB108_13 Depth=2
                                        ;       Parent Loop BB108_15 Depth=3
                                        ; =>      This Inner Loop Header: Depth=4
	s_waitcnt lgkmcnt(0)
	v_add_f64 v[26:27], v[17:18], v[13:14]
	ds_cmpstore_rtn_b64 v[26:27], v25, v[26:27], v[17:18] offset:16384
	s_waitcnt lgkmcnt(0)
	v_cmp_eq_u64_e32 vcc_lo, v[26:27], v[17:18]
	v_dual_mov_b32 v17, v26 :: v_dual_mov_b32 v18, v27
	s_or_b32 s20, vcc_lo, s20
	s_delay_alu instid0(SALU_CYCLE_1)
	s_and_not1_b32 exec_lo, exec_lo, s20
	s_cbranch_execnz .LBB108_27
; %bb.28:                               ;   in Loop: Header=BB108_15 Depth=3
	s_or_b32 exec_lo, exec_lo, s20
	s_delay_alu instid0(SALU_CYCLE_1)
	s_and_not1_b32 s19, s19, exec_lo
	s_branch .LBB108_14
.LBB108_29:
	s_or_b32 exec_lo, exec_lo, s2
.LBB108_30:
	s_delay_alu instid0(SALU_CYCLE_1)
	s_and_not1_b32 vcc_lo, exec_lo, s22
	s_cbranch_vccnz .LBB108_51
; %bb.31:
	s_waitcnt lgkmcnt(0)
	s_lshl_b64 s[0:1], s[50:51], 3
	v_sub_co_u32 v3, s4, v0, s47
	s_add_u32 s0, s36, s0
	s_addc_u32 s1, s37, s1
	v_sub_co_ci_u32_e64 v4, null, 0, 0, s4
	s_load_b128 s[0:3], s[0:1], 0x0
	s_waitcnt lgkmcnt(0)
	v_add_co_u32 v3, vcc_lo, s0, v3
	s_delay_alu instid0(VALU_DEP_2)
	v_add_co_ci_u32_e32 v4, vcc_lo, s1, v4, vcc_lo
	s_sub_u32 s0, s2, s47
	s_subb_u32 s1, s3, 0
	s_mov_b32 s2, 0
	s_mov_b32 s3, exec_lo
	v_cmpx_gt_i64_e64 s[0:1], v[3:4]
	s_cbranch_execz .LBB108_50
; %bb.32:
	s_mov_b32 s4, s47
	s_branch .LBB108_34
.LBB108_33:                             ;   in Loop: Header=BB108_34 Depth=1
	s_or_b32 exec_lo, exec_lo, s5
	v_add_co_u32 v3, vcc_lo, 0x400, v3
	v_add_co_ci_u32_e32 v4, vcc_lo, 0, v4, vcc_lo
	s_delay_alu instid0(VALU_DEP_1) | instskip(SKIP_1) | instid1(SALU_CYCLE_1)
	v_cmp_le_i64_e32 vcc_lo, s[0:1], v[3:4]
	s_or_b32 s2, vcc_lo, s2
	s_and_not1_b32 exec_lo, exec_lo, s2
	s_cbranch_execz .LBB108_50
.LBB108_34:                             ; =>This Loop Header: Depth=1
                                        ;     Child Loop BB108_36 Depth 2
                                        ;       Child Loop BB108_42 Depth 3
                                        ;       Child Loop BB108_48 Depth 3
	v_lshlrev_b64 v[5:6], 3, v[3:4]
	s_mov_b32 s5, 0
	s_delay_alu instid0(VALU_DEP_1) | instskip(NEXT) | instid1(VALU_DEP_2)
	v_add_co_u32 v7, vcc_lo, s40, v5
	v_add_co_ci_u32_e32 v8, vcc_lo, s41, v6, vcc_lo
	v_add_co_u32 v5, vcc_lo, s38, v5
	v_add_co_ci_u32_e32 v6, vcc_lo, s39, v6, vcc_lo
	global_load_b64 v[7:8], v[7:8], off
	global_load_b64 v[9:10], v[5:6], off
	s_waitcnt vmcnt(1)
	v_mul_f64 v[5:6], v[1:2], v[7:8]
	s_waitcnt vmcnt(0)
	v_sub_co_u32 v7, vcc_lo, v9, s4
	v_subrev_co_ci_u32_e32 v8, vcc_lo, 0, v10, vcc_lo
	s_delay_alu instid0(VALU_DEP_2) | instskip(NEXT) | instid1(VALU_DEP_1)
	v_mul_lo_u32 v9, 0x89, v7
	v_and_b32_e32 v11, 0x7ff, v9
	s_branch .LBB108_36
.LBB108_35:                             ;   in Loop: Header=BB108_36 Depth=2
	s_or_b32 exec_lo, exec_lo, s6
	s_xor_b32 s6, s7, -1
	s_delay_alu instid0(SALU_CYCLE_1) | instskip(NEXT) | instid1(SALU_CYCLE_1)
	s_and_b32 s6, exec_lo, s6
	s_or_b32 s5, s6, s5
	s_delay_alu instid0(SALU_CYCLE_1)
	s_and_not1_b32 exec_lo, exec_lo, s5
	s_cbranch_execz .LBB108_33
.LBB108_36:                             ;   Parent Loop BB108_34 Depth=1
                                        ; =>  This Loop Header: Depth=2
                                        ;       Child Loop BB108_42 Depth 3
                                        ;       Child Loop BB108_48 Depth 3
	s_delay_alu instid0(VALU_DEP_1)
	v_lshl_add_u32 v12, v11, 3, 0
	s_mov_b32 s6, exec_lo
                                        ; implicit-def: $sgpr7
	ds_load_b64 v[9:10], v12
	s_waitcnt lgkmcnt(0)
	v_cmpx_ne_u64_e64 v[9:10], v[7:8]
	s_xor_b32 s6, exec_lo, s6
	s_cbranch_execz .LBB108_46
; %bb.37:                               ;   in Loop: Header=BB108_36 Depth=2
	s_mov_b32 s8, exec_lo
                                        ; implicit-def: $sgpr7
	v_cmpx_ne_u64_e64 s[48:49], v[9:10]
	s_xor_b32 s8, exec_lo, s8
; %bb.38:                               ;   in Loop: Header=BB108_36 Depth=2
	v_add_nc_u32_e32 v9, 1, v11
	s_mov_b32 s7, -1
                                        ; implicit-def: $vgpr12
	s_delay_alu instid0(VALU_DEP_1)
	v_and_b32_e32 v11, 0x7ff, v9
; %bb.39:                               ;   in Loop: Header=BB108_36 Depth=2
	s_and_not1_saveexec_b32 s8, s8
	s_cbranch_execz .LBB108_45
; %bb.40:                               ;   in Loop: Header=BB108_36 Depth=2
	v_dual_mov_b32 v9, s48 :: v_dual_mov_b32 v10, s49
	s_mov_b32 s10, -1
	s_mov_b32 s9, exec_lo
	ds_cmpstore_rtn_b64 v[9:10], v12, v[7:8], v[9:10]
	s_waitcnt lgkmcnt(0)
	v_cmpx_eq_u64_e64 s[48:49], v[9:10]
	s_cbranch_execz .LBB108_44
; %bb.41:                               ;   in Loop: Header=BB108_36 Depth=2
	ds_load_b64 v[9:10], v12 offset:16384
	s_mov_b32 s10, 0
.LBB108_42:                             ;   Parent Loop BB108_34 Depth=1
                                        ;     Parent Loop BB108_36 Depth=2
                                        ; =>    This Inner Loop Header: Depth=3
	s_waitcnt lgkmcnt(0)
	v_add_f64 v[13:14], v[9:10], v[5:6]
	ds_cmpstore_rtn_b64 v[13:14], v12, v[13:14], v[9:10] offset:16384
	s_waitcnt lgkmcnt(0)
	v_cmp_eq_u64_e32 vcc_lo, v[13:14], v[9:10]
	v_dual_mov_b32 v9, v13 :: v_dual_mov_b32 v10, v14
	s_or_b32 s10, vcc_lo, s10
	s_delay_alu instid0(SALU_CYCLE_1)
	s_and_not1_b32 exec_lo, exec_lo, s10
	s_cbranch_execnz .LBB108_42
; %bb.43:                               ;   in Loop: Header=BB108_36 Depth=2
	s_or_b32 exec_lo, exec_lo, s10
	s_delay_alu instid0(SALU_CYCLE_1)
	s_xor_b32 s10, exec_lo, -1
.LBB108_44:                             ;   in Loop: Header=BB108_36 Depth=2
	s_or_b32 exec_lo, exec_lo, s9
	s_delay_alu instid0(SALU_CYCLE_1) | instskip(SKIP_1) | instid1(SALU_CYCLE_1)
	s_and_not1_b32 s7, s7, exec_lo
	s_and_b32 s9, s10, exec_lo
	s_or_b32 s7, s7, s9
.LBB108_45:                             ;   in Loop: Header=BB108_36 Depth=2
	s_or_b32 exec_lo, exec_lo, s8
	s_delay_alu instid0(SALU_CYCLE_1)
	s_and_b32 s7, s7, exec_lo
                                        ; implicit-def: $vgpr12
.LBB108_46:                             ;   in Loop: Header=BB108_36 Depth=2
	s_and_not1_saveexec_b32 s6, s6
	s_cbranch_execz .LBB108_35
; %bb.47:                               ;   in Loop: Header=BB108_36 Depth=2
	ds_load_b64 v[9:10], v12 offset:16384
	s_mov_b32 s8, 0
.LBB108_48:                             ;   Parent Loop BB108_34 Depth=1
                                        ;     Parent Loop BB108_36 Depth=2
                                        ; =>    This Inner Loop Header: Depth=3
	s_waitcnt lgkmcnt(0)
	v_add_f64 v[13:14], v[9:10], v[5:6]
	ds_cmpstore_rtn_b64 v[13:14], v12, v[13:14], v[9:10] offset:16384
	s_waitcnt lgkmcnt(0)
	v_cmp_eq_u64_e32 vcc_lo, v[13:14], v[9:10]
	v_dual_mov_b32 v9, v13 :: v_dual_mov_b32 v10, v14
	s_or_b32 s8, vcc_lo, s8
	s_delay_alu instid0(SALU_CYCLE_1)
	s_and_not1_b32 exec_lo, exec_lo, s8
	s_cbranch_execnz .LBB108_48
; %bb.49:                               ;   in Loop: Header=BB108_36 Depth=2
	s_or_b32 exec_lo, exec_lo, s8
	s_delay_alu instid0(SALU_CYCLE_1)
	s_and_not1_b32 s7, s7, exec_lo
	s_branch .LBB108_35
.LBB108_50:
	s_or_b32 exec_lo, exec_lo, s3
.LBB108_51:
	v_mbcnt_lo_u32_b32 v1, -1, 0
	v_lshl_add_u32 v12, v21, 3, 0
	v_cmp_eq_u32_e32 vcc_lo, 0x3ff, v0
	v_cmp_lt_u32_e64 s0, 31, v0
	v_cmp_lt_u32_e64 s1, 63, v0
	v_xor_b32_e32 v1, 63, v1
	v_cmp_lt_u32_e64 s2, 0x5f, v0
	v_cmp_lt_u32_e64 s3, 0x7f, v0
	;; [unrolled: 1-line block ×4, first 2 shown]
	v_lshrrev_b64 v[5:6], v1, -1
	v_dual_mov_b32 v6, 0 :: v_dual_mov_b32 v9, 0
	v_cmp_lt_u32_e64 s6, 0xdf, v0
	v_cmp_lt_u32_e64 s7, 0xff, v0
	v_cmp_lt_u32_e64 s8, 0x11f, v0
	v_cmp_lt_u32_e64 s9, 0x13f, v0
	v_cmp_lt_u32_e64 s10, 0x15f, v0
	v_cmp_lt_u32_e64 s11, 0x17f, v0
	v_cmp_lt_u32_e64 s12, 0x19f, v0
	v_cmp_lt_u32_e64 s13, 0x1bf, v0
	v_cmp_lt_u32_e64 s14, 0x1df, v0
	v_cmp_lt_u32_e64 s15, 0x1ff, v0
	v_cmp_lt_u32_e64 s16, 0x21f, v0
	v_cmp_lt_u32_e64 s17, 0x23f, v0
	v_cmp_lt_u32_e64 s18, 0x25f, v0
	v_cmp_lt_u32_e64 s19, 0x27f, v0
	v_cmp_lt_u32_e64 s20, 0x29f, v0
	v_cmp_lt_u32_e64 s21, 0x2bf, v0
	v_cmp_lt_u32_e64 s22, 0x2df, v0
	v_cmp_lt_u32_e64 s23, 0x2ff, v0
	v_cmp_lt_u32_e64 s24, 0x31f, v0
	v_cmp_lt_u32_e64 s25, 0x33f, v0
	v_cmp_lt_u32_e64 s26, 0x35f, v0
	v_cmp_lt_u32_e64 s27, 0x37f, v0
	v_cmp_lt_u32_e64 s28, 0x39f, v0
	v_cmp_lt_u32_e64 s29, 0x3bf, v0
	v_cmp_lt_u32_e64 s30, 0x3df, v0
	v_mov_b32_e32 v7, 0
	s_mov_b32 s33, 0
	s_waitcnt lgkmcnt(0)
	s_barrier
	buffer_gl0_inv
	s_branch .LBB108_53
.LBB108_52:                             ;   in Loop: Header=BB108_53 Depth=1
	s_or_b32 exec_lo, exec_lo, s31
	s_waitcnt lgkmcnt(0)
	s_barrier
	buffer_gl0_inv
	ds_load_b64 v[1:2], v9 offset:33016
	v_add_co_u32 v20, s31, 0x400, v20
	s_delay_alu instid0(VALU_DEP_1) | instskip(SKIP_3) | instid1(VALU_DEP_1)
	s_xor_b32 s36, s31, -1
	v_add_nc_u32_e32 v19, 0x2000, v19
	s_waitcnt lgkmcnt(0)
	v_add_co_u32 v6, s31, v1, v6
	v_add_co_ci_u32_e64 v7, s31, v2, v7, s31
	s_and_b32 s31, exec_lo, s36
	s_delay_alu instid0(SALU_CYCLE_1) | instskip(NEXT) | instid1(SALU_CYCLE_1)
	s_or_b32 s33, s31, s33
	s_and_not1_b32 exec_lo, exec_lo, s33
	s_cbranch_execz .LBB108_119
.LBB108_53:                             ; =>This Inner Loop Header: Depth=1
	ds_load_2addr_stride64_b64 v[1:4], v19 offset1:32
	s_waitcnt lgkmcnt(0)
	s_barrier
	buffer_gl0_inv
	v_cmp_gt_i64_e64 s31, s[48:49], v[1:2]
	s_delay_alu instid0(VALU_DEP_1) | instskip(SKIP_1) | instid1(SALU_CYCLE_1)
	v_and_b32_e32 v10, s31, v5
	s_bcnt1_i32_b32 s36, s31
	v_mov_b32_e32 v8, s36
	s_delay_alu instid0(VALU_DEP_2)
	v_bcnt_u32_b32 v10, v10, 0
	ds_store_b64 v12, v[8:9] offset:32768
	s_waitcnt lgkmcnt(0)
	s_barrier
	buffer_gl0_inv
	s_and_saveexec_b32 s36, s0
	s_cbranch_execnz .LBB108_86
; %bb.54:                               ;   in Loop: Header=BB108_53 Depth=1
	s_or_b32 exec_lo, exec_lo, s36
	s_and_saveexec_b32 s36, s1
	s_cbranch_execnz .LBB108_87
.LBB108_55:                             ;   in Loop: Header=BB108_53 Depth=1
	s_or_b32 exec_lo, exec_lo, s36
	s_and_saveexec_b32 s36, s2
	s_cbranch_execnz .LBB108_88
.LBB108_56:                             ;   in Loop: Header=BB108_53 Depth=1
	s_or_b32 exec_lo, exec_lo, s36
	s_and_saveexec_b32 s36, s3
	s_cbranch_execnz .LBB108_89
.LBB108_57:                             ;   in Loop: Header=BB108_53 Depth=1
	s_or_b32 exec_lo, exec_lo, s36
	s_and_saveexec_b32 s36, s4
	s_cbranch_execnz .LBB108_90
.LBB108_58:                             ;   in Loop: Header=BB108_53 Depth=1
	s_or_b32 exec_lo, exec_lo, s36
	s_and_saveexec_b32 s36, s5
	s_cbranch_execnz .LBB108_91
.LBB108_59:                             ;   in Loop: Header=BB108_53 Depth=1
	s_or_b32 exec_lo, exec_lo, s36
	s_and_saveexec_b32 s36, s6
	s_cbranch_execnz .LBB108_92
.LBB108_60:                             ;   in Loop: Header=BB108_53 Depth=1
	s_or_b32 exec_lo, exec_lo, s36
	s_and_saveexec_b32 s36, s7
	s_cbranch_execnz .LBB108_93
.LBB108_61:                             ;   in Loop: Header=BB108_53 Depth=1
	s_or_b32 exec_lo, exec_lo, s36
	s_and_saveexec_b32 s36, s8
	s_cbranch_execnz .LBB108_94
.LBB108_62:                             ;   in Loop: Header=BB108_53 Depth=1
	s_or_b32 exec_lo, exec_lo, s36
	s_and_saveexec_b32 s36, s9
	s_cbranch_execnz .LBB108_95
.LBB108_63:                             ;   in Loop: Header=BB108_53 Depth=1
	s_or_b32 exec_lo, exec_lo, s36
	s_and_saveexec_b32 s36, s10
	s_cbranch_execnz .LBB108_96
.LBB108_64:                             ;   in Loop: Header=BB108_53 Depth=1
	s_or_b32 exec_lo, exec_lo, s36
	s_and_saveexec_b32 s36, s11
	s_cbranch_execnz .LBB108_97
.LBB108_65:                             ;   in Loop: Header=BB108_53 Depth=1
	s_or_b32 exec_lo, exec_lo, s36
	s_and_saveexec_b32 s36, s12
	s_cbranch_execnz .LBB108_98
.LBB108_66:                             ;   in Loop: Header=BB108_53 Depth=1
	s_or_b32 exec_lo, exec_lo, s36
	s_and_saveexec_b32 s36, s13
	s_cbranch_execnz .LBB108_99
.LBB108_67:                             ;   in Loop: Header=BB108_53 Depth=1
	s_or_b32 exec_lo, exec_lo, s36
	s_and_saveexec_b32 s36, s14
	s_cbranch_execnz .LBB108_100
.LBB108_68:                             ;   in Loop: Header=BB108_53 Depth=1
	s_or_b32 exec_lo, exec_lo, s36
	s_and_saveexec_b32 s36, s15
	s_cbranch_execnz .LBB108_101
.LBB108_69:                             ;   in Loop: Header=BB108_53 Depth=1
	s_or_b32 exec_lo, exec_lo, s36
	s_and_saveexec_b32 s36, s16
	s_cbranch_execnz .LBB108_102
.LBB108_70:                             ;   in Loop: Header=BB108_53 Depth=1
	s_or_b32 exec_lo, exec_lo, s36
	s_and_saveexec_b32 s36, s17
	s_cbranch_execnz .LBB108_103
.LBB108_71:                             ;   in Loop: Header=BB108_53 Depth=1
	s_or_b32 exec_lo, exec_lo, s36
	s_and_saveexec_b32 s36, s18
	s_cbranch_execnz .LBB108_104
.LBB108_72:                             ;   in Loop: Header=BB108_53 Depth=1
	s_or_b32 exec_lo, exec_lo, s36
	s_and_saveexec_b32 s36, s19
	s_cbranch_execnz .LBB108_105
.LBB108_73:                             ;   in Loop: Header=BB108_53 Depth=1
	s_or_b32 exec_lo, exec_lo, s36
	s_and_saveexec_b32 s36, s20
	s_cbranch_execnz .LBB108_106
.LBB108_74:                             ;   in Loop: Header=BB108_53 Depth=1
	s_or_b32 exec_lo, exec_lo, s36
	s_and_saveexec_b32 s36, s21
	s_cbranch_execnz .LBB108_107
.LBB108_75:                             ;   in Loop: Header=BB108_53 Depth=1
	s_or_b32 exec_lo, exec_lo, s36
	s_and_saveexec_b32 s36, s22
	s_cbranch_execnz .LBB108_108
.LBB108_76:                             ;   in Loop: Header=BB108_53 Depth=1
	s_or_b32 exec_lo, exec_lo, s36
	s_and_saveexec_b32 s36, s23
	s_cbranch_execnz .LBB108_109
.LBB108_77:                             ;   in Loop: Header=BB108_53 Depth=1
	s_or_b32 exec_lo, exec_lo, s36
	s_and_saveexec_b32 s36, s24
	s_cbranch_execnz .LBB108_110
.LBB108_78:                             ;   in Loop: Header=BB108_53 Depth=1
	s_or_b32 exec_lo, exec_lo, s36
	s_and_saveexec_b32 s36, s25
	s_cbranch_execnz .LBB108_111
.LBB108_79:                             ;   in Loop: Header=BB108_53 Depth=1
	s_or_b32 exec_lo, exec_lo, s36
	s_and_saveexec_b32 s36, s26
	s_cbranch_execnz .LBB108_112
.LBB108_80:                             ;   in Loop: Header=BB108_53 Depth=1
	s_or_b32 exec_lo, exec_lo, s36
	s_and_saveexec_b32 s36, s27
	s_cbranch_execnz .LBB108_113
.LBB108_81:                             ;   in Loop: Header=BB108_53 Depth=1
	s_or_b32 exec_lo, exec_lo, s36
	s_and_saveexec_b32 s36, s28
	s_cbranch_execnz .LBB108_114
.LBB108_82:                             ;   in Loop: Header=BB108_53 Depth=1
	s_or_b32 exec_lo, exec_lo, s36
	s_and_saveexec_b32 s36, s29
	s_cbranch_execnz .LBB108_115
.LBB108_83:                             ;   in Loop: Header=BB108_53 Depth=1
	s_or_b32 exec_lo, exec_lo, s36
	s_and_saveexec_b32 s36, s30
	s_cbranch_execnz .LBB108_116
.LBB108_84:                             ;   in Loop: Header=BB108_53 Depth=1
	s_or_b32 exec_lo, exec_lo, s36
	v_ashrrev_i32_e32 v11, 31, v10
	s_and_saveexec_b32 s36, s31
	s_cbranch_execnz .LBB108_117
.LBB108_85:                             ;   in Loop: Header=BB108_53 Depth=1
	s_or_b32 exec_lo, exec_lo, s36
	s_and_saveexec_b32 s31, vcc_lo
	s_cbranch_execz .LBB108_52
	s_branch .LBB108_118
.LBB108_86:                             ;   in Loop: Header=BB108_53 Depth=1
	ds_load_b32 v8, v9 offset:32768
	s_waitcnt lgkmcnt(0)
	v_add_nc_u32_e32 v10, v8, v10
	s_or_b32 exec_lo, exec_lo, s36
	s_and_saveexec_b32 s36, s1
	s_cbranch_execz .LBB108_55
.LBB108_87:                             ;   in Loop: Header=BB108_53 Depth=1
	ds_load_b32 v8, v9 offset:32776
	s_waitcnt lgkmcnt(0)
	v_add_nc_u32_e32 v10, v10, v8
	s_or_b32 exec_lo, exec_lo, s36
	s_and_saveexec_b32 s36, s2
	s_cbranch_execz .LBB108_56
.LBB108_88:                             ;   in Loop: Header=BB108_53 Depth=1
	ds_load_b32 v8, v9 offset:32784
	s_waitcnt lgkmcnt(0)
	v_add_nc_u32_e32 v10, v10, v8
	s_or_b32 exec_lo, exec_lo, s36
	s_and_saveexec_b32 s36, s3
	s_cbranch_execz .LBB108_57
.LBB108_89:                             ;   in Loop: Header=BB108_53 Depth=1
	ds_load_b32 v8, v9 offset:32792
	s_waitcnt lgkmcnt(0)
	v_add_nc_u32_e32 v10, v10, v8
	s_or_b32 exec_lo, exec_lo, s36
	s_and_saveexec_b32 s36, s4
	s_cbranch_execz .LBB108_58
.LBB108_90:                             ;   in Loop: Header=BB108_53 Depth=1
	ds_load_b32 v8, v9 offset:32800
	s_waitcnt lgkmcnt(0)
	v_add_nc_u32_e32 v10, v10, v8
	s_or_b32 exec_lo, exec_lo, s36
	s_and_saveexec_b32 s36, s5
	s_cbranch_execz .LBB108_59
.LBB108_91:                             ;   in Loop: Header=BB108_53 Depth=1
	ds_load_b32 v8, v9 offset:32808
	s_waitcnt lgkmcnt(0)
	v_add_nc_u32_e32 v10, v10, v8
	s_or_b32 exec_lo, exec_lo, s36
	s_and_saveexec_b32 s36, s6
	s_cbranch_execz .LBB108_60
.LBB108_92:                             ;   in Loop: Header=BB108_53 Depth=1
	ds_load_b32 v8, v9 offset:32816
	s_waitcnt lgkmcnt(0)
	v_add_nc_u32_e32 v10, v10, v8
	s_or_b32 exec_lo, exec_lo, s36
	s_and_saveexec_b32 s36, s7
	s_cbranch_execz .LBB108_61
.LBB108_93:                             ;   in Loop: Header=BB108_53 Depth=1
	ds_load_b32 v8, v9 offset:32824
	s_waitcnt lgkmcnt(0)
	v_add_nc_u32_e32 v10, v10, v8
	s_or_b32 exec_lo, exec_lo, s36
	s_and_saveexec_b32 s36, s8
	s_cbranch_execz .LBB108_62
.LBB108_94:                             ;   in Loop: Header=BB108_53 Depth=1
	ds_load_b32 v8, v9 offset:32832
	s_waitcnt lgkmcnt(0)
	v_add_nc_u32_e32 v10, v10, v8
	s_or_b32 exec_lo, exec_lo, s36
	s_and_saveexec_b32 s36, s9
	s_cbranch_execz .LBB108_63
.LBB108_95:                             ;   in Loop: Header=BB108_53 Depth=1
	ds_load_b32 v8, v9 offset:32840
	s_waitcnt lgkmcnt(0)
	v_add_nc_u32_e32 v10, v10, v8
	s_or_b32 exec_lo, exec_lo, s36
	s_and_saveexec_b32 s36, s10
	s_cbranch_execz .LBB108_64
.LBB108_96:                             ;   in Loop: Header=BB108_53 Depth=1
	ds_load_b32 v8, v9 offset:32848
	s_waitcnt lgkmcnt(0)
	v_add_nc_u32_e32 v10, v10, v8
	s_or_b32 exec_lo, exec_lo, s36
	s_and_saveexec_b32 s36, s11
	s_cbranch_execz .LBB108_65
.LBB108_97:                             ;   in Loop: Header=BB108_53 Depth=1
	ds_load_b32 v8, v9 offset:32856
	s_waitcnt lgkmcnt(0)
	v_add_nc_u32_e32 v10, v10, v8
	s_or_b32 exec_lo, exec_lo, s36
	s_and_saveexec_b32 s36, s12
	s_cbranch_execz .LBB108_66
.LBB108_98:                             ;   in Loop: Header=BB108_53 Depth=1
	ds_load_b32 v8, v9 offset:32864
	s_waitcnt lgkmcnt(0)
	v_add_nc_u32_e32 v10, v10, v8
	s_or_b32 exec_lo, exec_lo, s36
	s_and_saveexec_b32 s36, s13
	s_cbranch_execz .LBB108_67
.LBB108_99:                             ;   in Loop: Header=BB108_53 Depth=1
	ds_load_b32 v8, v9 offset:32872
	s_waitcnt lgkmcnt(0)
	v_add_nc_u32_e32 v10, v10, v8
	s_or_b32 exec_lo, exec_lo, s36
	s_and_saveexec_b32 s36, s14
	s_cbranch_execz .LBB108_68
.LBB108_100:                            ;   in Loop: Header=BB108_53 Depth=1
	ds_load_b32 v8, v9 offset:32880
	s_waitcnt lgkmcnt(0)
	v_add_nc_u32_e32 v10, v10, v8
	s_or_b32 exec_lo, exec_lo, s36
	s_and_saveexec_b32 s36, s15
	s_cbranch_execz .LBB108_69
.LBB108_101:                            ;   in Loop: Header=BB108_53 Depth=1
	ds_load_b32 v8, v9 offset:32888
	s_waitcnt lgkmcnt(0)
	v_add_nc_u32_e32 v10, v10, v8
	s_or_b32 exec_lo, exec_lo, s36
	s_and_saveexec_b32 s36, s16
	s_cbranch_execz .LBB108_70
.LBB108_102:                            ;   in Loop: Header=BB108_53 Depth=1
	ds_load_b32 v8, v9 offset:32896
	s_waitcnt lgkmcnt(0)
	v_add_nc_u32_e32 v10, v10, v8
	s_or_b32 exec_lo, exec_lo, s36
	s_and_saveexec_b32 s36, s17
	s_cbranch_execz .LBB108_71
.LBB108_103:                            ;   in Loop: Header=BB108_53 Depth=1
	ds_load_b32 v8, v9 offset:32904
	s_waitcnt lgkmcnt(0)
	v_add_nc_u32_e32 v10, v10, v8
	s_or_b32 exec_lo, exec_lo, s36
	s_and_saveexec_b32 s36, s18
	s_cbranch_execz .LBB108_72
.LBB108_104:                            ;   in Loop: Header=BB108_53 Depth=1
	ds_load_b32 v8, v9 offset:32912
	s_waitcnt lgkmcnt(0)
	v_add_nc_u32_e32 v10, v10, v8
	s_or_b32 exec_lo, exec_lo, s36
	s_and_saveexec_b32 s36, s19
	s_cbranch_execz .LBB108_73
.LBB108_105:                            ;   in Loop: Header=BB108_53 Depth=1
	ds_load_b32 v8, v9 offset:32920
	s_waitcnt lgkmcnt(0)
	v_add_nc_u32_e32 v10, v10, v8
	s_or_b32 exec_lo, exec_lo, s36
	s_and_saveexec_b32 s36, s20
	s_cbranch_execz .LBB108_74
.LBB108_106:                            ;   in Loop: Header=BB108_53 Depth=1
	ds_load_b32 v8, v9 offset:32928
	s_waitcnt lgkmcnt(0)
	v_add_nc_u32_e32 v10, v10, v8
	s_or_b32 exec_lo, exec_lo, s36
	s_and_saveexec_b32 s36, s21
	s_cbranch_execz .LBB108_75
.LBB108_107:                            ;   in Loop: Header=BB108_53 Depth=1
	ds_load_b32 v8, v9 offset:32936
	s_waitcnt lgkmcnt(0)
	v_add_nc_u32_e32 v10, v10, v8
	s_or_b32 exec_lo, exec_lo, s36
	s_and_saveexec_b32 s36, s22
	s_cbranch_execz .LBB108_76
.LBB108_108:                            ;   in Loop: Header=BB108_53 Depth=1
	ds_load_b32 v8, v9 offset:32944
	s_waitcnt lgkmcnt(0)
	v_add_nc_u32_e32 v10, v10, v8
	s_or_b32 exec_lo, exec_lo, s36
	s_and_saveexec_b32 s36, s23
	s_cbranch_execz .LBB108_77
.LBB108_109:                            ;   in Loop: Header=BB108_53 Depth=1
	ds_load_b32 v8, v9 offset:32952
	s_waitcnt lgkmcnt(0)
	v_add_nc_u32_e32 v10, v10, v8
	s_or_b32 exec_lo, exec_lo, s36
	s_and_saveexec_b32 s36, s24
	s_cbranch_execz .LBB108_78
.LBB108_110:                            ;   in Loop: Header=BB108_53 Depth=1
	ds_load_b32 v8, v9 offset:32960
	s_waitcnt lgkmcnt(0)
	v_add_nc_u32_e32 v10, v10, v8
	s_or_b32 exec_lo, exec_lo, s36
	s_and_saveexec_b32 s36, s25
	s_cbranch_execz .LBB108_79
.LBB108_111:                            ;   in Loop: Header=BB108_53 Depth=1
	ds_load_b32 v8, v9 offset:32968
	s_waitcnt lgkmcnt(0)
	v_add_nc_u32_e32 v10, v10, v8
	s_or_b32 exec_lo, exec_lo, s36
	s_and_saveexec_b32 s36, s26
	s_cbranch_execz .LBB108_80
.LBB108_112:                            ;   in Loop: Header=BB108_53 Depth=1
	ds_load_b32 v8, v9 offset:32976
	s_waitcnt lgkmcnt(0)
	v_add_nc_u32_e32 v10, v10, v8
	s_or_b32 exec_lo, exec_lo, s36
	s_and_saveexec_b32 s36, s27
	s_cbranch_execz .LBB108_81
.LBB108_113:                            ;   in Loop: Header=BB108_53 Depth=1
	ds_load_b32 v8, v9 offset:32984
	s_waitcnt lgkmcnt(0)
	v_add_nc_u32_e32 v10, v10, v8
	s_or_b32 exec_lo, exec_lo, s36
	s_and_saveexec_b32 s36, s28
	s_cbranch_execz .LBB108_82
.LBB108_114:                            ;   in Loop: Header=BB108_53 Depth=1
	ds_load_b32 v8, v9 offset:32992
	s_waitcnt lgkmcnt(0)
	v_add_nc_u32_e32 v10, v10, v8
	s_or_b32 exec_lo, exec_lo, s36
	s_and_saveexec_b32 s36, s29
	s_cbranch_execz .LBB108_83
.LBB108_115:                            ;   in Loop: Header=BB108_53 Depth=1
	ds_load_b32 v8, v9 offset:33000
	s_waitcnt lgkmcnt(0)
	v_add_nc_u32_e32 v10, v10, v8
	s_or_b32 exec_lo, exec_lo, s36
	s_and_saveexec_b32 s36, s30
	s_cbranch_execz .LBB108_84
.LBB108_116:                            ;   in Loop: Header=BB108_53 Depth=1
	ds_load_b32 v8, v9 offset:33008
	s_waitcnt lgkmcnt(0)
	v_add_nc_u32_e32 v10, v10, v8
	s_or_b32 exec_lo, exec_lo, s36
	s_delay_alu instid0(VALU_DEP_1)
	v_ashrrev_i32_e32 v11, 31, v10
	s_and_saveexec_b32 s36, s31
	s_cbranch_execz .LBB108_85
.LBB108_117:                            ;   in Loop: Header=BB108_53 Depth=1
	v_add3_u32 v8, v6, -1, v10
	s_delay_alu instid0(VALU_DEP_1)
	v_lshl_add_u32 v8, v8, 3, 0
	ds_store_2addr_stride64_b64 v8, v[1:2], v[3:4] offset1:32
	s_or_b32 exec_lo, exec_lo, s36
	s_and_saveexec_b32 s31, vcc_lo
	s_cbranch_execz .LBB108_52
.LBB108_118:                            ;   in Loop: Header=BB108_53 Depth=1
	ds_store_b64 v9, v[10:11] offset:33016
	s_branch .LBB108_52
.LBB108_119:
	s_or_b32 exec_lo, exec_lo, s33
	s_lshl_b64 s[0:1], s[50:51], 3
	v_mov_b32_e32 v1, 0
	s_add_u32 s0, s42, s0
	s_addc_u32 s1, s43, s1
	s_mov_b32 s6, exec_lo
	s_load_b128 s[0:3], s[0:1], 0x0
	s_waitcnt lgkmcnt(0)
	s_sub_u32 s4, s2, s0
	s_subb_u32 s5, s3, s1
	s_delay_alu instid0(SALU_CYCLE_1)
	v_cmpx_gt_i64_e64 s[4:5], v[0:1]
	s_cbranch_execz .LBB108_129
; %bb.120:
	s_sub_u32 s8, s0, s46
	s_subb_u32 s9, s1, 0
	s_and_b32 s6, s4, 7
	s_sub_u32 s0, s0, s2
	s_subb_u32 s1, s1, s3
	s_mov_b32 s7, 0
	v_cmp_lt_u64_e64 s12, s[0:1], -7
	s_and_b32 s2, s4, -8
	s_cmp_lg_u64 s[6:7], 0
	s_mov_b32 s3, s5
	s_cselect_b32 s13, -1, 0
	s_mov_b32 s14, s7
	s_branch .LBB108_122
.LBB108_121:                            ;   in Loop: Header=BB108_122 Depth=1
	v_add_co_u32 v0, vcc_lo, 0x400, v0
	v_add_co_ci_u32_e32 v1, vcc_lo, 0, v1, vcc_lo
	s_waitcnt lgkmcnt(0)
	v_lshlrev_b64 v[2:3], 3, v[6:7]
	s_delay_alu instid0(VALU_DEP_2) | instskip(NEXT) | instid1(VALU_DEP_2)
	v_cmp_le_i64_e32 vcc_lo, s[4:5], v[0:1]
	v_add_co_u32 v2, s0, s34, v2
	s_delay_alu instid0(VALU_DEP_1)
	v_add_co_ci_u32_e64 v3, s0, s35, v3, s0
	s_or_b32 s14, vcc_lo, s14
	global_store_b64 v[2:3], v[4:5], off
	s_and_not1_b32 exec_lo, exec_lo, s14
	s_cbranch_execz .LBB108_129
.LBB108_122:                            ; =>This Loop Header: Depth=1
                                        ;     Child Loop BB108_124 Depth 2
                                        ;     Child Loop BB108_128 Depth 2
	v_lshl_add_u32 v2, v0, 3, 0
	v_dual_mov_b32 v6, s8 :: v_dual_mov_b32 v7, s9
	s_and_not1_b32 vcc_lo, exec_lo, s12
	s_mov_b64 s[0:1], 0
	ds_load_2addr_stride64_b64 v[2:5], v2 offset1:32
	s_cbranch_vccnz .LBB108_126
; %bb.123:                              ;   in Loop: Header=BB108_122 Depth=1
	v_dual_mov_b32 v6, s8 :: v_dual_mov_b32 v7, s9
	s_mov_b64 s[10:11], 0
	s_mov_b32 s1, 0
.LBB108_124:                            ;   Parent Loop BB108_122 Depth=1
                                        ; =>  This Inner Loop Header: Depth=2
	s_delay_alu instid0(SALU_CYCLE_1)
	v_mov_b32_e32 v20, s1
	s_add_u32 s10, s10, 8
	s_addc_u32 s11, s11, 0
	s_add_i32 s1, s1, 64
	s_cmp_eq_u64 s[2:3], s[10:11]
	ds_load_2addr_b64 v[8:11], v20 offset1:1
	ds_load_2addr_b64 v[12:15], v20 offset0:2 offset1:3
	ds_load_2addr_b64 v[16:19], v20 offset0:4 offset1:5
	;; [unrolled: 1-line block ×3, first 2 shown]
	s_waitcnt lgkmcnt(3)
	v_cmp_gt_i64_e32 vcc_lo, v[2:3], v[8:9]
	v_cndmask_b32_e64 v8, 0, 1, vcc_lo
	v_cmp_gt_i64_e32 vcc_lo, v[2:3], v[10:11]
	v_cndmask_b32_e64 v9, 0, 1, vcc_lo
	s_waitcnt lgkmcnt(2)
	v_cmp_gt_i64_e32 vcc_lo, v[2:3], v[12:13]
	v_cndmask_b32_e64 v10, 0, 1, vcc_lo
	v_cmp_gt_i64_e32 vcc_lo, v[2:3], v[14:15]
	v_cndmask_b32_e64 v11, 0, 1, vcc_lo
	s_waitcnt lgkmcnt(1)
	v_cmp_gt_i64_e32 vcc_lo, v[2:3], v[16:17]
	v_cndmask_b32_e64 v12, 0, 1, vcc_lo
	v_add_co_u32 v6, vcc_lo, v6, v8
	v_add_co_ci_u32_e32 v7, vcc_lo, 0, v7, vcc_lo
	v_cmp_gt_i64_e32 vcc_lo, v[2:3], v[18:19]
	s_delay_alu instid0(VALU_DEP_3) | instskip(NEXT) | instid1(VALU_DEP_1)
	v_add_co_u32 v6, s0, v6, v9
	v_add_co_ci_u32_e64 v7, s0, 0, v7, s0
	v_cndmask_b32_e64 v8, 0, 1, vcc_lo
	s_delay_alu instid0(VALU_DEP_3) | instskip(NEXT) | instid1(VALU_DEP_3)
	v_add_co_u32 v6, vcc_lo, v6, v10
	v_add_co_ci_u32_e32 v7, vcc_lo, 0, v7, vcc_lo
	s_waitcnt lgkmcnt(0)
	v_cmp_gt_i64_e32 vcc_lo, v[2:3], v[20:21]
	s_delay_alu instid0(VALU_DEP_3) | instskip(NEXT) | instid1(VALU_DEP_1)
	v_add_co_u32 v6, s0, v6, v11
	v_add_co_ci_u32_e64 v7, s0, 0, v7, s0
	v_cndmask_b32_e64 v9, 0, 1, vcc_lo
	s_delay_alu instid0(VALU_DEP_3) | instskip(NEXT) | instid1(VALU_DEP_3)
	v_add_co_u32 v6, vcc_lo, v6, v12
	v_add_co_ci_u32_e32 v7, vcc_lo, 0, v7, vcc_lo
	v_cmp_gt_i64_e32 vcc_lo, v[2:3], v[22:23]
	s_delay_alu instid0(VALU_DEP_3) | instskip(NEXT) | instid1(VALU_DEP_1)
	v_add_co_u32 v6, s0, v6, v8
	v_add_co_ci_u32_e64 v7, s0, 0, v7, s0
	v_cndmask_b32_e64 v8, 0, 1, vcc_lo
	s_delay_alu instid0(VALU_DEP_3) | instskip(NEXT) | instid1(VALU_DEP_3)
	v_add_co_u32 v6, vcc_lo, v6, v9
	v_add_co_ci_u32_e32 v7, vcc_lo, 0, v7, vcc_lo
	s_delay_alu instid0(VALU_DEP_2) | instskip(NEXT) | instid1(VALU_DEP_2)
	v_add_co_u32 v6, vcc_lo, v6, v8
	v_add_co_ci_u32_e32 v7, vcc_lo, 0, v7, vcc_lo
	s_cbranch_scc0 .LBB108_124
; %bb.125:                              ;   in Loop: Header=BB108_122 Depth=1
	s_mov_b64 s[0:1], s[2:3]
.LBB108_126:                            ;   in Loop: Header=BB108_122 Depth=1
	s_and_not1_b32 vcc_lo, exec_lo, s13
	s_cbranch_vccnz .LBB108_121
; %bb.127:                              ;   in Loop: Header=BB108_122 Depth=1
	s_lshl_b32 s0, s0, 3
	s_delay_alu instid0(SALU_CYCLE_1)
	s_add_i32 s10, s0, 0
	s_mov_b64 s[0:1], s[6:7]
.LBB108_128:                            ;   Parent Loop BB108_122 Depth=1
                                        ; =>  This Inner Loop Header: Depth=2
	v_mov_b32_e32 v8, s10
	s_add_i32 s10, s10, 8
	s_add_u32 s0, s0, -1
	s_addc_u32 s1, s1, -1
	s_delay_alu instid0(SALU_CYCLE_1) | instskip(SKIP_4) | instid1(VALU_DEP_1)
	s_cmp_lg_u64 s[0:1], 0
	ds_load_b64 v[8:9], v8
	s_waitcnt lgkmcnt(0)
	v_cmp_gt_i64_e32 vcc_lo, v[2:3], v[8:9]
	v_cndmask_b32_e64 v8, 0, 1, vcc_lo
	v_add_co_u32 v6, vcc_lo, v6, v8
	v_add_co_ci_u32_e32 v7, vcc_lo, 0, v7, vcc_lo
	s_cbranch_scc1 .LBB108_128
	s_branch .LBB108_121
.LBB108_129:
	s_nop 0
	s_sendmsg sendmsg(MSG_DEALLOC_VGPRS)
	s_endpgm
	.section	.rodata,"a",@progbits
	.p2align	6, 0x0
	.amdhsa_kernel _ZN9rocsparseL41csrgemm_numeric_fill_block_per_row_kernelILj1024ELj32ELj2048ELj137ELj32ElldEEvT5_PKS1_S3_NS_24const_host_device_scalarIT6_EEPKT4_S3_PKS5_S9_S3_SB_S6_S9_S3_SB_S9_S3_PS5_21rocsparse_index_base_SD_SD_SD_bbb
		.amdhsa_group_segment_fixed_size 0
		.amdhsa_private_segment_fixed_size 0
		.amdhsa_kernarg_size 156
		.amdhsa_user_sgpr_count 15
		.amdhsa_user_sgpr_dispatch_ptr 0
		.amdhsa_user_sgpr_queue_ptr 0
		.amdhsa_user_sgpr_kernarg_segment_ptr 1
		.amdhsa_user_sgpr_dispatch_id 0
		.amdhsa_user_sgpr_private_segment_size 0
		.amdhsa_wavefront_size32 1
		.amdhsa_uses_dynamic_stack 0
		.amdhsa_enable_private_segment 0
		.amdhsa_system_sgpr_workgroup_id_x 1
		.amdhsa_system_sgpr_workgroup_id_y 0
		.amdhsa_system_sgpr_workgroup_id_z 0
		.amdhsa_system_sgpr_workgroup_info 0
		.amdhsa_system_vgpr_workitem_id 0
		.amdhsa_next_free_vgpr 28
		.amdhsa_next_free_sgpr 52
		.amdhsa_reserve_vcc 1
		.amdhsa_float_round_mode_32 0
		.amdhsa_float_round_mode_16_64 0
		.amdhsa_float_denorm_mode_32 3
		.amdhsa_float_denorm_mode_16_64 3
		.amdhsa_dx10_clamp 1
		.amdhsa_ieee_mode 1
		.amdhsa_fp16_overflow 0
		.amdhsa_workgroup_processor_mode 1
		.amdhsa_memory_ordered 1
		.amdhsa_forward_progress 0
		.amdhsa_shared_vgpr_count 0
		.amdhsa_exception_fp_ieee_invalid_op 0
		.amdhsa_exception_fp_denorm_src 0
		.amdhsa_exception_fp_ieee_div_zero 0
		.amdhsa_exception_fp_ieee_overflow 0
		.amdhsa_exception_fp_ieee_underflow 0
		.amdhsa_exception_fp_ieee_inexact 0
		.amdhsa_exception_int_div_zero 0
	.end_amdhsa_kernel
	.section	.text._ZN9rocsparseL41csrgemm_numeric_fill_block_per_row_kernelILj1024ELj32ELj2048ELj137ELj32ElldEEvT5_PKS1_S3_NS_24const_host_device_scalarIT6_EEPKT4_S3_PKS5_S9_S3_SB_S6_S9_S3_SB_S9_S3_PS5_21rocsparse_index_base_SD_SD_SD_bbb,"axG",@progbits,_ZN9rocsparseL41csrgemm_numeric_fill_block_per_row_kernelILj1024ELj32ELj2048ELj137ELj32ElldEEvT5_PKS1_S3_NS_24const_host_device_scalarIT6_EEPKT4_S3_PKS5_S9_S3_SB_S6_S9_S3_SB_S9_S3_PS5_21rocsparse_index_base_SD_SD_SD_bbb,comdat
.Lfunc_end108:
	.size	_ZN9rocsparseL41csrgemm_numeric_fill_block_per_row_kernelILj1024ELj32ELj2048ELj137ELj32ElldEEvT5_PKS1_S3_NS_24const_host_device_scalarIT6_EEPKT4_S3_PKS5_S9_S3_SB_S6_S9_S3_SB_S9_S3_PS5_21rocsparse_index_base_SD_SD_SD_bbb, .Lfunc_end108-_ZN9rocsparseL41csrgemm_numeric_fill_block_per_row_kernelILj1024ELj32ELj2048ELj137ELj32ElldEEvT5_PKS1_S3_NS_24const_host_device_scalarIT6_EEPKT4_S3_PKS5_S9_S3_SB_S6_S9_S3_SB_S9_S3_PS5_21rocsparse_index_base_SD_SD_SD_bbb
                                        ; -- End function
	.section	.AMDGPU.csdata,"",@progbits
; Kernel info:
; codeLenInByte = 4504
; NumSgprs: 54
; NumVgprs: 28
; ScratchSize: 0
; MemoryBound: 0
; FloatMode: 240
; IeeeMode: 1
; LDSByteSize: 0 bytes/workgroup (compile time only)
; SGPRBlocks: 6
; VGPRBlocks: 3
; NumSGPRsForWavesPerEU: 54
; NumVGPRsForWavesPerEU: 28
; Occupancy: 16
; WaveLimiterHint : 1
; COMPUTE_PGM_RSRC2:SCRATCH_EN: 0
; COMPUTE_PGM_RSRC2:USER_SGPR: 15
; COMPUTE_PGM_RSRC2:TRAP_HANDLER: 0
; COMPUTE_PGM_RSRC2:TGID_X_EN: 1
; COMPUTE_PGM_RSRC2:TGID_Y_EN: 0
; COMPUTE_PGM_RSRC2:TGID_Z_EN: 0
; COMPUTE_PGM_RSRC2:TIDIG_COMP_CNT: 0
	.section	.text._ZN9rocsparseL41csrgemm_numeric_fill_block_per_row_kernelILj1024ELj32ELj2048ELj137ELj64ElldEEvT5_PKS1_S3_NS_24const_host_device_scalarIT6_EEPKT4_S3_PKS5_S9_S3_SB_S6_S9_S3_SB_S9_S3_PS5_21rocsparse_index_base_SD_SD_SD_bbb,"axG",@progbits,_ZN9rocsparseL41csrgemm_numeric_fill_block_per_row_kernelILj1024ELj32ELj2048ELj137ELj64ElldEEvT5_PKS1_S3_NS_24const_host_device_scalarIT6_EEPKT4_S3_PKS5_S9_S3_SB_S6_S9_S3_SB_S9_S3_PS5_21rocsparse_index_base_SD_SD_SD_bbb,comdat
	.globl	_ZN9rocsparseL41csrgemm_numeric_fill_block_per_row_kernelILj1024ELj32ELj2048ELj137ELj64ElldEEvT5_PKS1_S3_NS_24const_host_device_scalarIT6_EEPKT4_S3_PKS5_S9_S3_SB_S6_S9_S3_SB_S9_S3_PS5_21rocsparse_index_base_SD_SD_SD_bbb ; -- Begin function _ZN9rocsparseL41csrgemm_numeric_fill_block_per_row_kernelILj1024ELj32ELj2048ELj137ELj64ElldEEvT5_PKS1_S3_NS_24const_host_device_scalarIT6_EEPKT4_S3_PKS5_S9_S3_SB_S6_S9_S3_SB_S9_S3_PS5_21rocsparse_index_base_SD_SD_SD_bbb
	.p2align	8
	.type	_ZN9rocsparseL41csrgemm_numeric_fill_block_per_row_kernelILj1024ELj32ELj2048ELj137ELj64ElldEEvT5_PKS1_S3_NS_24const_host_device_scalarIT6_EEPKT4_S3_PKS5_S9_S3_SB_S6_S9_S3_SB_S9_S3_PS5_21rocsparse_index_base_SD_SD_SD_bbb,@function
_ZN9rocsparseL41csrgemm_numeric_fill_block_per_row_kernelILj1024ELj32ELj2048ELj137ELj64ElldEEvT5_PKS1_S3_NS_24const_host_device_scalarIT6_EEPKT4_S3_PKS5_S9_S3_SB_S6_S9_S3_SB_S9_S3_PS5_21rocsparse_index_base_SD_SD_SD_bbb: ; @_ZN9rocsparseL41csrgemm_numeric_fill_block_per_row_kernelILj1024ELj32ELj2048ELj137ELj64ElldEEvT5_PKS1_S3_NS_24const_host_device_scalarIT6_EEPKT4_S3_PKS5_S9_S3_SB_S6_S9_S3_SB_S9_S3_PS5_21rocsparse_index_base_SD_SD_SD_bbb
; %bb.0:
	s_clause 0x3
	s_load_b32 s3, s[0:1], 0x98
	s_load_b64 s[4:5], s[0:1], 0x18
	s_load_b128 s[20:23], s[0:1], 0x88
	s_load_b64 s[36:37], s[0:1], 0x50
	s_mov_b32 s2, s15
	s_waitcnt lgkmcnt(0)
	s_and_b32 s6, 1, s3
	s_bitcmp1_b32 s3, 16
	s_cselect_b32 s39, -1, 0
	s_cmp_eq_u32 s6, 1
	s_cselect_b32 s38, -1, 0
	s_delay_alu instid0(SALU_CYCLE_1)
	s_and_b32 s6, s38, exec_lo
	s_cselect_b32 s7, s5, 0
	s_cselect_b32 s6, s4, 0
	s_xor_b32 s8, s38, -1
	v_dual_mov_b32 v3, s6 :: v_dual_mov_b32 v4, s7
	s_or_b32 s8, s8, s39
	s_delay_alu instid0(SALU_CYCLE_1)
	s_and_b32 vcc_lo, exec_lo, s8
	s_cbranch_vccnz .LBB109_2
; %bb.1:
	v_dual_mov_b32 v1, s4 :: v_dual_mov_b32 v2, s5
	flat_load_b64 v[3:4], v[1:2]
.LBB109_2:
	s_clause 0x4
	s_load_b64 s[34:35], s[0:1], 0x80
	s_load_b256 s[12:19], s[0:1], 0x58
	s_load_b128 s[24:27], s[0:1], 0x40
	s_load_b128 s[28:31], s[0:1], 0x8
	s_load_b256 s[4:11], s[0:1], 0x20
	s_bitcmp1_b32 s3, 8
	s_cselect_b32 s33, -1, 0
	s_delay_alu instid0(SALU_CYCLE_1)
	s_and_b32 s3, s33, exec_lo
	s_cselect_b32 s41, s37, 0
	s_cselect_b32 s40, s36, 0
	s_xor_b32 s3, s33, -1
	v_dual_mov_b32 v1, s40 :: v_dual_mov_b32 v2, s41
	s_or_b32 s3, s3, s39
	s_delay_alu instid0(SALU_CYCLE_1)
	s_and_b32 vcc_lo, exec_lo, s3
	s_cbranch_vccnz .LBB109_4
; %bb.3:
	v_dual_mov_b32 v1, s36 :: v_dual_mov_b32 v2, s37
	flat_load_b64 v[1:2], v[1:2]
.LBB109_4:
	s_load_b64 s[36:37], s[0:1], 0x0
	v_mov_b32_e32 v5, 0
	v_lshl_add_u32 v19, v0, 3, 0
	v_or_b32_e32 v20, 0xfffffc00, v0
	s_mov_b32 s0, 0
	s_delay_alu instid0(VALU_DEP_1)
	v_dual_mov_b32 v9, v19 :: v_dual_mov_b32 v10, v20
	s_waitcnt lgkmcnt(0)
	v_dual_mov_b32 v7, s36 :: v_dual_mov_b32 v8, s37
	v_mov_b32_e32 v6, v5
.LBB109_5:                              ; =>This Inner Loop Header: Depth=1
	s_delay_alu instid0(VALU_DEP_3) | instskip(NEXT) | instid1(VALU_DEP_1)
	v_add_co_u32 v10, s1, 0x400, v10
	s_xor_b32 s1, s1, -1
	ds_store_2addr_stride64_b64 v9, v[7:8], v[5:6] offset1:32
	v_add_nc_u32_e32 v9, 0x2000, v9
	s_and_b32 s1, exec_lo, s1
	s_delay_alu instid0(SALU_CYCLE_1) | instskip(NEXT) | instid1(SALU_CYCLE_1)
	s_or_b32 s0, s1, s0
	s_and_not1_b32 exec_lo, exec_lo, s0
	s_cbranch_execnz .LBB109_5
; %bb.6:
	s_or_b32 exec_lo, exec_lo, s0
	s_waitcnt vmcnt(0) lgkmcnt(0)
	s_barrier
	buffer_gl0_inv
	s_load_b64 s[0:1], s[28:29], 0x0
	s_mov_b32 s3, 0
	s_waitcnt lgkmcnt(0)
	s_lshl_b64 s[0:1], s[0:1], 3
	s_delay_alu instid0(SALU_CYCLE_1) | instskip(SKIP_2) | instid1(SALU_CYCLE_1)
	s_add_u32 s28, s30, s0
	s_addc_u32 s29, s31, s1
	s_lshl_b64 s[0:1], s[2:3], 3
	s_add_u32 s0, s28, s0
	s_addc_u32 s1, s29, s1
	s_and_b32 vcc_lo, exec_lo, s38
	s_load_b64 s[28:29], s[0:1], 0x0
	s_cbranch_vccz .LBB109_30
; %bb.7:
	s_waitcnt lgkmcnt(0)
	s_lshl_b64 s[0:1], s[28:29], 3
	v_lshrrev_b32_e32 v5, 5, v0
	s_add_u32 s0, s4, s0
	s_addc_u32 s1, s5, s1
	s_load_b128 s[0:3], s[0:1], 0x0
	s_delay_alu instid0(VALU_DEP_1) | instskip(NEXT) | instid1(VALU_DEP_1)
	v_sub_co_u32 v5, s4, v5, s20
	v_sub_co_ci_u32_e64 v6, null, 0, 0, s4
	s_waitcnt lgkmcnt(0)
	s_delay_alu instid0(VALU_DEP_2) | instskip(NEXT) | instid1(VALU_DEP_2)
	v_add_co_u32 v5, vcc_lo, s0, v5
	v_add_co_ci_u32_e32 v6, vcc_lo, s1, v6, vcc_lo
	s_sub_u32 s0, s2, s20
	s_subb_u32 s1, s3, 0
	s_mov_b32 s2, exec_lo
	s_delay_alu instid0(VALU_DEP_1)
	v_cmpx_gt_i64_e64 s[0:1], v[5:6]
	s_cbranch_execz .LBB109_29
; %bb.8:
	v_and_b32_e32 v7, 31, v0
	s_mov_b32 s4, s21
	s_delay_alu instid0(VALU_DEP_1) | instskip(NEXT) | instid1(VALU_DEP_1)
	v_sub_co_u32 v21, s3, v7, s21
	v_sub_co_ci_u32_e64 v22, null, 0, 0, s3
	s_mov_b32 s3, 0
	s_branch .LBB109_10
.LBB109_9:                              ;   in Loop: Header=BB109_10 Depth=1
	s_or_b32 exec_lo, exec_lo, s5
	v_add_co_u32 v5, vcc_lo, v5, 32
	v_add_co_ci_u32_e32 v6, vcc_lo, 0, v6, vcc_lo
	s_delay_alu instid0(VALU_DEP_1) | instskip(SKIP_1) | instid1(SALU_CYCLE_1)
	v_cmp_le_i64_e32 vcc_lo, s[0:1], v[5:6]
	s_or_b32 s3, vcc_lo, s3
	s_and_not1_b32 exec_lo, exec_lo, s3
	s_cbranch_execz .LBB109_29
.LBB109_10:                             ; =>This Loop Header: Depth=1
                                        ;     Child Loop BB109_13 Depth 2
                                        ;       Child Loop BB109_15 Depth 3
                                        ;         Child Loop BB109_21 Depth 4
                                        ;         Child Loop BB109_27 Depth 4
	v_lshlrev_b64 v[11:12], 3, v[5:6]
	s_mov_b32 s5, exec_lo
	s_delay_alu instid0(VALU_DEP_1) | instskip(NEXT) | instid1(VALU_DEP_2)
	v_add_co_u32 v7, vcc_lo, s6, v11
	v_add_co_ci_u32_e32 v8, vcc_lo, s7, v12, vcc_lo
	global_load_b64 v[7:8], v[7:8], off
	s_waitcnt vmcnt(0)
	v_sub_co_u32 v7, vcc_lo, v7, s20
	v_subrev_co_ci_u32_e32 v8, vcc_lo, 0, v8, vcc_lo
	s_delay_alu instid0(VALU_DEP_1) | instskip(NEXT) | instid1(VALU_DEP_1)
	v_lshlrev_b64 v[7:8], 3, v[7:8]
	v_add_co_u32 v7, vcc_lo, s10, v7
	s_delay_alu instid0(VALU_DEP_2)
	v_add_co_ci_u32_e32 v8, vcc_lo, s11, v8, vcc_lo
	global_load_b128 v[13:16], v[7:8], off
	s_waitcnt vmcnt(0)
	v_sub_co_u32 v7, vcc_lo, v15, s4
	v_subrev_co_ci_u32_e32 v8, vcc_lo, 0, v16, vcc_lo
	v_add_co_u32 v9, vcc_lo, v13, v21
	v_add_co_ci_u32_e32 v10, vcc_lo, v14, v22, vcc_lo
	s_delay_alu instid0(VALU_DEP_1)
	v_cmpx_lt_i64_e64 v[9:10], v[7:8]
	s_cbranch_execz .LBB109_9
; %bb.11:                               ;   in Loop: Header=BB109_10 Depth=1
	v_add_co_u32 v11, vcc_lo, s8, v11
	v_add_co_ci_u32_e32 v12, vcc_lo, s9, v12, vcc_lo
	s_mov_b32 s21, 0
	global_load_b64 v[11:12], v[11:12], off
	s_waitcnt vmcnt(0)
	v_mul_f64 v[11:12], v[3:4], v[11:12]
	s_branch .LBB109_13
.LBB109_12:                             ;   in Loop: Header=BB109_13 Depth=2
	s_or_b32 exec_lo, exec_lo, s30
	v_add_co_u32 v9, vcc_lo, v9, 32
	v_add_co_ci_u32_e32 v10, vcc_lo, 0, v10, vcc_lo
	s_delay_alu instid0(VALU_DEP_1) | instskip(SKIP_1) | instid1(SALU_CYCLE_1)
	v_cmp_ge_i64_e32 vcc_lo, v[9:10], v[7:8]
	s_or_b32 s21, vcc_lo, s21
	s_and_not1_b32 exec_lo, exec_lo, s21
	s_cbranch_execz .LBB109_9
.LBB109_13:                             ;   Parent Loop BB109_10 Depth=1
                                        ; =>  This Loop Header: Depth=2
                                        ;       Child Loop BB109_15 Depth 3
                                        ;         Child Loop BB109_21 Depth 4
                                        ;         Child Loop BB109_27 Depth 4
	v_lshlrev_b64 v[13:14], 3, v[9:10]
	s_mov_b32 s30, 0
	s_delay_alu instid0(VALU_DEP_1) | instskip(NEXT) | instid1(VALU_DEP_2)
	v_add_co_u32 v15, vcc_lo, s26, v13
	v_add_co_ci_u32_e32 v16, vcc_lo, s27, v14, vcc_lo
	v_add_co_u32 v13, vcc_lo, s24, v13
	v_add_co_ci_u32_e32 v14, vcc_lo, s25, v14, vcc_lo
	global_load_b64 v[15:16], v[15:16], off
	global_load_b64 v[17:18], v[13:14], off
	s_waitcnt vmcnt(1)
	v_mul_f64 v[13:14], v[11:12], v[15:16]
	s_waitcnt vmcnt(0)
	v_sub_co_u32 v15, vcc_lo, v17, s4
	v_subrev_co_ci_u32_e32 v16, vcc_lo, 0, v18, vcc_lo
	s_delay_alu instid0(VALU_DEP_2) | instskip(NEXT) | instid1(VALU_DEP_1)
	v_mul_lo_u32 v17, 0x89, v15
	v_and_b32_e32 v23, 0x7ff, v17
	s_branch .LBB109_15
.LBB109_14:                             ;   in Loop: Header=BB109_15 Depth=3
	s_or_b32 exec_lo, exec_lo, s31
	s_xor_b32 s31, s38, -1
	s_delay_alu instid0(SALU_CYCLE_1) | instskip(NEXT) | instid1(SALU_CYCLE_1)
	s_and_b32 s31, exec_lo, s31
	s_or_b32 s30, s31, s30
	s_delay_alu instid0(SALU_CYCLE_1)
	s_and_not1_b32 exec_lo, exec_lo, s30
	s_cbranch_execz .LBB109_12
.LBB109_15:                             ;   Parent Loop BB109_10 Depth=1
                                        ;     Parent Loop BB109_13 Depth=2
                                        ; =>    This Loop Header: Depth=3
                                        ;         Child Loop BB109_21 Depth 4
                                        ;         Child Loop BB109_27 Depth 4
	s_delay_alu instid0(VALU_DEP_1)
	v_lshl_add_u32 v24, v23, 3, 0
	s_mov_b32 s31, exec_lo
                                        ; implicit-def: $sgpr38
	ds_load_b64 v[17:18], v24
	s_waitcnt lgkmcnt(0)
	v_cmpx_ne_u64_e64 v[17:18], v[15:16]
	s_xor_b32 s31, exec_lo, s31
	s_cbranch_execz .LBB109_25
; %bb.16:                               ;   in Loop: Header=BB109_15 Depth=3
	s_mov_b32 s39, exec_lo
                                        ; implicit-def: $sgpr38
	v_cmpx_ne_u64_e64 s[36:37], v[17:18]
	s_xor_b32 s39, exec_lo, s39
; %bb.17:                               ;   in Loop: Header=BB109_15 Depth=3
	v_add_nc_u32_e32 v17, 1, v23
	s_mov_b32 s38, -1
                                        ; implicit-def: $vgpr24
	s_delay_alu instid0(VALU_DEP_1)
	v_and_b32_e32 v23, 0x7ff, v17
; %bb.18:                               ;   in Loop: Header=BB109_15 Depth=3
	s_and_not1_saveexec_b32 s39, s39
	s_cbranch_execz .LBB109_24
; %bb.19:                               ;   in Loop: Header=BB109_15 Depth=3
	v_dual_mov_b32 v17, s36 :: v_dual_mov_b32 v18, s37
	s_mov_b32 s41, -1
	s_mov_b32 s40, exec_lo
	ds_cmpstore_rtn_b64 v[17:18], v24, v[15:16], v[17:18]
	s_waitcnt lgkmcnt(0)
	v_cmpx_eq_u64_e64 s[36:37], v[17:18]
	s_cbranch_execz .LBB109_23
; %bb.20:                               ;   in Loop: Header=BB109_15 Depth=3
	ds_load_b64 v[17:18], v24 offset:16384
	s_mov_b32 s41, 0
.LBB109_21:                             ;   Parent Loop BB109_10 Depth=1
                                        ;     Parent Loop BB109_13 Depth=2
                                        ;       Parent Loop BB109_15 Depth=3
                                        ; =>      This Inner Loop Header: Depth=4
	s_waitcnt lgkmcnt(0)
	v_add_f64 v[25:26], v[17:18], v[13:14]
	ds_cmpstore_rtn_b64 v[25:26], v24, v[25:26], v[17:18] offset:16384
	s_waitcnt lgkmcnt(0)
	v_cmp_eq_u64_e32 vcc_lo, v[25:26], v[17:18]
	v_dual_mov_b32 v17, v25 :: v_dual_mov_b32 v18, v26
	s_or_b32 s41, vcc_lo, s41
	s_delay_alu instid0(SALU_CYCLE_1)
	s_and_not1_b32 exec_lo, exec_lo, s41
	s_cbranch_execnz .LBB109_21
; %bb.22:                               ;   in Loop: Header=BB109_15 Depth=3
	s_or_b32 exec_lo, exec_lo, s41
	s_delay_alu instid0(SALU_CYCLE_1)
	s_xor_b32 s41, exec_lo, -1
.LBB109_23:                             ;   in Loop: Header=BB109_15 Depth=3
	s_or_b32 exec_lo, exec_lo, s40
	s_delay_alu instid0(SALU_CYCLE_1) | instskip(SKIP_1) | instid1(SALU_CYCLE_1)
	s_and_not1_b32 s38, s38, exec_lo
	s_and_b32 s40, s41, exec_lo
	s_or_b32 s38, s38, s40
.LBB109_24:                             ;   in Loop: Header=BB109_15 Depth=3
	s_or_b32 exec_lo, exec_lo, s39
	s_delay_alu instid0(SALU_CYCLE_1)
	s_and_b32 s38, s38, exec_lo
                                        ; implicit-def: $vgpr24
.LBB109_25:                             ;   in Loop: Header=BB109_15 Depth=3
	s_and_not1_saveexec_b32 s31, s31
	s_cbranch_execz .LBB109_14
; %bb.26:                               ;   in Loop: Header=BB109_15 Depth=3
	ds_load_b64 v[17:18], v24 offset:16384
	s_mov_b32 s39, 0
.LBB109_27:                             ;   Parent Loop BB109_10 Depth=1
                                        ;     Parent Loop BB109_13 Depth=2
                                        ;       Parent Loop BB109_15 Depth=3
                                        ; =>      This Inner Loop Header: Depth=4
	s_waitcnt lgkmcnt(0)
	v_add_f64 v[25:26], v[17:18], v[13:14]
	ds_cmpstore_rtn_b64 v[25:26], v24, v[25:26], v[17:18] offset:16384
	s_waitcnt lgkmcnt(0)
	v_cmp_eq_u64_e32 vcc_lo, v[25:26], v[17:18]
	v_dual_mov_b32 v17, v25 :: v_dual_mov_b32 v18, v26
	s_or_b32 s39, vcc_lo, s39
	s_delay_alu instid0(SALU_CYCLE_1)
	s_and_not1_b32 exec_lo, exec_lo, s39
	s_cbranch_execnz .LBB109_27
; %bb.28:                               ;   in Loop: Header=BB109_15 Depth=3
	s_or_b32 exec_lo, exec_lo, s39
	s_delay_alu instid0(SALU_CYCLE_1)
	s_and_not1_b32 s38, s38, exec_lo
	s_branch .LBB109_14
.LBB109_29:
	s_or_b32 exec_lo, exec_lo, s2
.LBB109_30:
	s_delay_alu instid0(SALU_CYCLE_1)
	s_and_not1_b32 vcc_lo, exec_lo, s33
	s_cbranch_vccnz .LBB109_51
; %bb.31:
	s_waitcnt lgkmcnt(0)
	s_lshl_b64 s[0:1], s[28:29], 3
	v_sub_co_u32 v3, s4, v0, s23
	s_add_u32 s0, s12, s0
	s_addc_u32 s1, s13, s1
	v_sub_co_ci_u32_e64 v4, null, 0, 0, s4
	s_load_b128 s[0:3], s[0:1], 0x0
	s_waitcnt lgkmcnt(0)
	v_add_co_u32 v3, vcc_lo, s0, v3
	s_delay_alu instid0(VALU_DEP_2)
	v_add_co_ci_u32_e32 v4, vcc_lo, s1, v4, vcc_lo
	s_sub_u32 s0, s2, s23
	s_subb_u32 s1, s3, 0
	s_mov_b32 s2, 0
	s_mov_b32 s3, exec_lo
	v_cmpx_gt_i64_e64 s[0:1], v[3:4]
	s_cbranch_execz .LBB109_50
; %bb.32:
	s_mov_b32 s4, s23
	s_branch .LBB109_34
.LBB109_33:                             ;   in Loop: Header=BB109_34 Depth=1
	s_or_b32 exec_lo, exec_lo, s5
	v_add_co_u32 v3, vcc_lo, 0x400, v3
	v_add_co_ci_u32_e32 v4, vcc_lo, 0, v4, vcc_lo
	s_delay_alu instid0(VALU_DEP_1) | instskip(SKIP_1) | instid1(SALU_CYCLE_1)
	v_cmp_le_i64_e32 vcc_lo, s[0:1], v[3:4]
	s_or_b32 s2, vcc_lo, s2
	s_and_not1_b32 exec_lo, exec_lo, s2
	s_cbranch_execz .LBB109_50
.LBB109_34:                             ; =>This Loop Header: Depth=1
                                        ;     Child Loop BB109_36 Depth 2
                                        ;       Child Loop BB109_42 Depth 3
                                        ;       Child Loop BB109_48 Depth 3
	v_lshlrev_b64 v[5:6], 3, v[3:4]
	s_mov_b32 s5, 0
	s_delay_alu instid0(VALU_DEP_1) | instskip(NEXT) | instid1(VALU_DEP_2)
	v_add_co_u32 v7, vcc_lo, s16, v5
	v_add_co_ci_u32_e32 v8, vcc_lo, s17, v6, vcc_lo
	v_add_co_u32 v5, vcc_lo, s14, v5
	v_add_co_ci_u32_e32 v6, vcc_lo, s15, v6, vcc_lo
	global_load_b64 v[7:8], v[7:8], off
	global_load_b64 v[9:10], v[5:6], off
	s_waitcnt vmcnt(1)
	v_mul_f64 v[5:6], v[1:2], v[7:8]
	s_waitcnt vmcnt(0)
	v_sub_co_u32 v7, vcc_lo, v9, s4
	v_subrev_co_ci_u32_e32 v8, vcc_lo, 0, v10, vcc_lo
	s_delay_alu instid0(VALU_DEP_2) | instskip(NEXT) | instid1(VALU_DEP_1)
	v_mul_lo_u32 v9, 0x89, v7
	v_and_b32_e32 v11, 0x7ff, v9
	s_branch .LBB109_36
.LBB109_35:                             ;   in Loop: Header=BB109_36 Depth=2
	s_or_b32 exec_lo, exec_lo, s6
	s_xor_b32 s6, s7, -1
	s_delay_alu instid0(SALU_CYCLE_1) | instskip(NEXT) | instid1(SALU_CYCLE_1)
	s_and_b32 s6, exec_lo, s6
	s_or_b32 s5, s6, s5
	s_delay_alu instid0(SALU_CYCLE_1)
	s_and_not1_b32 exec_lo, exec_lo, s5
	s_cbranch_execz .LBB109_33
.LBB109_36:                             ;   Parent Loop BB109_34 Depth=1
                                        ; =>  This Loop Header: Depth=2
                                        ;       Child Loop BB109_42 Depth 3
                                        ;       Child Loop BB109_48 Depth 3
	s_delay_alu instid0(VALU_DEP_1)
	v_lshl_add_u32 v12, v11, 3, 0
	s_mov_b32 s6, exec_lo
                                        ; implicit-def: $sgpr7
	ds_load_b64 v[9:10], v12
	s_waitcnt lgkmcnt(0)
	v_cmpx_ne_u64_e64 v[9:10], v[7:8]
	s_xor_b32 s6, exec_lo, s6
	s_cbranch_execz .LBB109_46
; %bb.37:                               ;   in Loop: Header=BB109_36 Depth=2
	s_mov_b32 s8, exec_lo
                                        ; implicit-def: $sgpr7
	v_cmpx_ne_u64_e64 s[36:37], v[9:10]
	s_xor_b32 s8, exec_lo, s8
; %bb.38:                               ;   in Loop: Header=BB109_36 Depth=2
	v_add_nc_u32_e32 v9, 1, v11
	s_mov_b32 s7, -1
                                        ; implicit-def: $vgpr12
	s_delay_alu instid0(VALU_DEP_1)
	v_and_b32_e32 v11, 0x7ff, v9
; %bb.39:                               ;   in Loop: Header=BB109_36 Depth=2
	s_and_not1_saveexec_b32 s8, s8
	s_cbranch_execz .LBB109_45
; %bb.40:                               ;   in Loop: Header=BB109_36 Depth=2
	v_dual_mov_b32 v9, s36 :: v_dual_mov_b32 v10, s37
	s_mov_b32 s10, -1
	s_mov_b32 s9, exec_lo
	ds_cmpstore_rtn_b64 v[9:10], v12, v[7:8], v[9:10]
	s_waitcnt lgkmcnt(0)
	v_cmpx_eq_u64_e64 s[36:37], v[9:10]
	s_cbranch_execz .LBB109_44
; %bb.41:                               ;   in Loop: Header=BB109_36 Depth=2
	ds_load_b64 v[9:10], v12 offset:16384
	s_mov_b32 s10, 0
.LBB109_42:                             ;   Parent Loop BB109_34 Depth=1
                                        ;     Parent Loop BB109_36 Depth=2
                                        ; =>    This Inner Loop Header: Depth=3
	s_waitcnt lgkmcnt(0)
	v_add_f64 v[13:14], v[9:10], v[5:6]
	ds_cmpstore_rtn_b64 v[13:14], v12, v[13:14], v[9:10] offset:16384
	s_waitcnt lgkmcnt(0)
	v_cmp_eq_u64_e32 vcc_lo, v[13:14], v[9:10]
	v_dual_mov_b32 v9, v13 :: v_dual_mov_b32 v10, v14
	s_or_b32 s10, vcc_lo, s10
	s_delay_alu instid0(SALU_CYCLE_1)
	s_and_not1_b32 exec_lo, exec_lo, s10
	s_cbranch_execnz .LBB109_42
; %bb.43:                               ;   in Loop: Header=BB109_36 Depth=2
	s_or_b32 exec_lo, exec_lo, s10
	s_delay_alu instid0(SALU_CYCLE_1)
	s_xor_b32 s10, exec_lo, -1
.LBB109_44:                             ;   in Loop: Header=BB109_36 Depth=2
	s_or_b32 exec_lo, exec_lo, s9
	s_delay_alu instid0(SALU_CYCLE_1) | instskip(SKIP_1) | instid1(SALU_CYCLE_1)
	s_and_not1_b32 s7, s7, exec_lo
	s_and_b32 s9, s10, exec_lo
	s_or_b32 s7, s7, s9
.LBB109_45:                             ;   in Loop: Header=BB109_36 Depth=2
	s_or_b32 exec_lo, exec_lo, s8
	s_delay_alu instid0(SALU_CYCLE_1)
	s_and_b32 s7, s7, exec_lo
                                        ; implicit-def: $vgpr12
.LBB109_46:                             ;   in Loop: Header=BB109_36 Depth=2
	s_and_not1_saveexec_b32 s6, s6
	s_cbranch_execz .LBB109_35
; %bb.47:                               ;   in Loop: Header=BB109_36 Depth=2
	ds_load_b64 v[9:10], v12 offset:16384
	s_mov_b32 s8, 0
.LBB109_48:                             ;   Parent Loop BB109_34 Depth=1
                                        ;     Parent Loop BB109_36 Depth=2
                                        ; =>    This Inner Loop Header: Depth=3
	s_waitcnt lgkmcnt(0)
	v_add_f64 v[13:14], v[9:10], v[5:6]
	ds_cmpstore_rtn_b64 v[13:14], v12, v[13:14], v[9:10] offset:16384
	s_waitcnt lgkmcnt(0)
	v_cmp_eq_u64_e32 vcc_lo, v[13:14], v[9:10]
	v_dual_mov_b32 v9, v13 :: v_dual_mov_b32 v10, v14
	s_or_b32 s8, vcc_lo, s8
	s_delay_alu instid0(SALU_CYCLE_1)
	s_and_not1_b32 exec_lo, exec_lo, s8
	s_cbranch_execnz .LBB109_48
; %bb.49:                               ;   in Loop: Header=BB109_36 Depth=2
	s_or_b32 exec_lo, exec_lo, s8
	s_delay_alu instid0(SALU_CYCLE_1)
	s_and_not1_b32 s7, s7, exec_lo
	s_branch .LBB109_35
.LBB109_50:
	s_or_b32 exec_lo, exec_lo, s3
.LBB109_51:
	v_mbcnt_lo_u32_b32 v1, -1, 0
	v_lshrrev_b32_e32 v2, 3, v0
	v_cmp_eq_u32_e32 vcc_lo, 0x3ff, v0
	v_cmp_lt_u32_e64 s0, 63, v0
	v_cmp_lt_u32_e64 s1, 0x7f, v0
	v_xor_b32_e32 v1, 63, v1
	v_and_b32_e32 v2, 0x78, v2
	v_cmp_lt_u32_e64 s2, 0xbf, v0
	v_cmp_lt_u32_e64 s3, 0xff, v0
	;; [unrolled: 1-line block ×3, first 2 shown]
	v_lshrrev_b64 v[5:6], v1, -1
	v_mov_b32_e32 v6, 0
	v_dual_mov_b32 v7, 0 :: v_dual_add_nc_u32 v12, 0, v2
	v_mov_b32_e32 v9, 0
	v_cmp_lt_u32_e64 s5, 0x17f, v0
	v_cmp_lt_u32_e64 s6, 0x1bf, v0
	;; [unrolled: 1-line block ×10, first 2 shown]
	s_mov_b32 s16, 0
	s_waitcnt lgkmcnt(0)
	s_barrier
	buffer_gl0_inv
	s_branch .LBB109_53
.LBB109_52:                             ;   in Loop: Header=BB109_53 Depth=1
	s_or_b32 exec_lo, exec_lo, s15
	s_waitcnt lgkmcnt(0)
	s_barrier
	buffer_gl0_inv
	ds_load_b64 v[1:2], v9 offset:32888
	v_add_co_u32 v20, s15, 0x400, v20
	s_delay_alu instid0(VALU_DEP_1) | instskip(SKIP_3) | instid1(VALU_DEP_1)
	s_xor_b32 s17, s15, -1
	v_add_nc_u32_e32 v19, 0x2000, v19
	s_waitcnt lgkmcnt(0)
	v_add_co_u32 v6, s15, v1, v6
	v_add_co_ci_u32_e64 v7, s15, v2, v7, s15
	s_and_b32 s15, exec_lo, s17
	s_delay_alu instid0(SALU_CYCLE_1) | instskip(NEXT) | instid1(SALU_CYCLE_1)
	s_or_b32 s16, s15, s16
	s_and_not1_b32 exec_lo, exec_lo, s16
	s_cbranch_execz .LBB109_87
.LBB109_53:                             ; =>This Inner Loop Header: Depth=1
	ds_load_2addr_stride64_b64 v[1:4], v19 offset1:32
	s_waitcnt lgkmcnt(0)
	s_barrier
	buffer_gl0_inv
	v_cmp_gt_i64_e64 s15, s[36:37], v[1:2]
	s_delay_alu instid0(VALU_DEP_1) | instskip(SKIP_1) | instid1(SALU_CYCLE_1)
	v_and_b32_e32 v10, s15, v5
	s_bcnt1_i32_b32 s17, s15
	v_mov_b32_e32 v8, s17
	s_delay_alu instid0(VALU_DEP_2)
	v_bcnt_u32_b32 v10, v10, 0
	ds_store_b64 v12, v[8:9] offset:32768
	s_waitcnt lgkmcnt(0)
	s_barrier
	buffer_gl0_inv
	s_and_saveexec_b32 s17, s0
	s_cbranch_execnz .LBB109_70
; %bb.54:                               ;   in Loop: Header=BB109_53 Depth=1
	s_or_b32 exec_lo, exec_lo, s17
	s_and_saveexec_b32 s17, s1
	s_cbranch_execnz .LBB109_71
.LBB109_55:                             ;   in Loop: Header=BB109_53 Depth=1
	s_or_b32 exec_lo, exec_lo, s17
	s_and_saveexec_b32 s17, s2
	s_cbranch_execnz .LBB109_72
.LBB109_56:                             ;   in Loop: Header=BB109_53 Depth=1
	s_or_b32 exec_lo, exec_lo, s17
	s_and_saveexec_b32 s17, s3
	s_cbranch_execnz .LBB109_73
.LBB109_57:                             ;   in Loop: Header=BB109_53 Depth=1
	s_or_b32 exec_lo, exec_lo, s17
	s_and_saveexec_b32 s17, s4
	s_cbranch_execnz .LBB109_74
.LBB109_58:                             ;   in Loop: Header=BB109_53 Depth=1
	s_or_b32 exec_lo, exec_lo, s17
	s_and_saveexec_b32 s17, s5
	s_cbranch_execnz .LBB109_75
.LBB109_59:                             ;   in Loop: Header=BB109_53 Depth=1
	s_or_b32 exec_lo, exec_lo, s17
	s_and_saveexec_b32 s17, s6
	s_cbranch_execnz .LBB109_76
.LBB109_60:                             ;   in Loop: Header=BB109_53 Depth=1
	s_or_b32 exec_lo, exec_lo, s17
	s_and_saveexec_b32 s17, s7
	s_cbranch_execnz .LBB109_77
.LBB109_61:                             ;   in Loop: Header=BB109_53 Depth=1
	s_or_b32 exec_lo, exec_lo, s17
	s_and_saveexec_b32 s17, s8
	s_cbranch_execnz .LBB109_78
.LBB109_62:                             ;   in Loop: Header=BB109_53 Depth=1
	s_or_b32 exec_lo, exec_lo, s17
	s_and_saveexec_b32 s17, s9
	s_cbranch_execnz .LBB109_79
.LBB109_63:                             ;   in Loop: Header=BB109_53 Depth=1
	s_or_b32 exec_lo, exec_lo, s17
	s_and_saveexec_b32 s17, s10
	s_cbranch_execnz .LBB109_80
.LBB109_64:                             ;   in Loop: Header=BB109_53 Depth=1
	s_or_b32 exec_lo, exec_lo, s17
	s_and_saveexec_b32 s17, s11
	s_cbranch_execnz .LBB109_81
.LBB109_65:                             ;   in Loop: Header=BB109_53 Depth=1
	s_or_b32 exec_lo, exec_lo, s17
	s_and_saveexec_b32 s17, s12
	s_cbranch_execnz .LBB109_82
.LBB109_66:                             ;   in Loop: Header=BB109_53 Depth=1
	s_or_b32 exec_lo, exec_lo, s17
	s_and_saveexec_b32 s17, s13
	s_cbranch_execnz .LBB109_83
.LBB109_67:                             ;   in Loop: Header=BB109_53 Depth=1
	s_or_b32 exec_lo, exec_lo, s17
	s_and_saveexec_b32 s17, s14
	s_cbranch_execnz .LBB109_84
.LBB109_68:                             ;   in Loop: Header=BB109_53 Depth=1
	s_or_b32 exec_lo, exec_lo, s17
	v_ashrrev_i32_e32 v11, 31, v10
	s_and_saveexec_b32 s17, s15
	s_cbranch_execnz .LBB109_85
.LBB109_69:                             ;   in Loop: Header=BB109_53 Depth=1
	s_or_b32 exec_lo, exec_lo, s17
	s_and_saveexec_b32 s15, vcc_lo
	s_cbranch_execz .LBB109_52
	s_branch .LBB109_86
.LBB109_70:                             ;   in Loop: Header=BB109_53 Depth=1
	ds_load_b32 v8, v9 offset:32768
	s_waitcnt lgkmcnt(0)
	v_add_nc_u32_e32 v10, v8, v10
	s_or_b32 exec_lo, exec_lo, s17
	s_and_saveexec_b32 s17, s1
	s_cbranch_execz .LBB109_55
.LBB109_71:                             ;   in Loop: Header=BB109_53 Depth=1
	ds_load_b32 v8, v9 offset:32776
	s_waitcnt lgkmcnt(0)
	v_add_nc_u32_e32 v10, v10, v8
	s_or_b32 exec_lo, exec_lo, s17
	s_and_saveexec_b32 s17, s2
	s_cbranch_execz .LBB109_56
.LBB109_72:                             ;   in Loop: Header=BB109_53 Depth=1
	ds_load_b32 v8, v9 offset:32784
	s_waitcnt lgkmcnt(0)
	v_add_nc_u32_e32 v10, v10, v8
	s_or_b32 exec_lo, exec_lo, s17
	s_and_saveexec_b32 s17, s3
	s_cbranch_execz .LBB109_57
.LBB109_73:                             ;   in Loop: Header=BB109_53 Depth=1
	ds_load_b32 v8, v9 offset:32792
	s_waitcnt lgkmcnt(0)
	v_add_nc_u32_e32 v10, v10, v8
	s_or_b32 exec_lo, exec_lo, s17
	s_and_saveexec_b32 s17, s4
	s_cbranch_execz .LBB109_58
.LBB109_74:                             ;   in Loop: Header=BB109_53 Depth=1
	ds_load_b32 v8, v9 offset:32800
	s_waitcnt lgkmcnt(0)
	v_add_nc_u32_e32 v10, v10, v8
	s_or_b32 exec_lo, exec_lo, s17
	s_and_saveexec_b32 s17, s5
	s_cbranch_execz .LBB109_59
.LBB109_75:                             ;   in Loop: Header=BB109_53 Depth=1
	ds_load_b32 v8, v9 offset:32808
	s_waitcnt lgkmcnt(0)
	v_add_nc_u32_e32 v10, v10, v8
	s_or_b32 exec_lo, exec_lo, s17
	s_and_saveexec_b32 s17, s6
	s_cbranch_execz .LBB109_60
.LBB109_76:                             ;   in Loop: Header=BB109_53 Depth=1
	ds_load_b32 v8, v9 offset:32816
	s_waitcnt lgkmcnt(0)
	v_add_nc_u32_e32 v10, v10, v8
	s_or_b32 exec_lo, exec_lo, s17
	s_and_saveexec_b32 s17, s7
	s_cbranch_execz .LBB109_61
.LBB109_77:                             ;   in Loop: Header=BB109_53 Depth=1
	ds_load_b32 v8, v9 offset:32824
	s_waitcnt lgkmcnt(0)
	v_add_nc_u32_e32 v10, v10, v8
	s_or_b32 exec_lo, exec_lo, s17
	s_and_saveexec_b32 s17, s8
	s_cbranch_execz .LBB109_62
.LBB109_78:                             ;   in Loop: Header=BB109_53 Depth=1
	ds_load_b32 v8, v9 offset:32832
	s_waitcnt lgkmcnt(0)
	v_add_nc_u32_e32 v10, v10, v8
	s_or_b32 exec_lo, exec_lo, s17
	s_and_saveexec_b32 s17, s9
	s_cbranch_execz .LBB109_63
.LBB109_79:                             ;   in Loop: Header=BB109_53 Depth=1
	ds_load_b32 v8, v9 offset:32840
	s_waitcnt lgkmcnt(0)
	v_add_nc_u32_e32 v10, v10, v8
	s_or_b32 exec_lo, exec_lo, s17
	s_and_saveexec_b32 s17, s10
	s_cbranch_execz .LBB109_64
.LBB109_80:                             ;   in Loop: Header=BB109_53 Depth=1
	ds_load_b32 v8, v9 offset:32848
	s_waitcnt lgkmcnt(0)
	v_add_nc_u32_e32 v10, v10, v8
	s_or_b32 exec_lo, exec_lo, s17
	s_and_saveexec_b32 s17, s11
	s_cbranch_execz .LBB109_65
.LBB109_81:                             ;   in Loop: Header=BB109_53 Depth=1
	ds_load_b32 v8, v9 offset:32856
	s_waitcnt lgkmcnt(0)
	v_add_nc_u32_e32 v10, v10, v8
	s_or_b32 exec_lo, exec_lo, s17
	s_and_saveexec_b32 s17, s12
	s_cbranch_execz .LBB109_66
.LBB109_82:                             ;   in Loop: Header=BB109_53 Depth=1
	ds_load_b32 v8, v9 offset:32864
	s_waitcnt lgkmcnt(0)
	v_add_nc_u32_e32 v10, v10, v8
	s_or_b32 exec_lo, exec_lo, s17
	s_and_saveexec_b32 s17, s13
	s_cbranch_execz .LBB109_67
.LBB109_83:                             ;   in Loop: Header=BB109_53 Depth=1
	ds_load_b32 v8, v9 offset:32872
	s_waitcnt lgkmcnt(0)
	v_add_nc_u32_e32 v10, v10, v8
	s_or_b32 exec_lo, exec_lo, s17
	s_and_saveexec_b32 s17, s14
	s_cbranch_execz .LBB109_68
.LBB109_84:                             ;   in Loop: Header=BB109_53 Depth=1
	ds_load_b32 v8, v9 offset:32880
	s_waitcnt lgkmcnt(0)
	v_add_nc_u32_e32 v10, v10, v8
	s_or_b32 exec_lo, exec_lo, s17
	s_delay_alu instid0(VALU_DEP_1)
	v_ashrrev_i32_e32 v11, 31, v10
	s_and_saveexec_b32 s17, s15
	s_cbranch_execz .LBB109_69
.LBB109_85:                             ;   in Loop: Header=BB109_53 Depth=1
	v_add3_u32 v8, v6, -1, v10
	s_delay_alu instid0(VALU_DEP_1)
	v_lshl_add_u32 v8, v8, 3, 0
	ds_store_2addr_stride64_b64 v8, v[1:2], v[3:4] offset1:32
	s_or_b32 exec_lo, exec_lo, s17
	s_and_saveexec_b32 s15, vcc_lo
	s_cbranch_execz .LBB109_52
.LBB109_86:                             ;   in Loop: Header=BB109_53 Depth=1
	ds_store_b64 v9, v[10:11] offset:32888
	s_branch .LBB109_52
.LBB109_87:
	s_or_b32 exec_lo, exec_lo, s16
	s_lshl_b64 s[0:1], s[28:29], 3
	v_mov_b32_e32 v1, 0
	s_add_u32 s0, s18, s0
	s_addc_u32 s1, s19, s1
	s_mov_b32 s6, exec_lo
	s_load_b128 s[0:3], s[0:1], 0x0
	s_waitcnt lgkmcnt(0)
	s_sub_u32 s4, s2, s0
	s_subb_u32 s5, s3, s1
	s_delay_alu instid0(SALU_CYCLE_1)
	v_cmpx_gt_i64_e64 s[4:5], v[0:1]
	s_cbranch_execz .LBB109_97
; %bb.88:
	s_sub_u32 s8, s0, s22
	s_subb_u32 s9, s1, 0
	s_and_b32 s6, s4, 7
	s_sub_u32 s0, s0, s2
	s_subb_u32 s1, s1, s3
	s_mov_b32 s7, 0
	v_cmp_lt_u64_e64 s12, s[0:1], -7
	s_and_b32 s2, s4, -8
	s_cmp_lg_u64 s[6:7], 0
	s_mov_b32 s3, s5
	s_cselect_b32 s13, -1, 0
	s_mov_b32 s14, s7
	s_branch .LBB109_90
.LBB109_89:                             ;   in Loop: Header=BB109_90 Depth=1
	v_add_co_u32 v0, vcc_lo, 0x400, v0
	v_add_co_ci_u32_e32 v1, vcc_lo, 0, v1, vcc_lo
	s_waitcnt lgkmcnt(0)
	v_lshlrev_b64 v[2:3], 3, v[6:7]
	s_delay_alu instid0(VALU_DEP_2) | instskip(NEXT) | instid1(VALU_DEP_2)
	v_cmp_le_i64_e32 vcc_lo, s[4:5], v[0:1]
	v_add_co_u32 v2, s0, s34, v2
	s_delay_alu instid0(VALU_DEP_1)
	v_add_co_ci_u32_e64 v3, s0, s35, v3, s0
	s_or_b32 s14, vcc_lo, s14
	global_store_b64 v[2:3], v[4:5], off
	s_and_not1_b32 exec_lo, exec_lo, s14
	s_cbranch_execz .LBB109_97
.LBB109_90:                             ; =>This Loop Header: Depth=1
                                        ;     Child Loop BB109_92 Depth 2
                                        ;     Child Loop BB109_96 Depth 2
	v_lshl_add_u32 v2, v0, 3, 0
	v_dual_mov_b32 v6, s8 :: v_dual_mov_b32 v7, s9
	s_and_not1_b32 vcc_lo, exec_lo, s12
	s_mov_b64 s[0:1], 0
	ds_load_2addr_stride64_b64 v[2:5], v2 offset1:32
	s_cbranch_vccnz .LBB109_94
; %bb.91:                               ;   in Loop: Header=BB109_90 Depth=1
	v_dual_mov_b32 v6, s8 :: v_dual_mov_b32 v7, s9
	s_mov_b64 s[10:11], 0
	s_mov_b32 s1, 0
.LBB109_92:                             ;   Parent Loop BB109_90 Depth=1
                                        ; =>  This Inner Loop Header: Depth=2
	s_delay_alu instid0(SALU_CYCLE_1)
	v_mov_b32_e32 v20, s1
	s_add_u32 s10, s10, 8
	s_addc_u32 s11, s11, 0
	s_add_i32 s1, s1, 64
	s_cmp_eq_u64 s[2:3], s[10:11]
	ds_load_2addr_b64 v[8:11], v20 offset1:1
	ds_load_2addr_b64 v[12:15], v20 offset0:2 offset1:3
	ds_load_2addr_b64 v[16:19], v20 offset0:4 offset1:5
	;; [unrolled: 1-line block ×3, first 2 shown]
	s_waitcnt lgkmcnt(3)
	v_cmp_gt_i64_e32 vcc_lo, v[2:3], v[8:9]
	v_cndmask_b32_e64 v8, 0, 1, vcc_lo
	v_cmp_gt_i64_e32 vcc_lo, v[2:3], v[10:11]
	v_cndmask_b32_e64 v9, 0, 1, vcc_lo
	s_waitcnt lgkmcnt(2)
	v_cmp_gt_i64_e32 vcc_lo, v[2:3], v[12:13]
	v_cndmask_b32_e64 v10, 0, 1, vcc_lo
	v_cmp_gt_i64_e32 vcc_lo, v[2:3], v[14:15]
	v_cndmask_b32_e64 v11, 0, 1, vcc_lo
	s_waitcnt lgkmcnt(1)
	v_cmp_gt_i64_e32 vcc_lo, v[2:3], v[16:17]
	v_cndmask_b32_e64 v12, 0, 1, vcc_lo
	v_add_co_u32 v6, vcc_lo, v6, v8
	v_add_co_ci_u32_e32 v7, vcc_lo, 0, v7, vcc_lo
	v_cmp_gt_i64_e32 vcc_lo, v[2:3], v[18:19]
	s_delay_alu instid0(VALU_DEP_3) | instskip(NEXT) | instid1(VALU_DEP_1)
	v_add_co_u32 v6, s0, v6, v9
	v_add_co_ci_u32_e64 v7, s0, 0, v7, s0
	v_cndmask_b32_e64 v8, 0, 1, vcc_lo
	s_delay_alu instid0(VALU_DEP_3) | instskip(NEXT) | instid1(VALU_DEP_3)
	v_add_co_u32 v6, vcc_lo, v6, v10
	v_add_co_ci_u32_e32 v7, vcc_lo, 0, v7, vcc_lo
	s_waitcnt lgkmcnt(0)
	v_cmp_gt_i64_e32 vcc_lo, v[2:3], v[20:21]
	s_delay_alu instid0(VALU_DEP_3) | instskip(NEXT) | instid1(VALU_DEP_1)
	v_add_co_u32 v6, s0, v6, v11
	v_add_co_ci_u32_e64 v7, s0, 0, v7, s0
	v_cndmask_b32_e64 v9, 0, 1, vcc_lo
	s_delay_alu instid0(VALU_DEP_3) | instskip(NEXT) | instid1(VALU_DEP_3)
	v_add_co_u32 v6, vcc_lo, v6, v12
	v_add_co_ci_u32_e32 v7, vcc_lo, 0, v7, vcc_lo
	v_cmp_gt_i64_e32 vcc_lo, v[2:3], v[22:23]
	s_delay_alu instid0(VALU_DEP_3) | instskip(NEXT) | instid1(VALU_DEP_1)
	v_add_co_u32 v6, s0, v6, v8
	v_add_co_ci_u32_e64 v7, s0, 0, v7, s0
	v_cndmask_b32_e64 v8, 0, 1, vcc_lo
	s_delay_alu instid0(VALU_DEP_3) | instskip(NEXT) | instid1(VALU_DEP_3)
	v_add_co_u32 v6, vcc_lo, v6, v9
	v_add_co_ci_u32_e32 v7, vcc_lo, 0, v7, vcc_lo
	s_delay_alu instid0(VALU_DEP_2) | instskip(NEXT) | instid1(VALU_DEP_2)
	v_add_co_u32 v6, vcc_lo, v6, v8
	v_add_co_ci_u32_e32 v7, vcc_lo, 0, v7, vcc_lo
	s_cbranch_scc0 .LBB109_92
; %bb.93:                               ;   in Loop: Header=BB109_90 Depth=1
	s_mov_b64 s[0:1], s[2:3]
.LBB109_94:                             ;   in Loop: Header=BB109_90 Depth=1
	s_and_not1_b32 vcc_lo, exec_lo, s13
	s_cbranch_vccnz .LBB109_89
; %bb.95:                               ;   in Loop: Header=BB109_90 Depth=1
	s_lshl_b32 s0, s0, 3
	s_delay_alu instid0(SALU_CYCLE_1)
	s_add_i32 s10, s0, 0
	s_mov_b64 s[0:1], s[6:7]
.LBB109_96:                             ;   Parent Loop BB109_90 Depth=1
                                        ; =>  This Inner Loop Header: Depth=2
	v_mov_b32_e32 v8, s10
	s_add_i32 s10, s10, 8
	s_add_u32 s0, s0, -1
	s_addc_u32 s1, s1, -1
	s_delay_alu instid0(SALU_CYCLE_1) | instskip(SKIP_4) | instid1(VALU_DEP_1)
	s_cmp_lg_u64 s[0:1], 0
	ds_load_b64 v[8:9], v8
	s_waitcnt lgkmcnt(0)
	v_cmp_gt_i64_e32 vcc_lo, v[2:3], v[8:9]
	v_cndmask_b32_e64 v8, 0, 1, vcc_lo
	v_add_co_u32 v6, vcc_lo, v6, v8
	v_add_co_ci_u32_e32 v7, vcc_lo, 0, v7, vcc_lo
	s_cbranch_scc1 .LBB109_96
	s_branch .LBB109_89
.LBB109_97:
	s_nop 0
	s_sendmsg sendmsg(MSG_DEALLOC_VGPRS)
	s_endpgm
	.section	.rodata,"a",@progbits
	.p2align	6, 0x0
	.amdhsa_kernel _ZN9rocsparseL41csrgemm_numeric_fill_block_per_row_kernelILj1024ELj32ELj2048ELj137ELj64ElldEEvT5_PKS1_S3_NS_24const_host_device_scalarIT6_EEPKT4_S3_PKS5_S9_S3_SB_S6_S9_S3_SB_S9_S3_PS5_21rocsparse_index_base_SD_SD_SD_bbb
		.amdhsa_group_segment_fixed_size 0
		.amdhsa_private_segment_fixed_size 0
		.amdhsa_kernarg_size 156
		.amdhsa_user_sgpr_count 15
		.amdhsa_user_sgpr_dispatch_ptr 0
		.amdhsa_user_sgpr_queue_ptr 0
		.amdhsa_user_sgpr_kernarg_segment_ptr 1
		.amdhsa_user_sgpr_dispatch_id 0
		.amdhsa_user_sgpr_private_segment_size 0
		.amdhsa_wavefront_size32 1
		.amdhsa_uses_dynamic_stack 0
		.amdhsa_enable_private_segment 0
		.amdhsa_system_sgpr_workgroup_id_x 1
		.amdhsa_system_sgpr_workgroup_id_y 0
		.amdhsa_system_sgpr_workgroup_id_z 0
		.amdhsa_system_sgpr_workgroup_info 0
		.amdhsa_system_vgpr_workitem_id 0
		.amdhsa_next_free_vgpr 27
		.amdhsa_next_free_sgpr 42
		.amdhsa_reserve_vcc 1
		.amdhsa_float_round_mode_32 0
		.amdhsa_float_round_mode_16_64 0
		.amdhsa_float_denorm_mode_32 3
		.amdhsa_float_denorm_mode_16_64 3
		.amdhsa_dx10_clamp 1
		.amdhsa_ieee_mode 1
		.amdhsa_fp16_overflow 0
		.amdhsa_workgroup_processor_mode 1
		.amdhsa_memory_ordered 1
		.amdhsa_forward_progress 0
		.amdhsa_shared_vgpr_count 0
		.amdhsa_exception_fp_ieee_invalid_op 0
		.amdhsa_exception_fp_denorm_src 0
		.amdhsa_exception_fp_ieee_div_zero 0
		.amdhsa_exception_fp_ieee_overflow 0
		.amdhsa_exception_fp_ieee_underflow 0
		.amdhsa_exception_fp_ieee_inexact 0
		.amdhsa_exception_int_div_zero 0
	.end_amdhsa_kernel
	.section	.text._ZN9rocsparseL41csrgemm_numeric_fill_block_per_row_kernelILj1024ELj32ELj2048ELj137ELj64ElldEEvT5_PKS1_S3_NS_24const_host_device_scalarIT6_EEPKT4_S3_PKS5_S9_S3_SB_S6_S9_S3_SB_S9_S3_PS5_21rocsparse_index_base_SD_SD_SD_bbb,"axG",@progbits,_ZN9rocsparseL41csrgemm_numeric_fill_block_per_row_kernelILj1024ELj32ELj2048ELj137ELj64ElldEEvT5_PKS1_S3_NS_24const_host_device_scalarIT6_EEPKT4_S3_PKS5_S9_S3_SB_S6_S9_S3_SB_S9_S3_PS5_21rocsparse_index_base_SD_SD_SD_bbb,comdat
.Lfunc_end109:
	.size	_ZN9rocsparseL41csrgemm_numeric_fill_block_per_row_kernelILj1024ELj32ELj2048ELj137ELj64ElldEEvT5_PKS1_S3_NS_24const_host_device_scalarIT6_EEPKT4_S3_PKS5_S9_S3_SB_S6_S9_S3_SB_S9_S3_PS5_21rocsparse_index_base_SD_SD_SD_bbb, .Lfunc_end109-_ZN9rocsparseL41csrgemm_numeric_fill_block_per_row_kernelILj1024ELj32ELj2048ELj137ELj64ElldEEvT5_PKS1_S3_NS_24const_host_device_scalarIT6_EEPKT4_S3_PKS5_S9_S3_SB_S6_S9_S3_SB_S9_S3_PS5_21rocsparse_index_base_SD_SD_SD_bbb
                                        ; -- End function
	.section	.AMDGPU.csdata,"",@progbits
; Kernel info:
; codeLenInByte = 3684
; NumSgprs: 44
; NumVgprs: 27
; ScratchSize: 0
; MemoryBound: 0
; FloatMode: 240
; IeeeMode: 1
; LDSByteSize: 0 bytes/workgroup (compile time only)
; SGPRBlocks: 5
; VGPRBlocks: 3
; NumSGPRsForWavesPerEU: 44
; NumVGPRsForWavesPerEU: 27
; Occupancy: 16
; WaveLimiterHint : 1
; COMPUTE_PGM_RSRC2:SCRATCH_EN: 0
; COMPUTE_PGM_RSRC2:USER_SGPR: 15
; COMPUTE_PGM_RSRC2:TRAP_HANDLER: 0
; COMPUTE_PGM_RSRC2:TGID_X_EN: 1
; COMPUTE_PGM_RSRC2:TGID_Y_EN: 0
; COMPUTE_PGM_RSRC2:TGID_Z_EN: 0
; COMPUTE_PGM_RSRC2:TIDIG_COMP_CNT: 0
	.section	.text._ZN9rocsparseL41csrgemm_numeric_fill_block_per_row_kernelILj1024ELj64ELj4096ELj137ELj32ElldEEvT5_PKS1_S3_NS_24const_host_device_scalarIT6_EEPKT4_S3_PKS5_S9_S3_SB_S6_S9_S3_SB_S9_S3_PS5_21rocsparse_index_base_SD_SD_SD_bbb,"axG",@progbits,_ZN9rocsparseL41csrgemm_numeric_fill_block_per_row_kernelILj1024ELj64ELj4096ELj137ELj32ElldEEvT5_PKS1_S3_NS_24const_host_device_scalarIT6_EEPKT4_S3_PKS5_S9_S3_SB_S6_S9_S3_SB_S9_S3_PS5_21rocsparse_index_base_SD_SD_SD_bbb,comdat
	.globl	_ZN9rocsparseL41csrgemm_numeric_fill_block_per_row_kernelILj1024ELj64ELj4096ELj137ELj32ElldEEvT5_PKS1_S3_NS_24const_host_device_scalarIT6_EEPKT4_S3_PKS5_S9_S3_SB_S6_S9_S3_SB_S9_S3_PS5_21rocsparse_index_base_SD_SD_SD_bbb ; -- Begin function _ZN9rocsparseL41csrgemm_numeric_fill_block_per_row_kernelILj1024ELj64ELj4096ELj137ELj32ElldEEvT5_PKS1_S3_NS_24const_host_device_scalarIT6_EEPKT4_S3_PKS5_S9_S3_SB_S6_S9_S3_SB_S9_S3_PS5_21rocsparse_index_base_SD_SD_SD_bbb
	.p2align	8
	.type	_ZN9rocsparseL41csrgemm_numeric_fill_block_per_row_kernelILj1024ELj64ELj4096ELj137ELj32ElldEEvT5_PKS1_S3_NS_24const_host_device_scalarIT6_EEPKT4_S3_PKS5_S9_S3_SB_S6_S9_S3_SB_S9_S3_PS5_21rocsparse_index_base_SD_SD_SD_bbb,@function
_ZN9rocsparseL41csrgemm_numeric_fill_block_per_row_kernelILj1024ELj64ELj4096ELj137ELj32ElldEEvT5_PKS1_S3_NS_24const_host_device_scalarIT6_EEPKT4_S3_PKS5_S9_S3_SB_S6_S9_S3_SB_S9_S3_PS5_21rocsparse_index_base_SD_SD_SD_bbb: ; @_ZN9rocsparseL41csrgemm_numeric_fill_block_per_row_kernelILj1024ELj64ELj4096ELj137ELj32ElldEEvT5_PKS1_S3_NS_24const_host_device_scalarIT6_EEPKT4_S3_PKS5_S9_S3_SB_S6_S9_S3_SB_S9_S3_PS5_21rocsparse_index_base_SD_SD_SD_bbb
; %bb.0:
	s_clause 0x3
	s_load_b32 s3, s[0:1], 0x98
	s_load_b64 s[4:5], s[0:1], 0x18
	s_load_b128 s[44:47], s[0:1], 0x88
	s_load_b64 s[20:21], s[0:1], 0x50
	s_mov_b32 s2, s15
	s_waitcnt lgkmcnt(0)
	s_and_b32 s6, 1, s3
	s_bitcmp1_b32 s3, 16
	s_cselect_b32 s24, -1, 0
	s_cmp_eq_u32 s6, 1
	s_cselect_b32 s23, -1, 0
	s_delay_alu instid0(SALU_CYCLE_1)
	s_and_b32 s6, s23, exec_lo
	s_cselect_b32 s7, s5, 0
	s_cselect_b32 s6, s4, 0
	s_xor_b32 s8, s23, -1
	v_dual_mov_b32 v3, s6 :: v_dual_mov_b32 v4, s7
	s_or_b32 s8, s8, s24
	s_delay_alu instid0(SALU_CYCLE_1)
	s_and_b32 vcc_lo, exec_lo, s8
	s_cbranch_vccnz .LBB110_2
; %bb.1:
	v_dual_mov_b32 v1, s4 :: v_dual_mov_b32 v2, s5
	flat_load_b64 v[3:4], v[1:2]
.LBB110_2:
	s_clause 0x4
	s_load_b64 s[34:35], s[0:1], 0x80
	s_load_b256 s[36:43], s[0:1], 0x58
	s_load_b128 s[12:15], s[0:1], 0x40
	s_load_b128 s[16:19], s[0:1], 0x8
	s_load_b256 s[4:11], s[0:1], 0x20
	s_bitcmp1_b32 s3, 8
	s_cselect_b32 s22, -1, 0
	s_delay_alu instid0(SALU_CYCLE_1)
	s_and_b32 s3, s22, exec_lo
	s_cselect_b32 s27, s21, 0
	s_cselect_b32 s26, s20, 0
	s_xor_b32 s3, s22, -1
	v_dual_mov_b32 v1, s26 :: v_dual_mov_b32 v2, s27
	s_or_b32 s3, s3, s24
	s_delay_alu instid0(SALU_CYCLE_1)
	s_and_b32 vcc_lo, exec_lo, s3
	s_cbranch_vccnz .LBB110_4
; %bb.3:
	v_dual_mov_b32 v1, s20 :: v_dual_mov_b32 v2, s21
	flat_load_b64 v[1:2], v[1:2]
.LBB110_4:
	s_load_b64 s[48:49], s[0:1], 0x0
	v_mov_b32_e32 v5, 0
	v_lshl_add_u32 v19, v0, 3, 0
	v_or_b32_e32 v20, 0xfffffc00, v0
	s_mov_b32 s0, 0
	s_delay_alu instid0(VALU_DEP_1)
	v_dual_mov_b32 v9, v19 :: v_dual_mov_b32 v10, v20
	s_waitcnt lgkmcnt(0)
	v_dual_mov_b32 v7, s48 :: v_dual_mov_b32 v8, s49
	v_mov_b32_e32 v6, v5
.LBB110_5:                              ; =>This Inner Loop Header: Depth=1
	s_delay_alu instid0(VALU_DEP_3) | instskip(SKIP_4) | instid1(SALU_CYCLE_1)
	v_add_nc_u32_e32 v10, 0x400, v10
	ds_store_2addr_stride64_b64 v9, v[7:8], v[5:6] offset1:64
	v_add_nc_u32_e32 v9, 0x2000, v9
	v_cmp_lt_u32_e32 vcc_lo, 0xbff, v10
	s_or_b32 s0, vcc_lo, s0
	s_and_not1_b32 exec_lo, exec_lo, s0
	s_cbranch_execnz .LBB110_5
; %bb.6:
	s_or_b32 exec_lo, exec_lo, s0
	s_waitcnt vmcnt(0) lgkmcnt(0)
	s_barrier
	buffer_gl0_inv
	s_load_b64 s[0:1], s[16:17], 0x0
	s_mov_b32 s3, 0
	s_waitcnt lgkmcnt(0)
	s_lshl_b64 s[0:1], s[0:1], 3
	s_delay_alu instid0(SALU_CYCLE_1) | instskip(SKIP_2) | instid1(SALU_CYCLE_1)
	s_add_u32 s16, s18, s0
	s_addc_u32 s17, s19, s1
	s_lshl_b64 s[0:1], s[2:3], 3
	s_add_u32 s0, s16, s0
	s_addc_u32 s1, s17, s1
	s_and_b32 vcc_lo, exec_lo, s23
	s_load_b64 s[50:51], s[0:1], 0x0
	s_cbranch_vccz .LBB110_30
; %bb.7:
	s_waitcnt lgkmcnt(0)
	s_lshl_b64 s[0:1], s[50:51], 3
	v_lshrrev_b32_e32 v5, 6, v0
	s_add_u32 s0, s4, s0
	s_addc_u32 s1, s5, s1
	s_load_b128 s[0:3], s[0:1], 0x0
	s_delay_alu instid0(VALU_DEP_1) | instskip(NEXT) | instid1(VALU_DEP_1)
	v_sub_co_u32 v5, s4, v5, s44
	v_sub_co_ci_u32_e64 v6, null, 0, 0, s4
	s_waitcnt lgkmcnt(0)
	s_delay_alu instid0(VALU_DEP_2) | instskip(NEXT) | instid1(VALU_DEP_2)
	v_add_co_u32 v5, vcc_lo, s0, v5
	v_add_co_ci_u32_e32 v6, vcc_lo, s1, v6, vcc_lo
	s_sub_u32 s0, s2, s44
	s_subb_u32 s1, s3, 0
	s_mov_b32 s2, exec_lo
	s_delay_alu instid0(VALU_DEP_1)
	v_cmpx_gt_i64_e64 s[0:1], v[5:6]
	s_cbranch_execz .LBB110_29
; %bb.8:
	v_and_b32_e32 v7, 63, v0
	s_mov_b32 s4, s45
	s_delay_alu instid0(VALU_DEP_1) | instskip(NEXT) | instid1(VALU_DEP_1)
	v_sub_co_u32 v21, s3, v7, s45
	v_sub_co_ci_u32_e64 v22, null, 0, 0, s3
	s_mov_b32 s3, 0
	s_branch .LBB110_10
.LBB110_9:                              ;   in Loop: Header=BB110_10 Depth=1
	s_or_b32 exec_lo, exec_lo, s5
	v_add_co_u32 v5, vcc_lo, v5, 16
	v_add_co_ci_u32_e32 v6, vcc_lo, 0, v6, vcc_lo
	s_delay_alu instid0(VALU_DEP_1) | instskip(SKIP_1) | instid1(SALU_CYCLE_1)
	v_cmp_le_i64_e32 vcc_lo, s[0:1], v[5:6]
	s_or_b32 s3, vcc_lo, s3
	s_and_not1_b32 exec_lo, exec_lo, s3
	s_cbranch_execz .LBB110_29
.LBB110_10:                             ; =>This Loop Header: Depth=1
                                        ;     Child Loop BB110_13 Depth 2
                                        ;       Child Loop BB110_15 Depth 3
                                        ;         Child Loop BB110_21 Depth 4
                                        ;         Child Loop BB110_27 Depth 4
	v_lshlrev_b64 v[11:12], 3, v[5:6]
	s_mov_b32 s5, exec_lo
	s_delay_alu instid0(VALU_DEP_1) | instskip(NEXT) | instid1(VALU_DEP_2)
	v_add_co_u32 v7, vcc_lo, s6, v11
	v_add_co_ci_u32_e32 v8, vcc_lo, s7, v12, vcc_lo
	global_load_b64 v[7:8], v[7:8], off
	s_waitcnt vmcnt(0)
	v_sub_co_u32 v7, vcc_lo, v7, s44
	v_subrev_co_ci_u32_e32 v8, vcc_lo, 0, v8, vcc_lo
	s_delay_alu instid0(VALU_DEP_1) | instskip(NEXT) | instid1(VALU_DEP_1)
	v_lshlrev_b64 v[7:8], 3, v[7:8]
	v_add_co_u32 v7, vcc_lo, s10, v7
	s_delay_alu instid0(VALU_DEP_2)
	v_add_co_ci_u32_e32 v8, vcc_lo, s11, v8, vcc_lo
	global_load_b128 v[13:16], v[7:8], off
	s_waitcnt vmcnt(0)
	v_sub_co_u32 v7, vcc_lo, v15, s4
	v_subrev_co_ci_u32_e32 v8, vcc_lo, 0, v16, vcc_lo
	v_add_co_u32 v9, vcc_lo, v13, v21
	v_add_co_ci_u32_e32 v10, vcc_lo, v14, v22, vcc_lo
	s_delay_alu instid0(VALU_DEP_1)
	v_cmpx_lt_i64_e64 v[9:10], v[7:8]
	s_cbranch_execz .LBB110_9
; %bb.11:                               ;   in Loop: Header=BB110_10 Depth=1
	v_add_co_u32 v11, vcc_lo, s8, v11
	v_add_co_ci_u32_e32 v12, vcc_lo, s9, v12, vcc_lo
	s_mov_b32 s16, 0
	global_load_b64 v[11:12], v[11:12], off
	s_waitcnt vmcnt(0)
	v_mul_f64 v[11:12], v[3:4], v[11:12]
	s_branch .LBB110_13
.LBB110_12:                             ;   in Loop: Header=BB110_13 Depth=2
	s_or_b32 exec_lo, exec_lo, s17
	v_add_co_u32 v9, vcc_lo, v9, 64
	v_add_co_ci_u32_e32 v10, vcc_lo, 0, v10, vcc_lo
	s_delay_alu instid0(VALU_DEP_1) | instskip(SKIP_1) | instid1(SALU_CYCLE_1)
	v_cmp_ge_i64_e32 vcc_lo, v[9:10], v[7:8]
	s_or_b32 s16, vcc_lo, s16
	s_and_not1_b32 exec_lo, exec_lo, s16
	s_cbranch_execz .LBB110_9
.LBB110_13:                             ;   Parent Loop BB110_10 Depth=1
                                        ; =>  This Loop Header: Depth=2
                                        ;       Child Loop BB110_15 Depth 3
                                        ;         Child Loop BB110_21 Depth 4
                                        ;         Child Loop BB110_27 Depth 4
	v_lshlrev_b64 v[13:14], 3, v[9:10]
	s_mov_b32 s17, 0
	s_delay_alu instid0(VALU_DEP_1) | instskip(NEXT) | instid1(VALU_DEP_2)
	v_add_co_u32 v15, vcc_lo, s14, v13
	v_add_co_ci_u32_e32 v16, vcc_lo, s15, v14, vcc_lo
	v_add_co_u32 v13, vcc_lo, s12, v13
	v_add_co_ci_u32_e32 v14, vcc_lo, s13, v14, vcc_lo
	global_load_b64 v[15:16], v[15:16], off
	global_load_b64 v[17:18], v[13:14], off
	s_waitcnt vmcnt(1)
	v_mul_f64 v[13:14], v[11:12], v[15:16]
	s_waitcnt vmcnt(0)
	v_sub_co_u32 v15, vcc_lo, v17, s4
	v_subrev_co_ci_u32_e32 v16, vcc_lo, 0, v18, vcc_lo
	s_delay_alu instid0(VALU_DEP_2) | instskip(NEXT) | instid1(VALU_DEP_1)
	v_mul_lo_u32 v17, 0x89, v15
	v_and_b32_e32 v23, 0xfff, v17
	s_branch .LBB110_15
.LBB110_14:                             ;   in Loop: Header=BB110_15 Depth=3
	s_or_b32 exec_lo, exec_lo, s18
	s_xor_b32 s18, s19, -1
	s_delay_alu instid0(SALU_CYCLE_1) | instskip(NEXT) | instid1(SALU_CYCLE_1)
	s_and_b32 s18, exec_lo, s18
	s_or_b32 s17, s18, s17
	s_delay_alu instid0(SALU_CYCLE_1)
	s_and_not1_b32 exec_lo, exec_lo, s17
	s_cbranch_execz .LBB110_12
.LBB110_15:                             ;   Parent Loop BB110_10 Depth=1
                                        ;     Parent Loop BB110_13 Depth=2
                                        ; =>    This Loop Header: Depth=3
                                        ;         Child Loop BB110_21 Depth 4
                                        ;         Child Loop BB110_27 Depth 4
	s_delay_alu instid0(VALU_DEP_1)
	v_lshl_add_u32 v24, v23, 3, 0
	s_mov_b32 s18, exec_lo
                                        ; implicit-def: $sgpr19
	ds_load_b64 v[17:18], v24
	s_waitcnt lgkmcnt(0)
	v_cmpx_ne_u64_e64 v[17:18], v[15:16]
	s_xor_b32 s18, exec_lo, s18
	s_cbranch_execz .LBB110_25
; %bb.16:                               ;   in Loop: Header=BB110_15 Depth=3
	s_mov_b32 s20, exec_lo
                                        ; implicit-def: $sgpr19
	v_cmpx_ne_u64_e64 s[48:49], v[17:18]
	s_xor_b32 s20, exec_lo, s20
; %bb.17:                               ;   in Loop: Header=BB110_15 Depth=3
	v_add_nc_u32_e32 v17, 1, v23
	s_mov_b32 s19, -1
                                        ; implicit-def: $vgpr24
	s_delay_alu instid0(VALU_DEP_1)
	v_and_b32_e32 v23, 0xfff, v17
; %bb.18:                               ;   in Loop: Header=BB110_15 Depth=3
	s_and_not1_saveexec_b32 s20, s20
	s_cbranch_execz .LBB110_24
; %bb.19:                               ;   in Loop: Header=BB110_15 Depth=3
	v_dual_mov_b32 v17, s48 :: v_dual_mov_b32 v18, s49
	s_mov_b32 s23, -1
	s_mov_b32 s21, exec_lo
	ds_cmpstore_rtn_b64 v[17:18], v24, v[15:16], v[17:18]
	s_waitcnt lgkmcnt(0)
	v_cmpx_eq_u64_e64 s[48:49], v[17:18]
	s_cbranch_execz .LBB110_23
; %bb.20:                               ;   in Loop: Header=BB110_15 Depth=3
	ds_load_b64 v[17:18], v24 offset:32768
	s_mov_b32 s23, 0
.LBB110_21:                             ;   Parent Loop BB110_10 Depth=1
                                        ;     Parent Loop BB110_13 Depth=2
                                        ;       Parent Loop BB110_15 Depth=3
                                        ; =>      This Inner Loop Header: Depth=4
	s_waitcnt lgkmcnt(0)
	v_add_f64 v[25:26], v[17:18], v[13:14]
	ds_cmpstore_rtn_b64 v[25:26], v24, v[25:26], v[17:18] offset:32768
	s_waitcnt lgkmcnt(0)
	v_cmp_eq_u64_e32 vcc_lo, v[25:26], v[17:18]
	v_dual_mov_b32 v17, v25 :: v_dual_mov_b32 v18, v26
	s_or_b32 s23, vcc_lo, s23
	s_delay_alu instid0(SALU_CYCLE_1)
	s_and_not1_b32 exec_lo, exec_lo, s23
	s_cbranch_execnz .LBB110_21
; %bb.22:                               ;   in Loop: Header=BB110_15 Depth=3
	s_or_b32 exec_lo, exec_lo, s23
	s_delay_alu instid0(SALU_CYCLE_1)
	s_xor_b32 s23, exec_lo, -1
.LBB110_23:                             ;   in Loop: Header=BB110_15 Depth=3
	s_or_b32 exec_lo, exec_lo, s21
	s_delay_alu instid0(SALU_CYCLE_1) | instskip(SKIP_1) | instid1(SALU_CYCLE_1)
	s_and_not1_b32 s19, s19, exec_lo
	s_and_b32 s21, s23, exec_lo
	s_or_b32 s19, s19, s21
.LBB110_24:                             ;   in Loop: Header=BB110_15 Depth=3
	s_or_b32 exec_lo, exec_lo, s20
	s_delay_alu instid0(SALU_CYCLE_1)
	s_and_b32 s19, s19, exec_lo
                                        ; implicit-def: $vgpr24
.LBB110_25:                             ;   in Loop: Header=BB110_15 Depth=3
	s_and_not1_saveexec_b32 s18, s18
	s_cbranch_execz .LBB110_14
; %bb.26:                               ;   in Loop: Header=BB110_15 Depth=3
	ds_load_b64 v[17:18], v24 offset:32768
	s_mov_b32 s20, 0
.LBB110_27:                             ;   Parent Loop BB110_10 Depth=1
                                        ;     Parent Loop BB110_13 Depth=2
                                        ;       Parent Loop BB110_15 Depth=3
                                        ; =>      This Inner Loop Header: Depth=4
	s_waitcnt lgkmcnt(0)
	v_add_f64 v[25:26], v[17:18], v[13:14]
	ds_cmpstore_rtn_b64 v[25:26], v24, v[25:26], v[17:18] offset:32768
	s_waitcnt lgkmcnt(0)
	v_cmp_eq_u64_e32 vcc_lo, v[25:26], v[17:18]
	v_dual_mov_b32 v17, v25 :: v_dual_mov_b32 v18, v26
	s_or_b32 s20, vcc_lo, s20
	s_delay_alu instid0(SALU_CYCLE_1)
	s_and_not1_b32 exec_lo, exec_lo, s20
	s_cbranch_execnz .LBB110_27
; %bb.28:                               ;   in Loop: Header=BB110_15 Depth=3
	s_or_b32 exec_lo, exec_lo, s20
	s_delay_alu instid0(SALU_CYCLE_1)
	s_and_not1_b32 s19, s19, exec_lo
	s_branch .LBB110_14
.LBB110_29:
	s_or_b32 exec_lo, exec_lo, s2
.LBB110_30:
	s_delay_alu instid0(SALU_CYCLE_1)
	s_and_not1_b32 vcc_lo, exec_lo, s22
	s_cbranch_vccnz .LBB110_51
; %bb.31:
	s_waitcnt lgkmcnt(0)
	s_lshl_b64 s[0:1], s[50:51], 3
	v_sub_co_u32 v3, s4, v0, s47
	s_add_u32 s0, s36, s0
	s_addc_u32 s1, s37, s1
	v_sub_co_ci_u32_e64 v4, null, 0, 0, s4
	s_load_b128 s[0:3], s[0:1], 0x0
	s_waitcnt lgkmcnt(0)
	v_add_co_u32 v3, vcc_lo, s0, v3
	s_delay_alu instid0(VALU_DEP_2)
	v_add_co_ci_u32_e32 v4, vcc_lo, s1, v4, vcc_lo
	s_sub_u32 s0, s2, s47
	s_subb_u32 s1, s3, 0
	s_mov_b32 s2, 0
	s_mov_b32 s3, exec_lo
	v_cmpx_gt_i64_e64 s[0:1], v[3:4]
	s_cbranch_execz .LBB110_50
; %bb.32:
	s_mov_b32 s4, s47
	s_branch .LBB110_34
.LBB110_33:                             ;   in Loop: Header=BB110_34 Depth=1
	s_or_b32 exec_lo, exec_lo, s5
	v_add_co_u32 v3, vcc_lo, 0x400, v3
	v_add_co_ci_u32_e32 v4, vcc_lo, 0, v4, vcc_lo
	s_delay_alu instid0(VALU_DEP_1) | instskip(SKIP_1) | instid1(SALU_CYCLE_1)
	v_cmp_le_i64_e32 vcc_lo, s[0:1], v[3:4]
	s_or_b32 s2, vcc_lo, s2
	s_and_not1_b32 exec_lo, exec_lo, s2
	s_cbranch_execz .LBB110_50
.LBB110_34:                             ; =>This Loop Header: Depth=1
                                        ;     Child Loop BB110_36 Depth 2
                                        ;       Child Loop BB110_42 Depth 3
                                        ;       Child Loop BB110_48 Depth 3
	v_lshlrev_b64 v[5:6], 3, v[3:4]
	s_mov_b32 s5, 0
	s_delay_alu instid0(VALU_DEP_1) | instskip(NEXT) | instid1(VALU_DEP_2)
	v_add_co_u32 v7, vcc_lo, s40, v5
	v_add_co_ci_u32_e32 v8, vcc_lo, s41, v6, vcc_lo
	v_add_co_u32 v5, vcc_lo, s38, v5
	v_add_co_ci_u32_e32 v6, vcc_lo, s39, v6, vcc_lo
	global_load_b64 v[7:8], v[7:8], off
	global_load_b64 v[9:10], v[5:6], off
	s_waitcnt vmcnt(1)
	v_mul_f64 v[5:6], v[1:2], v[7:8]
	s_waitcnt vmcnt(0)
	v_sub_co_u32 v7, vcc_lo, v9, s4
	v_subrev_co_ci_u32_e32 v8, vcc_lo, 0, v10, vcc_lo
	s_delay_alu instid0(VALU_DEP_2) | instskip(NEXT) | instid1(VALU_DEP_1)
	v_mul_lo_u32 v9, 0x89, v7
	v_and_b32_e32 v11, 0xfff, v9
	s_branch .LBB110_36
.LBB110_35:                             ;   in Loop: Header=BB110_36 Depth=2
	s_or_b32 exec_lo, exec_lo, s6
	s_xor_b32 s6, s7, -1
	s_delay_alu instid0(SALU_CYCLE_1) | instskip(NEXT) | instid1(SALU_CYCLE_1)
	s_and_b32 s6, exec_lo, s6
	s_or_b32 s5, s6, s5
	s_delay_alu instid0(SALU_CYCLE_1)
	s_and_not1_b32 exec_lo, exec_lo, s5
	s_cbranch_execz .LBB110_33
.LBB110_36:                             ;   Parent Loop BB110_34 Depth=1
                                        ; =>  This Loop Header: Depth=2
                                        ;       Child Loop BB110_42 Depth 3
                                        ;       Child Loop BB110_48 Depth 3
	s_delay_alu instid0(VALU_DEP_1)
	v_lshl_add_u32 v12, v11, 3, 0
	s_mov_b32 s6, exec_lo
                                        ; implicit-def: $sgpr7
	ds_load_b64 v[9:10], v12
	s_waitcnt lgkmcnt(0)
	v_cmpx_ne_u64_e64 v[9:10], v[7:8]
	s_xor_b32 s6, exec_lo, s6
	s_cbranch_execz .LBB110_46
; %bb.37:                               ;   in Loop: Header=BB110_36 Depth=2
	s_mov_b32 s8, exec_lo
                                        ; implicit-def: $sgpr7
	v_cmpx_ne_u64_e64 s[48:49], v[9:10]
	s_xor_b32 s8, exec_lo, s8
; %bb.38:                               ;   in Loop: Header=BB110_36 Depth=2
	v_add_nc_u32_e32 v9, 1, v11
	s_mov_b32 s7, -1
                                        ; implicit-def: $vgpr12
	s_delay_alu instid0(VALU_DEP_1)
	v_and_b32_e32 v11, 0xfff, v9
; %bb.39:                               ;   in Loop: Header=BB110_36 Depth=2
	s_and_not1_saveexec_b32 s8, s8
	s_cbranch_execz .LBB110_45
; %bb.40:                               ;   in Loop: Header=BB110_36 Depth=2
	v_dual_mov_b32 v9, s48 :: v_dual_mov_b32 v10, s49
	s_mov_b32 s10, -1
	s_mov_b32 s9, exec_lo
	ds_cmpstore_rtn_b64 v[9:10], v12, v[7:8], v[9:10]
	s_waitcnt lgkmcnt(0)
	v_cmpx_eq_u64_e64 s[48:49], v[9:10]
	s_cbranch_execz .LBB110_44
; %bb.41:                               ;   in Loop: Header=BB110_36 Depth=2
	ds_load_b64 v[9:10], v12 offset:32768
	s_mov_b32 s10, 0
.LBB110_42:                             ;   Parent Loop BB110_34 Depth=1
                                        ;     Parent Loop BB110_36 Depth=2
                                        ; =>    This Inner Loop Header: Depth=3
	s_waitcnt lgkmcnt(0)
	v_add_f64 v[13:14], v[9:10], v[5:6]
	ds_cmpstore_rtn_b64 v[13:14], v12, v[13:14], v[9:10] offset:32768
	s_waitcnt lgkmcnt(0)
	v_cmp_eq_u64_e32 vcc_lo, v[13:14], v[9:10]
	v_dual_mov_b32 v9, v13 :: v_dual_mov_b32 v10, v14
	s_or_b32 s10, vcc_lo, s10
	s_delay_alu instid0(SALU_CYCLE_1)
	s_and_not1_b32 exec_lo, exec_lo, s10
	s_cbranch_execnz .LBB110_42
; %bb.43:                               ;   in Loop: Header=BB110_36 Depth=2
	s_or_b32 exec_lo, exec_lo, s10
	s_delay_alu instid0(SALU_CYCLE_1)
	s_xor_b32 s10, exec_lo, -1
.LBB110_44:                             ;   in Loop: Header=BB110_36 Depth=2
	s_or_b32 exec_lo, exec_lo, s9
	s_delay_alu instid0(SALU_CYCLE_1) | instskip(SKIP_1) | instid1(SALU_CYCLE_1)
	s_and_not1_b32 s7, s7, exec_lo
	s_and_b32 s9, s10, exec_lo
	s_or_b32 s7, s7, s9
.LBB110_45:                             ;   in Loop: Header=BB110_36 Depth=2
	s_or_b32 exec_lo, exec_lo, s8
	s_delay_alu instid0(SALU_CYCLE_1)
	s_and_b32 s7, s7, exec_lo
                                        ; implicit-def: $vgpr12
.LBB110_46:                             ;   in Loop: Header=BB110_36 Depth=2
	s_and_not1_saveexec_b32 s6, s6
	s_cbranch_execz .LBB110_35
; %bb.47:                               ;   in Loop: Header=BB110_36 Depth=2
	ds_load_b64 v[9:10], v12 offset:32768
	s_mov_b32 s8, 0
.LBB110_48:                             ;   Parent Loop BB110_34 Depth=1
                                        ;     Parent Loop BB110_36 Depth=2
                                        ; =>    This Inner Loop Header: Depth=3
	s_waitcnt lgkmcnt(0)
	v_add_f64 v[13:14], v[9:10], v[5:6]
	ds_cmpstore_rtn_b64 v[13:14], v12, v[13:14], v[9:10] offset:32768
	s_waitcnt lgkmcnt(0)
	v_cmp_eq_u64_e32 vcc_lo, v[13:14], v[9:10]
	v_dual_mov_b32 v9, v13 :: v_dual_mov_b32 v10, v14
	s_or_b32 s8, vcc_lo, s8
	s_delay_alu instid0(SALU_CYCLE_1)
	s_and_not1_b32 exec_lo, exec_lo, s8
	s_cbranch_execnz .LBB110_48
; %bb.49:                               ;   in Loop: Header=BB110_36 Depth=2
	s_or_b32 exec_lo, exec_lo, s8
	s_delay_alu instid0(SALU_CYCLE_1)
	s_and_not1_b32 s7, s7, exec_lo
	s_branch .LBB110_35
.LBB110_50:
	s_or_b32 exec_lo, exec_lo, s3
.LBB110_51:
	v_mbcnt_lo_u32_b32 v1, -1, 0
	v_lshrrev_b32_e32 v2, 2, v0
	s_add_i32 s71, 0, 0x100f8
	v_cmp_eq_u32_e32 vcc_lo, 0x3ff, v0
	v_cmp_lt_u32_e64 s0, 31, v0
	v_xor_b32_e32 v1, 63, v1
	v_and_b32_e32 v2, 0xf8, v2
	v_cmp_lt_u32_e64 s1, 63, v0
	v_cmp_lt_u32_e64 s2, 0x5f, v0
	;; [unrolled: 1-line block ×3, first 2 shown]
	v_lshrrev_b64 v[5:6], v1, -1
	v_dual_mov_b32 v6, 0 :: v_dual_mov_b32 v9, 0
	v_cmp_lt_u32_e64 s4, 0x9f, v0
	v_cmp_lt_u32_e64 s5, 0xbf, v0
	;; [unrolled: 1-line block ×27, first 2 shown]
	v_mov_b32_e32 v7, 0
	v_add3_u32 v12, 0, 0x10000, v2
	v_mov_b32_e32 v13, s71
	s_mov_b32 s36, 0
	s_add_i32 s37, 0, 0x10000
	s_add_i32 s38, 0, 0x10008
	;; [unrolled: 1-line block ×31, first 2 shown]
	s_waitcnt lgkmcnt(0)
	s_barrier
	buffer_gl0_inv
	s_branch .LBB110_53
.LBB110_52:                             ;   in Loop: Header=BB110_53 Depth=1
	s_or_b32 exec_lo, exec_lo, s31
	s_waitcnt lgkmcnt(0)
	s_barrier
	buffer_gl0_inv
	ds_load_b64 v[1:2], v13
	v_add_nc_u32_e32 v20, 0x400, v20
	v_add_nc_u32_e32 v19, 0x2000, v19
	s_delay_alu instid0(VALU_DEP_2) | instskip(NEXT) | instid1(VALU_DEP_1)
	v_cmp_lt_u32_e64 s31, 0xbff, v20
	s_or_b32 s36, s31, s36
	s_waitcnt lgkmcnt(0)
	v_add_co_u32 v6, s33, v1, v6
	s_delay_alu instid0(VALU_DEP_1)
	v_add_co_ci_u32_e64 v7, s33, v2, v7, s33
	s_and_not1_b32 exec_lo, exec_lo, s36
	s_cbranch_execz .LBB110_119
.LBB110_53:                             ; =>This Inner Loop Header: Depth=1
	ds_load_2addr_stride64_b64 v[1:4], v19 offset1:64
	s_waitcnt lgkmcnt(0)
	s_barrier
	buffer_gl0_inv
	v_cmp_gt_i64_e64 s31, s[48:49], v[1:2]
	s_delay_alu instid0(VALU_DEP_1) | instskip(SKIP_1) | instid1(SALU_CYCLE_1)
	v_and_b32_e32 v10, s31, v5
	s_bcnt1_i32_b32 s33, s31
	v_mov_b32_e32 v8, s33
	s_delay_alu instid0(VALU_DEP_2)
	v_bcnt_u32_b32 v10, v10, 0
	ds_store_b64 v12, v[8:9]
	s_waitcnt lgkmcnt(0)
	s_barrier
	buffer_gl0_inv
	s_and_saveexec_b32 s33, s0
	s_cbranch_execnz .LBB110_86
; %bb.54:                               ;   in Loop: Header=BB110_53 Depth=1
	s_or_b32 exec_lo, exec_lo, s33
	s_and_saveexec_b32 s33, s1
	s_cbranch_execnz .LBB110_87
.LBB110_55:                             ;   in Loop: Header=BB110_53 Depth=1
	s_or_b32 exec_lo, exec_lo, s33
	s_and_saveexec_b32 s33, s2
	s_cbranch_execnz .LBB110_88
.LBB110_56:                             ;   in Loop: Header=BB110_53 Depth=1
	s_or_b32 exec_lo, exec_lo, s33
	s_and_saveexec_b32 s33, s3
	s_cbranch_execnz .LBB110_89
.LBB110_57:                             ;   in Loop: Header=BB110_53 Depth=1
	s_or_b32 exec_lo, exec_lo, s33
	s_and_saveexec_b32 s33, s4
	s_cbranch_execnz .LBB110_90
.LBB110_58:                             ;   in Loop: Header=BB110_53 Depth=1
	s_or_b32 exec_lo, exec_lo, s33
	s_and_saveexec_b32 s33, s5
	s_cbranch_execnz .LBB110_91
.LBB110_59:                             ;   in Loop: Header=BB110_53 Depth=1
	s_or_b32 exec_lo, exec_lo, s33
	s_and_saveexec_b32 s33, s6
	s_cbranch_execnz .LBB110_92
.LBB110_60:                             ;   in Loop: Header=BB110_53 Depth=1
	s_or_b32 exec_lo, exec_lo, s33
	s_and_saveexec_b32 s33, s7
	s_cbranch_execnz .LBB110_93
.LBB110_61:                             ;   in Loop: Header=BB110_53 Depth=1
	s_or_b32 exec_lo, exec_lo, s33
	s_and_saveexec_b32 s33, s8
	s_cbranch_execnz .LBB110_94
.LBB110_62:                             ;   in Loop: Header=BB110_53 Depth=1
	s_or_b32 exec_lo, exec_lo, s33
	s_and_saveexec_b32 s33, s9
	s_cbranch_execnz .LBB110_95
.LBB110_63:                             ;   in Loop: Header=BB110_53 Depth=1
	s_or_b32 exec_lo, exec_lo, s33
	s_and_saveexec_b32 s33, s10
	s_cbranch_execnz .LBB110_96
.LBB110_64:                             ;   in Loop: Header=BB110_53 Depth=1
	s_or_b32 exec_lo, exec_lo, s33
	s_and_saveexec_b32 s33, s11
	s_cbranch_execnz .LBB110_97
.LBB110_65:                             ;   in Loop: Header=BB110_53 Depth=1
	s_or_b32 exec_lo, exec_lo, s33
	s_and_saveexec_b32 s33, s12
	s_cbranch_execnz .LBB110_98
.LBB110_66:                             ;   in Loop: Header=BB110_53 Depth=1
	s_or_b32 exec_lo, exec_lo, s33
	s_and_saveexec_b32 s33, s13
	s_cbranch_execnz .LBB110_99
.LBB110_67:                             ;   in Loop: Header=BB110_53 Depth=1
	s_or_b32 exec_lo, exec_lo, s33
	s_and_saveexec_b32 s33, s14
	s_cbranch_execnz .LBB110_100
.LBB110_68:                             ;   in Loop: Header=BB110_53 Depth=1
	s_or_b32 exec_lo, exec_lo, s33
	s_and_saveexec_b32 s33, s15
	s_cbranch_execnz .LBB110_101
.LBB110_69:                             ;   in Loop: Header=BB110_53 Depth=1
	s_or_b32 exec_lo, exec_lo, s33
	s_and_saveexec_b32 s33, s16
	s_cbranch_execnz .LBB110_102
.LBB110_70:                             ;   in Loop: Header=BB110_53 Depth=1
	s_or_b32 exec_lo, exec_lo, s33
	s_and_saveexec_b32 s33, s17
	s_cbranch_execnz .LBB110_103
.LBB110_71:                             ;   in Loop: Header=BB110_53 Depth=1
	s_or_b32 exec_lo, exec_lo, s33
	s_and_saveexec_b32 s33, s18
	s_cbranch_execnz .LBB110_104
.LBB110_72:                             ;   in Loop: Header=BB110_53 Depth=1
	s_or_b32 exec_lo, exec_lo, s33
	s_and_saveexec_b32 s33, s19
	s_cbranch_execnz .LBB110_105
.LBB110_73:                             ;   in Loop: Header=BB110_53 Depth=1
	s_or_b32 exec_lo, exec_lo, s33
	s_and_saveexec_b32 s33, s20
	s_cbranch_execnz .LBB110_106
.LBB110_74:                             ;   in Loop: Header=BB110_53 Depth=1
	s_or_b32 exec_lo, exec_lo, s33
	s_and_saveexec_b32 s33, s21
	s_cbranch_execnz .LBB110_107
.LBB110_75:                             ;   in Loop: Header=BB110_53 Depth=1
	s_or_b32 exec_lo, exec_lo, s33
	s_and_saveexec_b32 s33, s22
	s_cbranch_execnz .LBB110_108
.LBB110_76:                             ;   in Loop: Header=BB110_53 Depth=1
	s_or_b32 exec_lo, exec_lo, s33
	s_and_saveexec_b32 s33, s23
	s_cbranch_execnz .LBB110_109
.LBB110_77:                             ;   in Loop: Header=BB110_53 Depth=1
	s_or_b32 exec_lo, exec_lo, s33
	s_and_saveexec_b32 s33, s24
	s_cbranch_execnz .LBB110_110
.LBB110_78:                             ;   in Loop: Header=BB110_53 Depth=1
	s_or_b32 exec_lo, exec_lo, s33
	s_and_saveexec_b32 s33, s25
	s_cbranch_execnz .LBB110_111
.LBB110_79:                             ;   in Loop: Header=BB110_53 Depth=1
	s_or_b32 exec_lo, exec_lo, s33
	s_and_saveexec_b32 s33, s26
	s_cbranch_execnz .LBB110_112
.LBB110_80:                             ;   in Loop: Header=BB110_53 Depth=1
	s_or_b32 exec_lo, exec_lo, s33
	s_and_saveexec_b32 s33, s27
	s_cbranch_execnz .LBB110_113
.LBB110_81:                             ;   in Loop: Header=BB110_53 Depth=1
	s_or_b32 exec_lo, exec_lo, s33
	s_and_saveexec_b32 s33, s28
	s_cbranch_execnz .LBB110_114
.LBB110_82:                             ;   in Loop: Header=BB110_53 Depth=1
	s_or_b32 exec_lo, exec_lo, s33
	s_and_saveexec_b32 s33, s29
	s_cbranch_execnz .LBB110_115
.LBB110_83:                             ;   in Loop: Header=BB110_53 Depth=1
	s_or_b32 exec_lo, exec_lo, s33
	s_and_saveexec_b32 s33, s30
	s_cbranch_execnz .LBB110_116
.LBB110_84:                             ;   in Loop: Header=BB110_53 Depth=1
	s_or_b32 exec_lo, exec_lo, s33
	v_ashrrev_i32_e32 v11, 31, v10
	s_and_saveexec_b32 s33, s31
	s_cbranch_execnz .LBB110_117
.LBB110_85:                             ;   in Loop: Header=BB110_53 Depth=1
	s_or_b32 exec_lo, exec_lo, s33
	s_and_saveexec_b32 s31, vcc_lo
	s_cbranch_execz .LBB110_52
	s_branch .LBB110_118
.LBB110_86:                             ;   in Loop: Header=BB110_53 Depth=1
	v_mov_b32_e32 v8, s37
	ds_load_b32 v8, v8
	s_waitcnt lgkmcnt(0)
	v_add_nc_u32_e32 v10, v8, v10
	s_or_b32 exec_lo, exec_lo, s33
	s_and_saveexec_b32 s33, s1
	s_cbranch_execz .LBB110_55
.LBB110_87:                             ;   in Loop: Header=BB110_53 Depth=1
	v_mov_b32_e32 v8, s38
	ds_load_b32 v8, v8
	s_waitcnt lgkmcnt(0)
	v_add_nc_u32_e32 v10, v10, v8
	s_or_b32 exec_lo, exec_lo, s33
	s_and_saveexec_b32 s33, s2
	s_cbranch_execz .LBB110_56
.LBB110_88:                             ;   in Loop: Header=BB110_53 Depth=1
	v_mov_b32_e32 v8, s39
	ds_load_b32 v8, v8
	s_waitcnt lgkmcnt(0)
	v_add_nc_u32_e32 v10, v10, v8
	s_or_b32 exec_lo, exec_lo, s33
	s_and_saveexec_b32 s33, s3
	s_cbranch_execz .LBB110_57
.LBB110_89:                             ;   in Loop: Header=BB110_53 Depth=1
	v_mov_b32_e32 v8, s40
	ds_load_b32 v8, v8
	s_waitcnt lgkmcnt(0)
	v_add_nc_u32_e32 v10, v10, v8
	s_or_b32 exec_lo, exec_lo, s33
	s_and_saveexec_b32 s33, s4
	s_cbranch_execz .LBB110_58
.LBB110_90:                             ;   in Loop: Header=BB110_53 Depth=1
	v_mov_b32_e32 v8, s41
	ds_load_b32 v8, v8
	s_waitcnt lgkmcnt(0)
	v_add_nc_u32_e32 v10, v10, v8
	s_or_b32 exec_lo, exec_lo, s33
	s_and_saveexec_b32 s33, s5
	s_cbranch_execz .LBB110_59
.LBB110_91:                             ;   in Loop: Header=BB110_53 Depth=1
	v_mov_b32_e32 v8, s44
	ds_load_b32 v8, v8
	s_waitcnt lgkmcnt(0)
	v_add_nc_u32_e32 v10, v10, v8
	s_or_b32 exec_lo, exec_lo, s33
	s_and_saveexec_b32 s33, s6
	s_cbranch_execz .LBB110_60
.LBB110_92:                             ;   in Loop: Header=BB110_53 Depth=1
	v_mov_b32_e32 v8, s45
	ds_load_b32 v8, v8
	s_waitcnt lgkmcnt(0)
	v_add_nc_u32_e32 v10, v10, v8
	s_or_b32 exec_lo, exec_lo, s33
	s_and_saveexec_b32 s33, s7
	s_cbranch_execz .LBB110_61
.LBB110_93:                             ;   in Loop: Header=BB110_53 Depth=1
	v_mov_b32_e32 v8, s47
	ds_load_b32 v8, v8
	s_waitcnt lgkmcnt(0)
	v_add_nc_u32_e32 v10, v10, v8
	s_or_b32 exec_lo, exec_lo, s33
	s_and_saveexec_b32 s33, s8
	s_cbranch_execz .LBB110_62
.LBB110_94:                             ;   in Loop: Header=BB110_53 Depth=1
	v_mov_b32_e32 v8, s52
	ds_load_b32 v8, v8
	s_waitcnt lgkmcnt(0)
	v_add_nc_u32_e32 v10, v10, v8
	s_or_b32 exec_lo, exec_lo, s33
	s_and_saveexec_b32 s33, s9
	s_cbranch_execz .LBB110_63
.LBB110_95:                             ;   in Loop: Header=BB110_53 Depth=1
	v_mov_b32_e32 v8, s53
	ds_load_b32 v8, v8
	s_waitcnt lgkmcnt(0)
	v_add_nc_u32_e32 v10, v10, v8
	s_or_b32 exec_lo, exec_lo, s33
	s_and_saveexec_b32 s33, s10
	s_cbranch_execz .LBB110_64
.LBB110_96:                             ;   in Loop: Header=BB110_53 Depth=1
	v_mov_b32_e32 v8, s54
	ds_load_b32 v8, v8
	s_waitcnt lgkmcnt(0)
	v_add_nc_u32_e32 v10, v10, v8
	s_or_b32 exec_lo, exec_lo, s33
	s_and_saveexec_b32 s33, s11
	s_cbranch_execz .LBB110_65
.LBB110_97:                             ;   in Loop: Header=BB110_53 Depth=1
	v_mov_b32_e32 v8, s55
	ds_load_b32 v8, v8
	s_waitcnt lgkmcnt(0)
	v_add_nc_u32_e32 v10, v10, v8
	s_or_b32 exec_lo, exec_lo, s33
	s_and_saveexec_b32 s33, s12
	s_cbranch_execz .LBB110_66
.LBB110_98:                             ;   in Loop: Header=BB110_53 Depth=1
	v_mov_b32_e32 v8, s56
	ds_load_b32 v8, v8
	s_waitcnt lgkmcnt(0)
	v_add_nc_u32_e32 v10, v10, v8
	s_or_b32 exec_lo, exec_lo, s33
	s_and_saveexec_b32 s33, s13
	s_cbranch_execz .LBB110_67
.LBB110_99:                             ;   in Loop: Header=BB110_53 Depth=1
	v_mov_b32_e32 v8, s57
	ds_load_b32 v8, v8
	s_waitcnt lgkmcnt(0)
	v_add_nc_u32_e32 v10, v10, v8
	s_or_b32 exec_lo, exec_lo, s33
	s_and_saveexec_b32 s33, s14
	s_cbranch_execz .LBB110_68
.LBB110_100:                            ;   in Loop: Header=BB110_53 Depth=1
	v_mov_b32_e32 v8, s58
	ds_load_b32 v8, v8
	s_waitcnt lgkmcnt(0)
	v_add_nc_u32_e32 v10, v10, v8
	s_or_b32 exec_lo, exec_lo, s33
	s_and_saveexec_b32 s33, s15
	s_cbranch_execz .LBB110_69
.LBB110_101:                            ;   in Loop: Header=BB110_53 Depth=1
	v_mov_b32_e32 v8, s59
	ds_load_b32 v8, v8
	s_waitcnt lgkmcnt(0)
	v_add_nc_u32_e32 v10, v10, v8
	s_or_b32 exec_lo, exec_lo, s33
	s_and_saveexec_b32 s33, s16
	s_cbranch_execz .LBB110_70
.LBB110_102:                            ;   in Loop: Header=BB110_53 Depth=1
	v_mov_b32_e32 v8, s60
	ds_load_b32 v8, v8
	s_waitcnt lgkmcnt(0)
	v_add_nc_u32_e32 v10, v10, v8
	s_or_b32 exec_lo, exec_lo, s33
	s_and_saveexec_b32 s33, s17
	s_cbranch_execz .LBB110_71
.LBB110_103:                            ;   in Loop: Header=BB110_53 Depth=1
	v_mov_b32_e32 v8, s61
	ds_load_b32 v8, v8
	s_waitcnt lgkmcnt(0)
	v_add_nc_u32_e32 v10, v10, v8
	s_or_b32 exec_lo, exec_lo, s33
	s_and_saveexec_b32 s33, s18
	s_cbranch_execz .LBB110_72
.LBB110_104:                            ;   in Loop: Header=BB110_53 Depth=1
	v_mov_b32_e32 v8, s62
	ds_load_b32 v8, v8
	s_waitcnt lgkmcnt(0)
	v_add_nc_u32_e32 v10, v10, v8
	s_or_b32 exec_lo, exec_lo, s33
	s_and_saveexec_b32 s33, s19
	s_cbranch_execz .LBB110_73
.LBB110_105:                            ;   in Loop: Header=BB110_53 Depth=1
	v_mov_b32_e32 v8, s63
	ds_load_b32 v8, v8
	s_waitcnt lgkmcnt(0)
	v_add_nc_u32_e32 v10, v10, v8
	s_or_b32 exec_lo, exec_lo, s33
	s_and_saveexec_b32 s33, s20
	s_cbranch_execz .LBB110_74
.LBB110_106:                            ;   in Loop: Header=BB110_53 Depth=1
	v_mov_b32_e32 v8, s64
	ds_load_b32 v8, v8
	s_waitcnt lgkmcnt(0)
	v_add_nc_u32_e32 v10, v10, v8
	s_or_b32 exec_lo, exec_lo, s33
	s_and_saveexec_b32 s33, s21
	s_cbranch_execz .LBB110_75
.LBB110_107:                            ;   in Loop: Header=BB110_53 Depth=1
	v_mov_b32_e32 v8, s65
	ds_load_b32 v8, v8
	s_waitcnt lgkmcnt(0)
	v_add_nc_u32_e32 v10, v10, v8
	s_or_b32 exec_lo, exec_lo, s33
	s_and_saveexec_b32 s33, s22
	s_cbranch_execz .LBB110_76
.LBB110_108:                            ;   in Loop: Header=BB110_53 Depth=1
	v_mov_b32_e32 v8, s66
	ds_load_b32 v8, v8
	s_waitcnt lgkmcnt(0)
	v_add_nc_u32_e32 v10, v10, v8
	s_or_b32 exec_lo, exec_lo, s33
	s_and_saveexec_b32 s33, s23
	s_cbranch_execz .LBB110_77
.LBB110_109:                            ;   in Loop: Header=BB110_53 Depth=1
	v_mov_b32_e32 v8, s67
	ds_load_b32 v8, v8
	s_waitcnt lgkmcnt(0)
	v_add_nc_u32_e32 v10, v10, v8
	s_or_b32 exec_lo, exec_lo, s33
	s_and_saveexec_b32 s33, s24
	s_cbranch_execz .LBB110_78
.LBB110_110:                            ;   in Loop: Header=BB110_53 Depth=1
	v_mov_b32_e32 v8, s68
	ds_load_b32 v8, v8
	s_waitcnt lgkmcnt(0)
	v_add_nc_u32_e32 v10, v10, v8
	s_or_b32 exec_lo, exec_lo, s33
	s_and_saveexec_b32 s33, s25
	s_cbranch_execz .LBB110_79
.LBB110_111:                            ;   in Loop: Header=BB110_53 Depth=1
	v_mov_b32_e32 v8, s69
	ds_load_b32 v8, v8
	s_waitcnt lgkmcnt(0)
	v_add_nc_u32_e32 v10, v10, v8
	s_or_b32 exec_lo, exec_lo, s33
	s_and_saveexec_b32 s33, s26
	s_cbranch_execz .LBB110_80
.LBB110_112:                            ;   in Loop: Header=BB110_53 Depth=1
	v_mov_b32_e32 v8, s70
	ds_load_b32 v8, v8
	s_waitcnt lgkmcnt(0)
	v_add_nc_u32_e32 v10, v10, v8
	s_or_b32 exec_lo, exec_lo, s33
	s_and_saveexec_b32 s33, s27
	s_cbranch_execz .LBB110_81
.LBB110_113:                            ;   in Loop: Header=BB110_53 Depth=1
	v_mov_b32_e32 v8, s72
	ds_load_b32 v8, v8
	s_waitcnt lgkmcnt(0)
	v_add_nc_u32_e32 v10, v10, v8
	s_or_b32 exec_lo, exec_lo, s33
	s_and_saveexec_b32 s33, s28
	s_cbranch_execz .LBB110_82
.LBB110_114:                            ;   in Loop: Header=BB110_53 Depth=1
	v_mov_b32_e32 v8, s73
	ds_load_b32 v8, v8
	s_waitcnt lgkmcnt(0)
	v_add_nc_u32_e32 v10, v10, v8
	s_or_b32 exec_lo, exec_lo, s33
	s_and_saveexec_b32 s33, s29
	s_cbranch_execz .LBB110_83
.LBB110_115:                            ;   in Loop: Header=BB110_53 Depth=1
	v_mov_b32_e32 v8, s74
	ds_load_b32 v8, v8
	s_waitcnt lgkmcnt(0)
	v_add_nc_u32_e32 v10, v10, v8
	s_or_b32 exec_lo, exec_lo, s33
	s_and_saveexec_b32 s33, s30
	s_cbranch_execz .LBB110_84
.LBB110_116:                            ;   in Loop: Header=BB110_53 Depth=1
	v_mov_b32_e32 v8, s75
	ds_load_b32 v8, v8
	s_waitcnt lgkmcnt(0)
	v_add_nc_u32_e32 v10, v10, v8
	s_or_b32 exec_lo, exec_lo, s33
	s_delay_alu instid0(VALU_DEP_1)
	v_ashrrev_i32_e32 v11, 31, v10
	s_and_saveexec_b32 s33, s31
	s_cbranch_execz .LBB110_85
.LBB110_117:                            ;   in Loop: Header=BB110_53 Depth=1
	v_add3_u32 v8, v6, -1, v10
	s_delay_alu instid0(VALU_DEP_1)
	v_lshl_add_u32 v8, v8, 3, 0
	ds_store_2addr_stride64_b64 v8, v[1:2], v[3:4] offset1:64
	s_or_b32 exec_lo, exec_lo, s33
	s_and_saveexec_b32 s31, vcc_lo
	s_cbranch_execz .LBB110_52
.LBB110_118:                            ;   in Loop: Header=BB110_53 Depth=1
	v_mov_b32_e32 v1, s71
	ds_store_b64 v1, v[10:11]
	s_branch .LBB110_52
.LBB110_119:
	s_or_b32 exec_lo, exec_lo, s36
	s_lshl_b64 s[0:1], s[50:51], 3
	v_mov_b32_e32 v1, 0
	s_add_u32 s0, s42, s0
	s_addc_u32 s1, s43, s1
	s_mov_b32 s6, exec_lo
	s_load_b128 s[0:3], s[0:1], 0x0
	s_waitcnt lgkmcnt(0)
	s_sub_u32 s4, s2, s0
	s_subb_u32 s5, s3, s1
	s_delay_alu instid0(SALU_CYCLE_1)
	v_cmpx_gt_i64_e64 s[4:5], v[0:1]
	s_cbranch_execz .LBB110_129
; %bb.120:
	s_sub_u32 s8, s0, s46
	s_subb_u32 s9, s1, 0
	s_and_b32 s6, s4, 7
	s_sub_u32 s0, s0, s2
	s_subb_u32 s1, s1, s3
	s_mov_b32 s7, 0
	v_cmp_lt_u64_e64 s12, s[0:1], -7
	s_and_b32 s2, s4, -8
	s_cmp_lg_u64 s[6:7], 0
	s_mov_b32 s3, s5
	s_cselect_b32 s13, -1, 0
	s_mov_b32 s14, s7
	s_branch .LBB110_122
.LBB110_121:                            ;   in Loop: Header=BB110_122 Depth=1
	v_add_co_u32 v0, vcc_lo, 0x400, v0
	v_add_co_ci_u32_e32 v1, vcc_lo, 0, v1, vcc_lo
	s_waitcnt lgkmcnt(0)
	v_lshlrev_b64 v[2:3], 3, v[6:7]
	s_delay_alu instid0(VALU_DEP_2) | instskip(NEXT) | instid1(VALU_DEP_2)
	v_cmp_le_i64_e32 vcc_lo, s[4:5], v[0:1]
	v_add_co_u32 v2, s0, s34, v2
	s_delay_alu instid0(VALU_DEP_1)
	v_add_co_ci_u32_e64 v3, s0, s35, v3, s0
	s_or_b32 s14, vcc_lo, s14
	global_store_b64 v[2:3], v[4:5], off
	s_and_not1_b32 exec_lo, exec_lo, s14
	s_cbranch_execz .LBB110_129
.LBB110_122:                            ; =>This Loop Header: Depth=1
                                        ;     Child Loop BB110_124 Depth 2
                                        ;     Child Loop BB110_128 Depth 2
	v_lshl_add_u32 v2, v0, 3, 0
	v_dual_mov_b32 v6, s8 :: v_dual_mov_b32 v7, s9
	s_and_not1_b32 vcc_lo, exec_lo, s12
	s_mov_b64 s[0:1], 0
	ds_load_2addr_stride64_b64 v[2:5], v2 offset1:64
	s_cbranch_vccnz .LBB110_126
; %bb.123:                              ;   in Loop: Header=BB110_122 Depth=1
	v_dual_mov_b32 v6, s8 :: v_dual_mov_b32 v7, s9
	s_mov_b64 s[10:11], 0
	s_mov_b32 s1, 0
.LBB110_124:                            ;   Parent Loop BB110_122 Depth=1
                                        ; =>  This Inner Loop Header: Depth=2
	s_delay_alu instid0(SALU_CYCLE_1)
	v_mov_b32_e32 v20, s1
	s_add_u32 s10, s10, 8
	s_addc_u32 s11, s11, 0
	s_add_i32 s1, s1, 64
	s_cmp_eq_u64 s[2:3], s[10:11]
	ds_load_2addr_b64 v[8:11], v20 offset1:1
	ds_load_2addr_b64 v[12:15], v20 offset0:2 offset1:3
	ds_load_2addr_b64 v[16:19], v20 offset0:4 offset1:5
	;; [unrolled: 1-line block ×3, first 2 shown]
	s_waitcnt lgkmcnt(3)
	v_cmp_gt_i64_e32 vcc_lo, v[2:3], v[8:9]
	v_cndmask_b32_e64 v8, 0, 1, vcc_lo
	v_cmp_gt_i64_e32 vcc_lo, v[2:3], v[10:11]
	v_cndmask_b32_e64 v9, 0, 1, vcc_lo
	s_waitcnt lgkmcnt(2)
	v_cmp_gt_i64_e32 vcc_lo, v[2:3], v[12:13]
	v_cndmask_b32_e64 v10, 0, 1, vcc_lo
	v_cmp_gt_i64_e32 vcc_lo, v[2:3], v[14:15]
	v_cndmask_b32_e64 v11, 0, 1, vcc_lo
	s_waitcnt lgkmcnt(1)
	v_cmp_gt_i64_e32 vcc_lo, v[2:3], v[16:17]
	v_cndmask_b32_e64 v12, 0, 1, vcc_lo
	v_add_co_u32 v6, vcc_lo, v6, v8
	v_add_co_ci_u32_e32 v7, vcc_lo, 0, v7, vcc_lo
	v_cmp_gt_i64_e32 vcc_lo, v[2:3], v[18:19]
	s_delay_alu instid0(VALU_DEP_3) | instskip(NEXT) | instid1(VALU_DEP_1)
	v_add_co_u32 v6, s0, v6, v9
	v_add_co_ci_u32_e64 v7, s0, 0, v7, s0
	v_cndmask_b32_e64 v8, 0, 1, vcc_lo
	s_delay_alu instid0(VALU_DEP_3) | instskip(NEXT) | instid1(VALU_DEP_3)
	v_add_co_u32 v6, vcc_lo, v6, v10
	v_add_co_ci_u32_e32 v7, vcc_lo, 0, v7, vcc_lo
	s_waitcnt lgkmcnt(0)
	v_cmp_gt_i64_e32 vcc_lo, v[2:3], v[20:21]
	s_delay_alu instid0(VALU_DEP_3) | instskip(NEXT) | instid1(VALU_DEP_1)
	v_add_co_u32 v6, s0, v6, v11
	v_add_co_ci_u32_e64 v7, s0, 0, v7, s0
	v_cndmask_b32_e64 v9, 0, 1, vcc_lo
	s_delay_alu instid0(VALU_DEP_3) | instskip(NEXT) | instid1(VALU_DEP_3)
	v_add_co_u32 v6, vcc_lo, v6, v12
	v_add_co_ci_u32_e32 v7, vcc_lo, 0, v7, vcc_lo
	v_cmp_gt_i64_e32 vcc_lo, v[2:3], v[22:23]
	s_delay_alu instid0(VALU_DEP_3) | instskip(NEXT) | instid1(VALU_DEP_1)
	v_add_co_u32 v6, s0, v6, v8
	v_add_co_ci_u32_e64 v7, s0, 0, v7, s0
	v_cndmask_b32_e64 v8, 0, 1, vcc_lo
	s_delay_alu instid0(VALU_DEP_3) | instskip(NEXT) | instid1(VALU_DEP_3)
	v_add_co_u32 v6, vcc_lo, v6, v9
	v_add_co_ci_u32_e32 v7, vcc_lo, 0, v7, vcc_lo
	s_delay_alu instid0(VALU_DEP_2) | instskip(NEXT) | instid1(VALU_DEP_2)
	v_add_co_u32 v6, vcc_lo, v6, v8
	v_add_co_ci_u32_e32 v7, vcc_lo, 0, v7, vcc_lo
	s_cbranch_scc0 .LBB110_124
; %bb.125:                              ;   in Loop: Header=BB110_122 Depth=1
	s_mov_b64 s[0:1], s[2:3]
.LBB110_126:                            ;   in Loop: Header=BB110_122 Depth=1
	s_and_not1_b32 vcc_lo, exec_lo, s13
	s_cbranch_vccnz .LBB110_121
; %bb.127:                              ;   in Loop: Header=BB110_122 Depth=1
	s_lshl_b32 s0, s0, 3
	s_delay_alu instid0(SALU_CYCLE_1)
	s_add_i32 s10, s0, 0
	s_mov_b64 s[0:1], s[6:7]
.LBB110_128:                            ;   Parent Loop BB110_122 Depth=1
                                        ; =>  This Inner Loop Header: Depth=2
	v_mov_b32_e32 v8, s10
	s_add_i32 s10, s10, 8
	s_add_u32 s0, s0, -1
	s_addc_u32 s1, s1, -1
	s_delay_alu instid0(SALU_CYCLE_1) | instskip(SKIP_4) | instid1(VALU_DEP_1)
	s_cmp_lg_u64 s[0:1], 0
	ds_load_b64 v[8:9], v8
	s_waitcnt lgkmcnt(0)
	v_cmp_gt_i64_e32 vcc_lo, v[2:3], v[8:9]
	v_cndmask_b32_e64 v8, 0, 1, vcc_lo
	v_add_co_u32 v6, vcc_lo, v6, v8
	v_add_co_ci_u32_e32 v7, vcc_lo, 0, v7, vcc_lo
	s_cbranch_scc1 .LBB110_128
	s_branch .LBB110_121
.LBB110_129:
	s_nop 0
	s_sendmsg sendmsg(MSG_DEALLOC_VGPRS)
	s_endpgm
	.section	.rodata,"a",@progbits
	.p2align	6, 0x0
	.amdhsa_kernel _ZN9rocsparseL41csrgemm_numeric_fill_block_per_row_kernelILj1024ELj64ELj4096ELj137ELj32ElldEEvT5_PKS1_S3_NS_24const_host_device_scalarIT6_EEPKT4_S3_PKS5_S9_S3_SB_S6_S9_S3_SB_S9_S3_PS5_21rocsparse_index_base_SD_SD_SD_bbb
		.amdhsa_group_segment_fixed_size 0
		.amdhsa_private_segment_fixed_size 0
		.amdhsa_kernarg_size 156
		.amdhsa_user_sgpr_count 15
		.amdhsa_user_sgpr_dispatch_ptr 0
		.amdhsa_user_sgpr_queue_ptr 0
		.amdhsa_user_sgpr_kernarg_segment_ptr 1
		.amdhsa_user_sgpr_dispatch_id 0
		.amdhsa_user_sgpr_private_segment_size 0
		.amdhsa_wavefront_size32 1
		.amdhsa_uses_dynamic_stack 0
		.amdhsa_enable_private_segment 0
		.amdhsa_system_sgpr_workgroup_id_x 1
		.amdhsa_system_sgpr_workgroup_id_y 0
		.amdhsa_system_sgpr_workgroup_id_z 0
		.amdhsa_system_sgpr_workgroup_info 0
		.amdhsa_system_vgpr_workitem_id 0
		.amdhsa_next_free_vgpr 27
		.amdhsa_next_free_sgpr 76
		.amdhsa_reserve_vcc 1
		.amdhsa_float_round_mode_32 0
		.amdhsa_float_round_mode_16_64 0
		.amdhsa_float_denorm_mode_32 3
		.amdhsa_float_denorm_mode_16_64 3
		.amdhsa_dx10_clamp 1
		.amdhsa_ieee_mode 1
		.amdhsa_fp16_overflow 0
		.amdhsa_workgroup_processor_mode 1
		.amdhsa_memory_ordered 1
		.amdhsa_forward_progress 0
		.amdhsa_shared_vgpr_count 0
		.amdhsa_exception_fp_ieee_invalid_op 0
		.amdhsa_exception_fp_denorm_src 0
		.amdhsa_exception_fp_ieee_div_zero 0
		.amdhsa_exception_fp_ieee_overflow 0
		.amdhsa_exception_fp_ieee_underflow 0
		.amdhsa_exception_fp_ieee_inexact 0
		.amdhsa_exception_int_div_zero 0
	.end_amdhsa_kernel
	.section	.text._ZN9rocsparseL41csrgemm_numeric_fill_block_per_row_kernelILj1024ELj64ELj4096ELj137ELj32ElldEEvT5_PKS1_S3_NS_24const_host_device_scalarIT6_EEPKT4_S3_PKS5_S9_S3_SB_S6_S9_S3_SB_S9_S3_PS5_21rocsparse_index_base_SD_SD_SD_bbb,"axG",@progbits,_ZN9rocsparseL41csrgemm_numeric_fill_block_per_row_kernelILj1024ELj64ELj4096ELj137ELj32ElldEEvT5_PKS1_S3_NS_24const_host_device_scalarIT6_EEPKT4_S3_PKS5_S9_S3_SB_S6_S9_S3_SB_S9_S3_PS5_21rocsparse_index_base_SD_SD_SD_bbb,comdat
.Lfunc_end110:
	.size	_ZN9rocsparseL41csrgemm_numeric_fill_block_per_row_kernelILj1024ELj64ELj4096ELj137ELj32ElldEEvT5_PKS1_S3_NS_24const_host_device_scalarIT6_EEPKT4_S3_PKS5_S9_S3_SB_S6_S9_S3_SB_S9_S3_PS5_21rocsparse_index_base_SD_SD_SD_bbb, .Lfunc_end110-_ZN9rocsparseL41csrgemm_numeric_fill_block_per_row_kernelILj1024ELj64ELj4096ELj137ELj32ElldEEvT5_PKS1_S3_NS_24const_host_device_scalarIT6_EEPKT4_S3_PKS5_S9_S3_SB_S6_S9_S3_SB_S9_S3_PS5_21rocsparse_index_base_SD_SD_SD_bbb
                                        ; -- End function
	.section	.AMDGPU.csdata,"",@progbits
; Kernel info:
; codeLenInByte = 4900
; NumSgprs: 78
; NumVgprs: 27
; ScratchSize: 0
; MemoryBound: 0
; FloatMode: 240
; IeeeMode: 1
; LDSByteSize: 0 bytes/workgroup (compile time only)
; SGPRBlocks: 9
; VGPRBlocks: 3
; NumSGPRsForWavesPerEU: 78
; NumVGPRsForWavesPerEU: 27
; Occupancy: 16
; WaveLimiterHint : 1
; COMPUTE_PGM_RSRC2:SCRATCH_EN: 0
; COMPUTE_PGM_RSRC2:USER_SGPR: 15
; COMPUTE_PGM_RSRC2:TRAP_HANDLER: 0
; COMPUTE_PGM_RSRC2:TGID_X_EN: 1
; COMPUTE_PGM_RSRC2:TGID_Y_EN: 0
; COMPUTE_PGM_RSRC2:TGID_Z_EN: 0
; COMPUTE_PGM_RSRC2:TIDIG_COMP_CNT: 0
	.section	.text._ZN9rocsparseL41csrgemm_numeric_fill_block_per_row_kernelILj1024ELj64ELj4096ELj137ELj64ElldEEvT5_PKS1_S3_NS_24const_host_device_scalarIT6_EEPKT4_S3_PKS5_S9_S3_SB_S6_S9_S3_SB_S9_S3_PS5_21rocsparse_index_base_SD_SD_SD_bbb,"axG",@progbits,_ZN9rocsparseL41csrgemm_numeric_fill_block_per_row_kernelILj1024ELj64ELj4096ELj137ELj64ElldEEvT5_PKS1_S3_NS_24const_host_device_scalarIT6_EEPKT4_S3_PKS5_S9_S3_SB_S6_S9_S3_SB_S9_S3_PS5_21rocsparse_index_base_SD_SD_SD_bbb,comdat
	.globl	_ZN9rocsparseL41csrgemm_numeric_fill_block_per_row_kernelILj1024ELj64ELj4096ELj137ELj64ElldEEvT5_PKS1_S3_NS_24const_host_device_scalarIT6_EEPKT4_S3_PKS5_S9_S3_SB_S6_S9_S3_SB_S9_S3_PS5_21rocsparse_index_base_SD_SD_SD_bbb ; -- Begin function _ZN9rocsparseL41csrgemm_numeric_fill_block_per_row_kernelILj1024ELj64ELj4096ELj137ELj64ElldEEvT5_PKS1_S3_NS_24const_host_device_scalarIT6_EEPKT4_S3_PKS5_S9_S3_SB_S6_S9_S3_SB_S9_S3_PS5_21rocsparse_index_base_SD_SD_SD_bbb
	.p2align	8
	.type	_ZN9rocsparseL41csrgemm_numeric_fill_block_per_row_kernelILj1024ELj64ELj4096ELj137ELj64ElldEEvT5_PKS1_S3_NS_24const_host_device_scalarIT6_EEPKT4_S3_PKS5_S9_S3_SB_S6_S9_S3_SB_S9_S3_PS5_21rocsparse_index_base_SD_SD_SD_bbb,@function
_ZN9rocsparseL41csrgemm_numeric_fill_block_per_row_kernelILj1024ELj64ELj4096ELj137ELj64ElldEEvT5_PKS1_S3_NS_24const_host_device_scalarIT6_EEPKT4_S3_PKS5_S9_S3_SB_S6_S9_S3_SB_S9_S3_PS5_21rocsparse_index_base_SD_SD_SD_bbb: ; @_ZN9rocsparseL41csrgemm_numeric_fill_block_per_row_kernelILj1024ELj64ELj4096ELj137ELj64ElldEEvT5_PKS1_S3_NS_24const_host_device_scalarIT6_EEPKT4_S3_PKS5_S9_S3_SB_S6_S9_S3_SB_S9_S3_PS5_21rocsparse_index_base_SD_SD_SD_bbb
; %bb.0:
	s_clause 0x3
	s_load_b32 s3, s[0:1], 0x98
	s_load_b64 s[4:5], s[0:1], 0x18
	s_load_b128 s[20:23], s[0:1], 0x88
	s_load_b64 s[36:37], s[0:1], 0x50
	s_mov_b32 s2, s15
	s_waitcnt lgkmcnt(0)
	s_and_b32 s6, 1, s3
	s_bitcmp1_b32 s3, 16
	s_cselect_b32 s39, -1, 0
	s_cmp_eq_u32 s6, 1
	s_cselect_b32 s38, -1, 0
	s_delay_alu instid0(SALU_CYCLE_1)
	s_and_b32 s6, s38, exec_lo
	s_cselect_b32 s7, s5, 0
	s_cselect_b32 s6, s4, 0
	s_xor_b32 s8, s38, -1
	v_dual_mov_b32 v3, s6 :: v_dual_mov_b32 v4, s7
	s_or_b32 s8, s8, s39
	s_delay_alu instid0(SALU_CYCLE_1)
	s_and_b32 vcc_lo, exec_lo, s8
	s_cbranch_vccnz .LBB111_2
; %bb.1:
	v_dual_mov_b32 v1, s4 :: v_dual_mov_b32 v2, s5
	flat_load_b64 v[3:4], v[1:2]
.LBB111_2:
	s_clause 0x4
	s_load_b64 s[34:35], s[0:1], 0x80
	s_load_b256 s[12:19], s[0:1], 0x58
	s_load_b128 s[24:27], s[0:1], 0x40
	s_load_b128 s[28:31], s[0:1], 0x8
	s_load_b256 s[4:11], s[0:1], 0x20
	s_bitcmp1_b32 s3, 8
	s_cselect_b32 s33, -1, 0
	s_delay_alu instid0(SALU_CYCLE_1)
	s_and_b32 s3, s33, exec_lo
	s_cselect_b32 s41, s37, 0
	s_cselect_b32 s40, s36, 0
	s_xor_b32 s3, s33, -1
	v_dual_mov_b32 v1, s40 :: v_dual_mov_b32 v2, s41
	s_or_b32 s3, s3, s39
	s_delay_alu instid0(SALU_CYCLE_1)
	s_and_b32 vcc_lo, exec_lo, s3
	s_cbranch_vccnz .LBB111_4
; %bb.3:
	v_dual_mov_b32 v1, s36 :: v_dual_mov_b32 v2, s37
	flat_load_b64 v[1:2], v[1:2]
.LBB111_4:
	s_load_b64 s[36:37], s[0:1], 0x0
	v_mov_b32_e32 v5, 0
	v_lshl_add_u32 v19, v0, 3, 0
	v_or_b32_e32 v20, 0xfffffc00, v0
	s_mov_b32 s0, 0
	s_delay_alu instid0(VALU_DEP_1)
	v_dual_mov_b32 v9, v19 :: v_dual_mov_b32 v10, v20
	s_waitcnt lgkmcnt(0)
	v_dual_mov_b32 v7, s36 :: v_dual_mov_b32 v8, s37
	v_mov_b32_e32 v6, v5
.LBB111_5:                              ; =>This Inner Loop Header: Depth=1
	s_delay_alu instid0(VALU_DEP_3) | instskip(SKIP_4) | instid1(SALU_CYCLE_1)
	v_add_nc_u32_e32 v10, 0x400, v10
	ds_store_2addr_stride64_b64 v9, v[7:8], v[5:6] offset1:64
	v_add_nc_u32_e32 v9, 0x2000, v9
	v_cmp_lt_u32_e32 vcc_lo, 0xbff, v10
	s_or_b32 s0, vcc_lo, s0
	s_and_not1_b32 exec_lo, exec_lo, s0
	s_cbranch_execnz .LBB111_5
; %bb.6:
	s_or_b32 exec_lo, exec_lo, s0
	s_waitcnt vmcnt(0) lgkmcnt(0)
	s_barrier
	buffer_gl0_inv
	s_load_b64 s[0:1], s[28:29], 0x0
	s_mov_b32 s3, 0
	v_lshrrev_b32_e32 v21, 6, v0
	s_waitcnt lgkmcnt(0)
	s_lshl_b64 s[0:1], s[0:1], 3
	s_delay_alu instid0(SALU_CYCLE_1) | instskip(SKIP_2) | instid1(SALU_CYCLE_1)
	s_add_u32 s28, s30, s0
	s_addc_u32 s29, s31, s1
	s_lshl_b64 s[0:1], s[2:3], 3
	s_add_u32 s0, s28, s0
	s_addc_u32 s1, s29, s1
	s_and_b32 vcc_lo, exec_lo, s38
	s_load_b64 s[28:29], s[0:1], 0x0
	s_cbranch_vccz .LBB111_30
; %bb.7:
	s_waitcnt lgkmcnt(0)
	s_lshl_b64 s[0:1], s[28:29], 3
	s_delay_alu instid0(SALU_CYCLE_1)
	s_add_u32 s0, s4, s0
	s_addc_u32 s1, s5, s1
	v_sub_co_u32 v5, s4, v21, s20
	s_load_b128 s[0:3], s[0:1], 0x0
	v_sub_co_ci_u32_e64 v6, null, 0, 0, s4
	s_waitcnt lgkmcnt(0)
	s_delay_alu instid0(VALU_DEP_2) | instskip(NEXT) | instid1(VALU_DEP_2)
	v_add_co_u32 v5, vcc_lo, s0, v5
	v_add_co_ci_u32_e32 v6, vcc_lo, s1, v6, vcc_lo
	s_sub_u32 s0, s2, s20
	s_subb_u32 s1, s3, 0
	s_mov_b32 s2, exec_lo
	s_delay_alu instid0(VALU_DEP_1)
	v_cmpx_gt_i64_e64 s[0:1], v[5:6]
	s_cbranch_execz .LBB111_29
; %bb.8:
	v_and_b32_e32 v7, 63, v0
	s_mov_b32 s4, s21
	s_delay_alu instid0(VALU_DEP_1) | instskip(NEXT) | instid1(VALU_DEP_1)
	v_sub_co_u32 v22, s3, v7, s21
	v_sub_co_ci_u32_e64 v23, null, 0, 0, s3
	s_mov_b32 s3, 0
	s_branch .LBB111_10
.LBB111_9:                              ;   in Loop: Header=BB111_10 Depth=1
	s_or_b32 exec_lo, exec_lo, s5
	v_add_co_u32 v5, vcc_lo, v5, 16
	v_add_co_ci_u32_e32 v6, vcc_lo, 0, v6, vcc_lo
	s_delay_alu instid0(VALU_DEP_1) | instskip(SKIP_1) | instid1(SALU_CYCLE_1)
	v_cmp_le_i64_e32 vcc_lo, s[0:1], v[5:6]
	s_or_b32 s3, vcc_lo, s3
	s_and_not1_b32 exec_lo, exec_lo, s3
	s_cbranch_execz .LBB111_29
.LBB111_10:                             ; =>This Loop Header: Depth=1
                                        ;     Child Loop BB111_13 Depth 2
                                        ;       Child Loop BB111_15 Depth 3
                                        ;         Child Loop BB111_21 Depth 4
                                        ;         Child Loop BB111_27 Depth 4
	v_lshlrev_b64 v[11:12], 3, v[5:6]
	s_mov_b32 s5, exec_lo
	s_delay_alu instid0(VALU_DEP_1) | instskip(NEXT) | instid1(VALU_DEP_2)
	v_add_co_u32 v7, vcc_lo, s6, v11
	v_add_co_ci_u32_e32 v8, vcc_lo, s7, v12, vcc_lo
	global_load_b64 v[7:8], v[7:8], off
	s_waitcnt vmcnt(0)
	v_sub_co_u32 v7, vcc_lo, v7, s20
	v_subrev_co_ci_u32_e32 v8, vcc_lo, 0, v8, vcc_lo
	s_delay_alu instid0(VALU_DEP_1) | instskip(NEXT) | instid1(VALU_DEP_1)
	v_lshlrev_b64 v[7:8], 3, v[7:8]
	v_add_co_u32 v7, vcc_lo, s10, v7
	s_delay_alu instid0(VALU_DEP_2)
	v_add_co_ci_u32_e32 v8, vcc_lo, s11, v8, vcc_lo
	global_load_b128 v[13:16], v[7:8], off
	s_waitcnt vmcnt(0)
	v_sub_co_u32 v7, vcc_lo, v15, s4
	v_subrev_co_ci_u32_e32 v8, vcc_lo, 0, v16, vcc_lo
	v_add_co_u32 v9, vcc_lo, v13, v22
	v_add_co_ci_u32_e32 v10, vcc_lo, v14, v23, vcc_lo
	s_delay_alu instid0(VALU_DEP_1)
	v_cmpx_lt_i64_e64 v[9:10], v[7:8]
	s_cbranch_execz .LBB111_9
; %bb.11:                               ;   in Loop: Header=BB111_10 Depth=1
	v_add_co_u32 v11, vcc_lo, s8, v11
	v_add_co_ci_u32_e32 v12, vcc_lo, s9, v12, vcc_lo
	s_mov_b32 s21, 0
	global_load_b64 v[11:12], v[11:12], off
	s_waitcnt vmcnt(0)
	v_mul_f64 v[11:12], v[3:4], v[11:12]
	s_branch .LBB111_13
.LBB111_12:                             ;   in Loop: Header=BB111_13 Depth=2
	s_or_b32 exec_lo, exec_lo, s30
	v_add_co_u32 v9, vcc_lo, v9, 64
	v_add_co_ci_u32_e32 v10, vcc_lo, 0, v10, vcc_lo
	s_delay_alu instid0(VALU_DEP_1) | instskip(SKIP_1) | instid1(SALU_CYCLE_1)
	v_cmp_ge_i64_e32 vcc_lo, v[9:10], v[7:8]
	s_or_b32 s21, vcc_lo, s21
	s_and_not1_b32 exec_lo, exec_lo, s21
	s_cbranch_execz .LBB111_9
.LBB111_13:                             ;   Parent Loop BB111_10 Depth=1
                                        ; =>  This Loop Header: Depth=2
                                        ;       Child Loop BB111_15 Depth 3
                                        ;         Child Loop BB111_21 Depth 4
                                        ;         Child Loop BB111_27 Depth 4
	v_lshlrev_b64 v[13:14], 3, v[9:10]
	s_mov_b32 s30, 0
	s_delay_alu instid0(VALU_DEP_1) | instskip(NEXT) | instid1(VALU_DEP_2)
	v_add_co_u32 v15, vcc_lo, s26, v13
	v_add_co_ci_u32_e32 v16, vcc_lo, s27, v14, vcc_lo
	v_add_co_u32 v13, vcc_lo, s24, v13
	v_add_co_ci_u32_e32 v14, vcc_lo, s25, v14, vcc_lo
	global_load_b64 v[15:16], v[15:16], off
	global_load_b64 v[17:18], v[13:14], off
	s_waitcnt vmcnt(1)
	v_mul_f64 v[13:14], v[11:12], v[15:16]
	s_waitcnt vmcnt(0)
	v_sub_co_u32 v15, vcc_lo, v17, s4
	v_subrev_co_ci_u32_e32 v16, vcc_lo, 0, v18, vcc_lo
	s_delay_alu instid0(VALU_DEP_2) | instskip(NEXT) | instid1(VALU_DEP_1)
	v_mul_lo_u32 v17, 0x89, v15
	v_and_b32_e32 v24, 0xfff, v17
	s_branch .LBB111_15
.LBB111_14:                             ;   in Loop: Header=BB111_15 Depth=3
	s_or_b32 exec_lo, exec_lo, s31
	s_xor_b32 s31, s38, -1
	s_delay_alu instid0(SALU_CYCLE_1) | instskip(NEXT) | instid1(SALU_CYCLE_1)
	s_and_b32 s31, exec_lo, s31
	s_or_b32 s30, s31, s30
	s_delay_alu instid0(SALU_CYCLE_1)
	s_and_not1_b32 exec_lo, exec_lo, s30
	s_cbranch_execz .LBB111_12
.LBB111_15:                             ;   Parent Loop BB111_10 Depth=1
                                        ;     Parent Loop BB111_13 Depth=2
                                        ; =>    This Loop Header: Depth=3
                                        ;         Child Loop BB111_21 Depth 4
                                        ;         Child Loop BB111_27 Depth 4
	s_delay_alu instid0(VALU_DEP_1)
	v_lshl_add_u32 v25, v24, 3, 0
	s_mov_b32 s31, exec_lo
                                        ; implicit-def: $sgpr38
	ds_load_b64 v[17:18], v25
	s_waitcnt lgkmcnt(0)
	v_cmpx_ne_u64_e64 v[17:18], v[15:16]
	s_xor_b32 s31, exec_lo, s31
	s_cbranch_execz .LBB111_25
; %bb.16:                               ;   in Loop: Header=BB111_15 Depth=3
	s_mov_b32 s39, exec_lo
                                        ; implicit-def: $sgpr38
	v_cmpx_ne_u64_e64 s[36:37], v[17:18]
	s_xor_b32 s39, exec_lo, s39
; %bb.17:                               ;   in Loop: Header=BB111_15 Depth=3
	v_add_nc_u32_e32 v17, 1, v24
	s_mov_b32 s38, -1
                                        ; implicit-def: $vgpr25
	s_delay_alu instid0(VALU_DEP_1)
	v_and_b32_e32 v24, 0xfff, v17
; %bb.18:                               ;   in Loop: Header=BB111_15 Depth=3
	s_and_not1_saveexec_b32 s39, s39
	s_cbranch_execz .LBB111_24
; %bb.19:                               ;   in Loop: Header=BB111_15 Depth=3
	v_dual_mov_b32 v17, s36 :: v_dual_mov_b32 v18, s37
	s_mov_b32 s41, -1
	s_mov_b32 s40, exec_lo
	ds_cmpstore_rtn_b64 v[17:18], v25, v[15:16], v[17:18]
	s_waitcnt lgkmcnt(0)
	v_cmpx_eq_u64_e64 s[36:37], v[17:18]
	s_cbranch_execz .LBB111_23
; %bb.20:                               ;   in Loop: Header=BB111_15 Depth=3
	ds_load_b64 v[17:18], v25 offset:32768
	s_mov_b32 s41, 0
.LBB111_21:                             ;   Parent Loop BB111_10 Depth=1
                                        ;     Parent Loop BB111_13 Depth=2
                                        ;       Parent Loop BB111_15 Depth=3
                                        ; =>      This Inner Loop Header: Depth=4
	s_waitcnt lgkmcnt(0)
	v_add_f64 v[26:27], v[17:18], v[13:14]
	ds_cmpstore_rtn_b64 v[26:27], v25, v[26:27], v[17:18] offset:32768
	s_waitcnt lgkmcnt(0)
	v_cmp_eq_u64_e32 vcc_lo, v[26:27], v[17:18]
	v_dual_mov_b32 v17, v26 :: v_dual_mov_b32 v18, v27
	s_or_b32 s41, vcc_lo, s41
	s_delay_alu instid0(SALU_CYCLE_1)
	s_and_not1_b32 exec_lo, exec_lo, s41
	s_cbranch_execnz .LBB111_21
; %bb.22:                               ;   in Loop: Header=BB111_15 Depth=3
	s_or_b32 exec_lo, exec_lo, s41
	s_delay_alu instid0(SALU_CYCLE_1)
	s_xor_b32 s41, exec_lo, -1
.LBB111_23:                             ;   in Loop: Header=BB111_15 Depth=3
	s_or_b32 exec_lo, exec_lo, s40
	s_delay_alu instid0(SALU_CYCLE_1) | instskip(SKIP_1) | instid1(SALU_CYCLE_1)
	s_and_not1_b32 s38, s38, exec_lo
	s_and_b32 s40, s41, exec_lo
	s_or_b32 s38, s38, s40
.LBB111_24:                             ;   in Loop: Header=BB111_15 Depth=3
	s_or_b32 exec_lo, exec_lo, s39
	s_delay_alu instid0(SALU_CYCLE_1)
	s_and_b32 s38, s38, exec_lo
                                        ; implicit-def: $vgpr25
.LBB111_25:                             ;   in Loop: Header=BB111_15 Depth=3
	s_and_not1_saveexec_b32 s31, s31
	s_cbranch_execz .LBB111_14
; %bb.26:                               ;   in Loop: Header=BB111_15 Depth=3
	ds_load_b64 v[17:18], v25 offset:32768
	s_mov_b32 s39, 0
.LBB111_27:                             ;   Parent Loop BB111_10 Depth=1
                                        ;     Parent Loop BB111_13 Depth=2
                                        ;       Parent Loop BB111_15 Depth=3
                                        ; =>      This Inner Loop Header: Depth=4
	s_waitcnt lgkmcnt(0)
	v_add_f64 v[26:27], v[17:18], v[13:14]
	ds_cmpstore_rtn_b64 v[26:27], v25, v[26:27], v[17:18] offset:32768
	s_waitcnt lgkmcnt(0)
	v_cmp_eq_u64_e32 vcc_lo, v[26:27], v[17:18]
	v_dual_mov_b32 v17, v26 :: v_dual_mov_b32 v18, v27
	s_or_b32 s39, vcc_lo, s39
	s_delay_alu instid0(SALU_CYCLE_1)
	s_and_not1_b32 exec_lo, exec_lo, s39
	s_cbranch_execnz .LBB111_27
; %bb.28:                               ;   in Loop: Header=BB111_15 Depth=3
	s_or_b32 exec_lo, exec_lo, s39
	s_delay_alu instid0(SALU_CYCLE_1)
	s_and_not1_b32 s38, s38, exec_lo
	s_branch .LBB111_14
.LBB111_29:
	s_or_b32 exec_lo, exec_lo, s2
.LBB111_30:
	s_delay_alu instid0(SALU_CYCLE_1)
	s_and_not1_b32 vcc_lo, exec_lo, s33
	s_cbranch_vccnz .LBB111_51
; %bb.31:
	s_waitcnt lgkmcnt(0)
	s_lshl_b64 s[0:1], s[28:29], 3
	v_sub_co_u32 v3, s4, v0, s23
	s_add_u32 s0, s12, s0
	s_addc_u32 s1, s13, s1
	v_sub_co_ci_u32_e64 v4, null, 0, 0, s4
	s_load_b128 s[0:3], s[0:1], 0x0
	s_waitcnt lgkmcnt(0)
	v_add_co_u32 v3, vcc_lo, s0, v3
	s_delay_alu instid0(VALU_DEP_2)
	v_add_co_ci_u32_e32 v4, vcc_lo, s1, v4, vcc_lo
	s_sub_u32 s0, s2, s23
	s_subb_u32 s1, s3, 0
	s_mov_b32 s2, 0
	s_mov_b32 s3, exec_lo
	v_cmpx_gt_i64_e64 s[0:1], v[3:4]
	s_cbranch_execz .LBB111_50
; %bb.32:
	s_mov_b32 s4, s23
	s_branch .LBB111_34
.LBB111_33:                             ;   in Loop: Header=BB111_34 Depth=1
	s_or_b32 exec_lo, exec_lo, s5
	v_add_co_u32 v3, vcc_lo, 0x400, v3
	v_add_co_ci_u32_e32 v4, vcc_lo, 0, v4, vcc_lo
	s_delay_alu instid0(VALU_DEP_1) | instskip(SKIP_1) | instid1(SALU_CYCLE_1)
	v_cmp_le_i64_e32 vcc_lo, s[0:1], v[3:4]
	s_or_b32 s2, vcc_lo, s2
	s_and_not1_b32 exec_lo, exec_lo, s2
	s_cbranch_execz .LBB111_50
.LBB111_34:                             ; =>This Loop Header: Depth=1
                                        ;     Child Loop BB111_36 Depth 2
                                        ;       Child Loop BB111_42 Depth 3
                                        ;       Child Loop BB111_48 Depth 3
	v_lshlrev_b64 v[5:6], 3, v[3:4]
	s_mov_b32 s5, 0
	s_delay_alu instid0(VALU_DEP_1) | instskip(NEXT) | instid1(VALU_DEP_2)
	v_add_co_u32 v7, vcc_lo, s16, v5
	v_add_co_ci_u32_e32 v8, vcc_lo, s17, v6, vcc_lo
	v_add_co_u32 v5, vcc_lo, s14, v5
	v_add_co_ci_u32_e32 v6, vcc_lo, s15, v6, vcc_lo
	global_load_b64 v[7:8], v[7:8], off
	global_load_b64 v[9:10], v[5:6], off
	s_waitcnt vmcnt(1)
	v_mul_f64 v[5:6], v[1:2], v[7:8]
	s_waitcnt vmcnt(0)
	v_sub_co_u32 v7, vcc_lo, v9, s4
	v_subrev_co_ci_u32_e32 v8, vcc_lo, 0, v10, vcc_lo
	s_delay_alu instid0(VALU_DEP_2) | instskip(NEXT) | instid1(VALU_DEP_1)
	v_mul_lo_u32 v9, 0x89, v7
	v_and_b32_e32 v11, 0xfff, v9
	s_branch .LBB111_36
.LBB111_35:                             ;   in Loop: Header=BB111_36 Depth=2
	s_or_b32 exec_lo, exec_lo, s6
	s_xor_b32 s6, s7, -1
	s_delay_alu instid0(SALU_CYCLE_1) | instskip(NEXT) | instid1(SALU_CYCLE_1)
	s_and_b32 s6, exec_lo, s6
	s_or_b32 s5, s6, s5
	s_delay_alu instid0(SALU_CYCLE_1)
	s_and_not1_b32 exec_lo, exec_lo, s5
	s_cbranch_execz .LBB111_33
.LBB111_36:                             ;   Parent Loop BB111_34 Depth=1
                                        ; =>  This Loop Header: Depth=2
                                        ;       Child Loop BB111_42 Depth 3
                                        ;       Child Loop BB111_48 Depth 3
	s_delay_alu instid0(VALU_DEP_1)
	v_lshl_add_u32 v12, v11, 3, 0
	s_mov_b32 s6, exec_lo
                                        ; implicit-def: $sgpr7
	ds_load_b64 v[9:10], v12
	s_waitcnt lgkmcnt(0)
	v_cmpx_ne_u64_e64 v[9:10], v[7:8]
	s_xor_b32 s6, exec_lo, s6
	s_cbranch_execz .LBB111_46
; %bb.37:                               ;   in Loop: Header=BB111_36 Depth=2
	s_mov_b32 s8, exec_lo
                                        ; implicit-def: $sgpr7
	v_cmpx_ne_u64_e64 s[36:37], v[9:10]
	s_xor_b32 s8, exec_lo, s8
; %bb.38:                               ;   in Loop: Header=BB111_36 Depth=2
	v_add_nc_u32_e32 v9, 1, v11
	s_mov_b32 s7, -1
                                        ; implicit-def: $vgpr12
	s_delay_alu instid0(VALU_DEP_1)
	v_and_b32_e32 v11, 0xfff, v9
; %bb.39:                               ;   in Loop: Header=BB111_36 Depth=2
	s_and_not1_saveexec_b32 s8, s8
	s_cbranch_execz .LBB111_45
; %bb.40:                               ;   in Loop: Header=BB111_36 Depth=2
	v_dual_mov_b32 v9, s36 :: v_dual_mov_b32 v10, s37
	s_mov_b32 s10, -1
	s_mov_b32 s9, exec_lo
	ds_cmpstore_rtn_b64 v[9:10], v12, v[7:8], v[9:10]
	s_waitcnt lgkmcnt(0)
	v_cmpx_eq_u64_e64 s[36:37], v[9:10]
	s_cbranch_execz .LBB111_44
; %bb.41:                               ;   in Loop: Header=BB111_36 Depth=2
	ds_load_b64 v[9:10], v12 offset:32768
	s_mov_b32 s10, 0
.LBB111_42:                             ;   Parent Loop BB111_34 Depth=1
                                        ;     Parent Loop BB111_36 Depth=2
                                        ; =>    This Inner Loop Header: Depth=3
	s_waitcnt lgkmcnt(0)
	v_add_f64 v[13:14], v[9:10], v[5:6]
	ds_cmpstore_rtn_b64 v[13:14], v12, v[13:14], v[9:10] offset:32768
	s_waitcnt lgkmcnt(0)
	v_cmp_eq_u64_e32 vcc_lo, v[13:14], v[9:10]
	v_dual_mov_b32 v9, v13 :: v_dual_mov_b32 v10, v14
	s_or_b32 s10, vcc_lo, s10
	s_delay_alu instid0(SALU_CYCLE_1)
	s_and_not1_b32 exec_lo, exec_lo, s10
	s_cbranch_execnz .LBB111_42
; %bb.43:                               ;   in Loop: Header=BB111_36 Depth=2
	s_or_b32 exec_lo, exec_lo, s10
	s_delay_alu instid0(SALU_CYCLE_1)
	s_xor_b32 s10, exec_lo, -1
.LBB111_44:                             ;   in Loop: Header=BB111_36 Depth=2
	s_or_b32 exec_lo, exec_lo, s9
	s_delay_alu instid0(SALU_CYCLE_1) | instskip(SKIP_1) | instid1(SALU_CYCLE_1)
	s_and_not1_b32 s7, s7, exec_lo
	s_and_b32 s9, s10, exec_lo
	s_or_b32 s7, s7, s9
.LBB111_45:                             ;   in Loop: Header=BB111_36 Depth=2
	s_or_b32 exec_lo, exec_lo, s8
	s_delay_alu instid0(SALU_CYCLE_1)
	s_and_b32 s7, s7, exec_lo
                                        ; implicit-def: $vgpr12
.LBB111_46:                             ;   in Loop: Header=BB111_36 Depth=2
	s_and_not1_saveexec_b32 s6, s6
	s_cbranch_execz .LBB111_35
; %bb.47:                               ;   in Loop: Header=BB111_36 Depth=2
	ds_load_b64 v[9:10], v12 offset:32768
	s_mov_b32 s8, 0
.LBB111_48:                             ;   Parent Loop BB111_34 Depth=1
                                        ;     Parent Loop BB111_36 Depth=2
                                        ; =>    This Inner Loop Header: Depth=3
	s_waitcnt lgkmcnt(0)
	v_add_f64 v[13:14], v[9:10], v[5:6]
	ds_cmpstore_rtn_b64 v[13:14], v12, v[13:14], v[9:10] offset:32768
	s_waitcnt lgkmcnt(0)
	v_cmp_eq_u64_e32 vcc_lo, v[13:14], v[9:10]
	v_dual_mov_b32 v9, v13 :: v_dual_mov_b32 v10, v14
	s_or_b32 s8, vcc_lo, s8
	s_delay_alu instid0(SALU_CYCLE_1)
	s_and_not1_b32 exec_lo, exec_lo, s8
	s_cbranch_execnz .LBB111_48
; %bb.49:                               ;   in Loop: Header=BB111_36 Depth=2
	s_or_b32 exec_lo, exec_lo, s8
	s_delay_alu instid0(SALU_CYCLE_1)
	s_and_not1_b32 s7, s7, exec_lo
	s_branch .LBB111_35
.LBB111_50:
	s_or_b32 exec_lo, exec_lo, s3
.LBB111_51:
	v_mbcnt_lo_u32_b32 v1, -1, 0
	v_lshlrev_b32_e32 v2, 3, v21
	s_add_i32 s39, 0, 0x10078
	v_cmp_eq_u32_e32 vcc_lo, 0x3ff, v0
	v_cmp_lt_u32_e64 s0, 63, v0
	v_xor_b32_e32 v1, 63, v1
	v_cmp_lt_u32_e64 s1, 0x7f, v0
	v_cmp_lt_u32_e64 s2, 0xbf, v0
	;; [unrolled: 1-line block ×4, first 2 shown]
	v_lshrrev_b64 v[5:6], v1, -1
	v_dual_mov_b32 v6, 0 :: v_dual_mov_b32 v9, 0
	v_cmp_lt_u32_e64 s5, 0x17f, v0
	v_cmp_lt_u32_e64 s6, 0x1bf, v0
	;; [unrolled: 1-line block ×10, first 2 shown]
	v_mov_b32_e32 v7, 0
	v_add3_u32 v12, 0, 0x10000, v2
	v_mov_b32_e32 v13, s39
	s_mov_b32 s17, 0
	s_add_i32 s20, 0, 0x10000
	s_add_i32 s21, 0, 0x10008
	;; [unrolled: 1-line block ×15, first 2 shown]
	s_waitcnt lgkmcnt(0)
	s_barrier
	buffer_gl0_inv
	s_branch .LBB111_53
.LBB111_52:                             ;   in Loop: Header=BB111_53 Depth=1
	s_or_b32 exec_lo, exec_lo, s15
	s_waitcnt lgkmcnt(0)
	s_barrier
	buffer_gl0_inv
	ds_load_b64 v[1:2], v13
	v_add_nc_u32_e32 v20, 0x400, v20
	v_add_nc_u32_e32 v19, 0x2000, v19
	s_delay_alu instid0(VALU_DEP_2) | instskip(NEXT) | instid1(VALU_DEP_1)
	v_cmp_lt_u32_e64 s15, 0xbff, v20
	s_or_b32 s17, s15, s17
	s_waitcnt lgkmcnt(0)
	v_add_co_u32 v6, s16, v1, v6
	s_delay_alu instid0(VALU_DEP_1)
	v_add_co_ci_u32_e64 v7, s16, v2, v7, s16
	s_and_not1_b32 exec_lo, exec_lo, s17
	s_cbranch_execz .LBB111_87
.LBB111_53:                             ; =>This Inner Loop Header: Depth=1
	ds_load_2addr_stride64_b64 v[1:4], v19 offset1:64
	s_waitcnt lgkmcnt(0)
	s_barrier
	buffer_gl0_inv
	v_cmp_gt_i64_e64 s15, s[36:37], v[1:2]
	s_delay_alu instid0(VALU_DEP_1) | instskip(SKIP_1) | instid1(SALU_CYCLE_1)
	v_and_b32_e32 v10, s15, v5
	s_bcnt1_i32_b32 s16, s15
	v_mov_b32_e32 v8, s16
	s_delay_alu instid0(VALU_DEP_2)
	v_bcnt_u32_b32 v10, v10, 0
	ds_store_b64 v12, v[8:9]
	s_waitcnt lgkmcnt(0)
	s_barrier
	buffer_gl0_inv
	s_and_saveexec_b32 s16, s0
	s_cbranch_execnz .LBB111_70
; %bb.54:                               ;   in Loop: Header=BB111_53 Depth=1
	s_or_b32 exec_lo, exec_lo, s16
	s_and_saveexec_b32 s16, s1
	s_cbranch_execnz .LBB111_71
.LBB111_55:                             ;   in Loop: Header=BB111_53 Depth=1
	s_or_b32 exec_lo, exec_lo, s16
	s_and_saveexec_b32 s16, s2
	s_cbranch_execnz .LBB111_72
.LBB111_56:                             ;   in Loop: Header=BB111_53 Depth=1
	s_or_b32 exec_lo, exec_lo, s16
	s_and_saveexec_b32 s16, s3
	s_cbranch_execnz .LBB111_73
.LBB111_57:                             ;   in Loop: Header=BB111_53 Depth=1
	s_or_b32 exec_lo, exec_lo, s16
	s_and_saveexec_b32 s16, s4
	s_cbranch_execnz .LBB111_74
.LBB111_58:                             ;   in Loop: Header=BB111_53 Depth=1
	s_or_b32 exec_lo, exec_lo, s16
	s_and_saveexec_b32 s16, s5
	s_cbranch_execnz .LBB111_75
.LBB111_59:                             ;   in Loop: Header=BB111_53 Depth=1
	s_or_b32 exec_lo, exec_lo, s16
	s_and_saveexec_b32 s16, s6
	s_cbranch_execnz .LBB111_76
.LBB111_60:                             ;   in Loop: Header=BB111_53 Depth=1
	s_or_b32 exec_lo, exec_lo, s16
	s_and_saveexec_b32 s16, s7
	s_cbranch_execnz .LBB111_77
.LBB111_61:                             ;   in Loop: Header=BB111_53 Depth=1
	s_or_b32 exec_lo, exec_lo, s16
	s_and_saveexec_b32 s16, s8
	s_cbranch_execnz .LBB111_78
.LBB111_62:                             ;   in Loop: Header=BB111_53 Depth=1
	s_or_b32 exec_lo, exec_lo, s16
	s_and_saveexec_b32 s16, s9
	s_cbranch_execnz .LBB111_79
.LBB111_63:                             ;   in Loop: Header=BB111_53 Depth=1
	s_or_b32 exec_lo, exec_lo, s16
	s_and_saveexec_b32 s16, s10
	s_cbranch_execnz .LBB111_80
.LBB111_64:                             ;   in Loop: Header=BB111_53 Depth=1
	s_or_b32 exec_lo, exec_lo, s16
	s_and_saveexec_b32 s16, s11
	s_cbranch_execnz .LBB111_81
.LBB111_65:                             ;   in Loop: Header=BB111_53 Depth=1
	s_or_b32 exec_lo, exec_lo, s16
	s_and_saveexec_b32 s16, s12
	s_cbranch_execnz .LBB111_82
.LBB111_66:                             ;   in Loop: Header=BB111_53 Depth=1
	s_or_b32 exec_lo, exec_lo, s16
	s_and_saveexec_b32 s16, s13
	s_cbranch_execnz .LBB111_83
.LBB111_67:                             ;   in Loop: Header=BB111_53 Depth=1
	s_or_b32 exec_lo, exec_lo, s16
	s_and_saveexec_b32 s16, s14
	s_cbranch_execnz .LBB111_84
.LBB111_68:                             ;   in Loop: Header=BB111_53 Depth=1
	s_or_b32 exec_lo, exec_lo, s16
	v_ashrrev_i32_e32 v11, 31, v10
	s_and_saveexec_b32 s16, s15
	s_cbranch_execnz .LBB111_85
.LBB111_69:                             ;   in Loop: Header=BB111_53 Depth=1
	s_or_b32 exec_lo, exec_lo, s16
	s_and_saveexec_b32 s15, vcc_lo
	s_cbranch_execz .LBB111_52
	s_branch .LBB111_86
.LBB111_70:                             ;   in Loop: Header=BB111_53 Depth=1
	v_mov_b32_e32 v8, s20
	ds_load_b32 v8, v8
	s_waitcnt lgkmcnt(0)
	v_add_nc_u32_e32 v10, v8, v10
	s_or_b32 exec_lo, exec_lo, s16
	s_and_saveexec_b32 s16, s1
	s_cbranch_execz .LBB111_55
.LBB111_71:                             ;   in Loop: Header=BB111_53 Depth=1
	v_mov_b32_e32 v8, s21
	ds_load_b32 v8, v8
	s_waitcnt lgkmcnt(0)
	v_add_nc_u32_e32 v10, v10, v8
	s_or_b32 exec_lo, exec_lo, s16
	s_and_saveexec_b32 s16, s2
	s_cbranch_execz .LBB111_56
.LBB111_72:                             ;   in Loop: Header=BB111_53 Depth=1
	v_mov_b32_e32 v8, s23
	ds_load_b32 v8, v8
	s_waitcnt lgkmcnt(0)
	v_add_nc_u32_e32 v10, v10, v8
	s_or_b32 exec_lo, exec_lo, s16
	s_and_saveexec_b32 s16, s3
	s_cbranch_execz .LBB111_57
.LBB111_73:                             ;   in Loop: Header=BB111_53 Depth=1
	v_mov_b32_e32 v8, s24
	ds_load_b32 v8, v8
	s_waitcnt lgkmcnt(0)
	v_add_nc_u32_e32 v10, v10, v8
	s_or_b32 exec_lo, exec_lo, s16
	s_and_saveexec_b32 s16, s4
	s_cbranch_execz .LBB111_58
.LBB111_74:                             ;   in Loop: Header=BB111_53 Depth=1
	v_mov_b32_e32 v8, s25
	ds_load_b32 v8, v8
	s_waitcnt lgkmcnt(0)
	v_add_nc_u32_e32 v10, v10, v8
	s_or_b32 exec_lo, exec_lo, s16
	s_and_saveexec_b32 s16, s5
	s_cbranch_execz .LBB111_59
.LBB111_75:                             ;   in Loop: Header=BB111_53 Depth=1
	v_mov_b32_e32 v8, s26
	ds_load_b32 v8, v8
	s_waitcnt lgkmcnt(0)
	v_add_nc_u32_e32 v10, v10, v8
	s_or_b32 exec_lo, exec_lo, s16
	s_and_saveexec_b32 s16, s6
	s_cbranch_execz .LBB111_60
.LBB111_76:                             ;   in Loop: Header=BB111_53 Depth=1
	v_mov_b32_e32 v8, s27
	ds_load_b32 v8, v8
	s_waitcnt lgkmcnt(0)
	v_add_nc_u32_e32 v10, v10, v8
	s_or_b32 exec_lo, exec_lo, s16
	s_and_saveexec_b32 s16, s7
	s_cbranch_execz .LBB111_61
.LBB111_77:                             ;   in Loop: Header=BB111_53 Depth=1
	v_mov_b32_e32 v8, s30
	ds_load_b32 v8, v8
	s_waitcnt lgkmcnt(0)
	v_add_nc_u32_e32 v10, v10, v8
	s_or_b32 exec_lo, exec_lo, s16
	s_and_saveexec_b32 s16, s8
	s_cbranch_execz .LBB111_62
.LBB111_78:                             ;   in Loop: Header=BB111_53 Depth=1
	v_mov_b32_e32 v8, s31
	ds_load_b32 v8, v8
	s_waitcnt lgkmcnt(0)
	v_add_nc_u32_e32 v10, v10, v8
	s_or_b32 exec_lo, exec_lo, s16
	s_and_saveexec_b32 s16, s9
	s_cbranch_execz .LBB111_63
.LBB111_79:                             ;   in Loop: Header=BB111_53 Depth=1
	v_mov_b32_e32 v8, s33
	ds_load_b32 v8, v8
	s_waitcnt lgkmcnt(0)
	v_add_nc_u32_e32 v10, v10, v8
	s_or_b32 exec_lo, exec_lo, s16
	s_and_saveexec_b32 s16, s10
	s_cbranch_execz .LBB111_64
.LBB111_80:                             ;   in Loop: Header=BB111_53 Depth=1
	v_mov_b32_e32 v8, s38
	ds_load_b32 v8, v8
	s_waitcnt lgkmcnt(0)
	v_add_nc_u32_e32 v10, v10, v8
	s_or_b32 exec_lo, exec_lo, s16
	s_and_saveexec_b32 s16, s11
	s_cbranch_execz .LBB111_65
.LBB111_81:                             ;   in Loop: Header=BB111_53 Depth=1
	v_mov_b32_e32 v8, s40
	ds_load_b32 v8, v8
	s_waitcnt lgkmcnt(0)
	v_add_nc_u32_e32 v10, v10, v8
	s_or_b32 exec_lo, exec_lo, s16
	s_and_saveexec_b32 s16, s12
	s_cbranch_execz .LBB111_66
.LBB111_82:                             ;   in Loop: Header=BB111_53 Depth=1
	v_mov_b32_e32 v8, s41
	ds_load_b32 v8, v8
	s_waitcnt lgkmcnt(0)
	v_add_nc_u32_e32 v10, v10, v8
	s_or_b32 exec_lo, exec_lo, s16
	s_and_saveexec_b32 s16, s13
	s_cbranch_execz .LBB111_67
.LBB111_83:                             ;   in Loop: Header=BB111_53 Depth=1
	v_mov_b32_e32 v8, s42
	ds_load_b32 v8, v8
	s_waitcnt lgkmcnt(0)
	v_add_nc_u32_e32 v10, v10, v8
	s_or_b32 exec_lo, exec_lo, s16
	s_and_saveexec_b32 s16, s14
	s_cbranch_execz .LBB111_68
.LBB111_84:                             ;   in Loop: Header=BB111_53 Depth=1
	v_mov_b32_e32 v8, s43
	ds_load_b32 v8, v8
	s_waitcnt lgkmcnt(0)
	v_add_nc_u32_e32 v10, v10, v8
	s_or_b32 exec_lo, exec_lo, s16
	s_delay_alu instid0(VALU_DEP_1)
	v_ashrrev_i32_e32 v11, 31, v10
	s_and_saveexec_b32 s16, s15
	s_cbranch_execz .LBB111_69
.LBB111_85:                             ;   in Loop: Header=BB111_53 Depth=1
	v_add3_u32 v8, v6, -1, v10
	s_delay_alu instid0(VALU_DEP_1)
	v_lshl_add_u32 v8, v8, 3, 0
	ds_store_2addr_stride64_b64 v8, v[1:2], v[3:4] offset1:64
	s_or_b32 exec_lo, exec_lo, s16
	s_and_saveexec_b32 s15, vcc_lo
	s_cbranch_execz .LBB111_52
.LBB111_86:                             ;   in Loop: Header=BB111_53 Depth=1
	v_mov_b32_e32 v1, s39
	ds_store_b64 v1, v[10:11]
	s_branch .LBB111_52
.LBB111_87:
	s_or_b32 exec_lo, exec_lo, s17
	s_lshl_b64 s[0:1], s[28:29], 3
	v_mov_b32_e32 v1, 0
	s_add_u32 s0, s18, s0
	s_addc_u32 s1, s19, s1
	s_mov_b32 s6, exec_lo
	s_load_b128 s[0:3], s[0:1], 0x0
	s_waitcnt lgkmcnt(0)
	s_sub_u32 s4, s2, s0
	s_subb_u32 s5, s3, s1
	s_delay_alu instid0(SALU_CYCLE_1)
	v_cmpx_gt_i64_e64 s[4:5], v[0:1]
	s_cbranch_execz .LBB111_97
; %bb.88:
	s_sub_u32 s8, s0, s22
	s_subb_u32 s9, s1, 0
	s_and_b32 s6, s4, 7
	s_sub_u32 s0, s0, s2
	s_subb_u32 s1, s1, s3
	s_mov_b32 s7, 0
	v_cmp_lt_u64_e64 s12, s[0:1], -7
	s_and_b32 s2, s4, -8
	s_cmp_lg_u64 s[6:7], 0
	s_mov_b32 s3, s5
	s_cselect_b32 s13, -1, 0
	s_mov_b32 s14, s7
	s_branch .LBB111_90
.LBB111_89:                             ;   in Loop: Header=BB111_90 Depth=1
	v_add_co_u32 v0, vcc_lo, 0x400, v0
	v_add_co_ci_u32_e32 v1, vcc_lo, 0, v1, vcc_lo
	s_waitcnt lgkmcnt(0)
	v_lshlrev_b64 v[2:3], 3, v[6:7]
	s_delay_alu instid0(VALU_DEP_2) | instskip(NEXT) | instid1(VALU_DEP_2)
	v_cmp_le_i64_e32 vcc_lo, s[4:5], v[0:1]
	v_add_co_u32 v2, s0, s34, v2
	s_delay_alu instid0(VALU_DEP_1)
	v_add_co_ci_u32_e64 v3, s0, s35, v3, s0
	s_or_b32 s14, vcc_lo, s14
	global_store_b64 v[2:3], v[4:5], off
	s_and_not1_b32 exec_lo, exec_lo, s14
	s_cbranch_execz .LBB111_97
.LBB111_90:                             ; =>This Loop Header: Depth=1
                                        ;     Child Loop BB111_92 Depth 2
                                        ;     Child Loop BB111_96 Depth 2
	v_lshl_add_u32 v2, v0, 3, 0
	v_dual_mov_b32 v6, s8 :: v_dual_mov_b32 v7, s9
	s_and_not1_b32 vcc_lo, exec_lo, s12
	s_mov_b64 s[0:1], 0
	ds_load_2addr_stride64_b64 v[2:5], v2 offset1:64
	s_cbranch_vccnz .LBB111_94
; %bb.91:                               ;   in Loop: Header=BB111_90 Depth=1
	v_dual_mov_b32 v6, s8 :: v_dual_mov_b32 v7, s9
	s_mov_b64 s[10:11], 0
	s_mov_b32 s1, 0
.LBB111_92:                             ;   Parent Loop BB111_90 Depth=1
                                        ; =>  This Inner Loop Header: Depth=2
	s_delay_alu instid0(SALU_CYCLE_1)
	v_mov_b32_e32 v20, s1
	s_add_u32 s10, s10, 8
	s_addc_u32 s11, s11, 0
	s_add_i32 s1, s1, 64
	s_cmp_eq_u64 s[2:3], s[10:11]
	ds_load_2addr_b64 v[8:11], v20 offset1:1
	ds_load_2addr_b64 v[12:15], v20 offset0:2 offset1:3
	ds_load_2addr_b64 v[16:19], v20 offset0:4 offset1:5
	;; [unrolled: 1-line block ×3, first 2 shown]
	s_waitcnt lgkmcnt(3)
	v_cmp_gt_i64_e32 vcc_lo, v[2:3], v[8:9]
	v_cndmask_b32_e64 v8, 0, 1, vcc_lo
	v_cmp_gt_i64_e32 vcc_lo, v[2:3], v[10:11]
	v_cndmask_b32_e64 v9, 0, 1, vcc_lo
	s_waitcnt lgkmcnt(2)
	v_cmp_gt_i64_e32 vcc_lo, v[2:3], v[12:13]
	v_cndmask_b32_e64 v10, 0, 1, vcc_lo
	v_cmp_gt_i64_e32 vcc_lo, v[2:3], v[14:15]
	v_cndmask_b32_e64 v11, 0, 1, vcc_lo
	s_waitcnt lgkmcnt(1)
	v_cmp_gt_i64_e32 vcc_lo, v[2:3], v[16:17]
	v_cndmask_b32_e64 v12, 0, 1, vcc_lo
	v_add_co_u32 v6, vcc_lo, v6, v8
	v_add_co_ci_u32_e32 v7, vcc_lo, 0, v7, vcc_lo
	v_cmp_gt_i64_e32 vcc_lo, v[2:3], v[18:19]
	s_delay_alu instid0(VALU_DEP_3) | instskip(NEXT) | instid1(VALU_DEP_1)
	v_add_co_u32 v6, s0, v6, v9
	v_add_co_ci_u32_e64 v7, s0, 0, v7, s0
	v_cndmask_b32_e64 v8, 0, 1, vcc_lo
	s_delay_alu instid0(VALU_DEP_3) | instskip(NEXT) | instid1(VALU_DEP_3)
	v_add_co_u32 v6, vcc_lo, v6, v10
	v_add_co_ci_u32_e32 v7, vcc_lo, 0, v7, vcc_lo
	s_waitcnt lgkmcnt(0)
	v_cmp_gt_i64_e32 vcc_lo, v[2:3], v[20:21]
	s_delay_alu instid0(VALU_DEP_3) | instskip(NEXT) | instid1(VALU_DEP_1)
	v_add_co_u32 v6, s0, v6, v11
	v_add_co_ci_u32_e64 v7, s0, 0, v7, s0
	v_cndmask_b32_e64 v9, 0, 1, vcc_lo
	s_delay_alu instid0(VALU_DEP_3) | instskip(NEXT) | instid1(VALU_DEP_3)
	v_add_co_u32 v6, vcc_lo, v6, v12
	v_add_co_ci_u32_e32 v7, vcc_lo, 0, v7, vcc_lo
	v_cmp_gt_i64_e32 vcc_lo, v[2:3], v[22:23]
	s_delay_alu instid0(VALU_DEP_3) | instskip(NEXT) | instid1(VALU_DEP_1)
	v_add_co_u32 v6, s0, v6, v8
	v_add_co_ci_u32_e64 v7, s0, 0, v7, s0
	v_cndmask_b32_e64 v8, 0, 1, vcc_lo
	s_delay_alu instid0(VALU_DEP_3) | instskip(NEXT) | instid1(VALU_DEP_3)
	v_add_co_u32 v6, vcc_lo, v6, v9
	v_add_co_ci_u32_e32 v7, vcc_lo, 0, v7, vcc_lo
	s_delay_alu instid0(VALU_DEP_2) | instskip(NEXT) | instid1(VALU_DEP_2)
	v_add_co_u32 v6, vcc_lo, v6, v8
	v_add_co_ci_u32_e32 v7, vcc_lo, 0, v7, vcc_lo
	s_cbranch_scc0 .LBB111_92
; %bb.93:                               ;   in Loop: Header=BB111_90 Depth=1
	s_mov_b64 s[0:1], s[2:3]
.LBB111_94:                             ;   in Loop: Header=BB111_90 Depth=1
	s_and_not1_b32 vcc_lo, exec_lo, s13
	s_cbranch_vccnz .LBB111_89
; %bb.95:                               ;   in Loop: Header=BB111_90 Depth=1
	s_lshl_b32 s0, s0, 3
	s_delay_alu instid0(SALU_CYCLE_1)
	s_add_i32 s10, s0, 0
	s_mov_b64 s[0:1], s[6:7]
.LBB111_96:                             ;   Parent Loop BB111_90 Depth=1
                                        ; =>  This Inner Loop Header: Depth=2
	v_mov_b32_e32 v8, s10
	s_add_i32 s10, s10, 8
	s_add_u32 s0, s0, -1
	s_addc_u32 s1, s1, -1
	s_delay_alu instid0(SALU_CYCLE_1) | instskip(SKIP_4) | instid1(VALU_DEP_1)
	s_cmp_lg_u64 s[0:1], 0
	ds_load_b64 v[8:9], v8
	s_waitcnt lgkmcnt(0)
	v_cmp_gt_i64_e32 vcc_lo, v[2:3], v[8:9]
	v_cndmask_b32_e64 v8, 0, 1, vcc_lo
	v_add_co_u32 v6, vcc_lo, v6, v8
	v_add_co_ci_u32_e32 v7, vcc_lo, 0, v7, vcc_lo
	s_cbranch_scc1 .LBB111_96
	s_branch .LBB111_89
.LBB111_97:
	s_nop 0
	s_sendmsg sendmsg(MSG_DEALLOC_VGPRS)
	s_endpgm
	.section	.rodata,"a",@progbits
	.p2align	6, 0x0
	.amdhsa_kernel _ZN9rocsparseL41csrgemm_numeric_fill_block_per_row_kernelILj1024ELj64ELj4096ELj137ELj64ElldEEvT5_PKS1_S3_NS_24const_host_device_scalarIT6_EEPKT4_S3_PKS5_S9_S3_SB_S6_S9_S3_SB_S9_S3_PS5_21rocsparse_index_base_SD_SD_SD_bbb
		.amdhsa_group_segment_fixed_size 0
		.amdhsa_private_segment_fixed_size 0
		.amdhsa_kernarg_size 156
		.amdhsa_user_sgpr_count 15
		.amdhsa_user_sgpr_dispatch_ptr 0
		.amdhsa_user_sgpr_queue_ptr 0
		.amdhsa_user_sgpr_kernarg_segment_ptr 1
		.amdhsa_user_sgpr_dispatch_id 0
		.amdhsa_user_sgpr_private_segment_size 0
		.amdhsa_wavefront_size32 1
		.amdhsa_uses_dynamic_stack 0
		.amdhsa_enable_private_segment 0
		.amdhsa_system_sgpr_workgroup_id_x 1
		.amdhsa_system_sgpr_workgroup_id_y 0
		.amdhsa_system_sgpr_workgroup_id_z 0
		.amdhsa_system_sgpr_workgroup_info 0
		.amdhsa_system_vgpr_workitem_id 0
		.amdhsa_next_free_vgpr 28
		.amdhsa_next_free_sgpr 44
		.amdhsa_reserve_vcc 1
		.amdhsa_float_round_mode_32 0
		.amdhsa_float_round_mode_16_64 0
		.amdhsa_float_denorm_mode_32 3
		.amdhsa_float_denorm_mode_16_64 3
		.amdhsa_dx10_clamp 1
		.amdhsa_ieee_mode 1
		.amdhsa_fp16_overflow 0
		.amdhsa_workgroup_processor_mode 1
		.amdhsa_memory_ordered 1
		.amdhsa_forward_progress 0
		.amdhsa_shared_vgpr_count 0
		.amdhsa_exception_fp_ieee_invalid_op 0
		.amdhsa_exception_fp_denorm_src 0
		.amdhsa_exception_fp_ieee_div_zero 0
		.amdhsa_exception_fp_ieee_overflow 0
		.amdhsa_exception_fp_ieee_underflow 0
		.amdhsa_exception_fp_ieee_inexact 0
		.amdhsa_exception_int_div_zero 0
	.end_amdhsa_kernel
	.section	.text._ZN9rocsparseL41csrgemm_numeric_fill_block_per_row_kernelILj1024ELj64ELj4096ELj137ELj64ElldEEvT5_PKS1_S3_NS_24const_host_device_scalarIT6_EEPKT4_S3_PKS5_S9_S3_SB_S6_S9_S3_SB_S9_S3_PS5_21rocsparse_index_base_SD_SD_SD_bbb,"axG",@progbits,_ZN9rocsparseL41csrgemm_numeric_fill_block_per_row_kernelILj1024ELj64ELj4096ELj137ELj64ElldEEvT5_PKS1_S3_NS_24const_host_device_scalarIT6_EEPKT4_S3_PKS5_S9_S3_SB_S6_S9_S3_SB_S9_S3_PS5_21rocsparse_index_base_SD_SD_SD_bbb,comdat
.Lfunc_end111:
	.size	_ZN9rocsparseL41csrgemm_numeric_fill_block_per_row_kernelILj1024ELj64ELj4096ELj137ELj64ElldEEvT5_PKS1_S3_NS_24const_host_device_scalarIT6_EEPKT4_S3_PKS5_S9_S3_SB_S6_S9_S3_SB_S9_S3_PS5_21rocsparse_index_base_SD_SD_SD_bbb, .Lfunc_end111-_ZN9rocsparseL41csrgemm_numeric_fill_block_per_row_kernelILj1024ELj64ELj4096ELj137ELj64ElldEEvT5_PKS1_S3_NS_24const_host_device_scalarIT6_EEPKT4_S3_PKS5_S9_S3_SB_S6_S9_S3_SB_S9_S3_PS5_21rocsparse_index_base_SD_SD_SD_bbb
                                        ; -- End function
	.section	.AMDGPU.csdata,"",@progbits
; Kernel info:
; codeLenInByte = 3872
; NumSgprs: 46
; NumVgprs: 28
; ScratchSize: 0
; MemoryBound: 0
; FloatMode: 240
; IeeeMode: 1
; LDSByteSize: 0 bytes/workgroup (compile time only)
; SGPRBlocks: 5
; VGPRBlocks: 3
; NumSGPRsForWavesPerEU: 46
; NumVGPRsForWavesPerEU: 28
; Occupancy: 16
; WaveLimiterHint : 1
; COMPUTE_PGM_RSRC2:SCRATCH_EN: 0
; COMPUTE_PGM_RSRC2:USER_SGPR: 15
; COMPUTE_PGM_RSRC2:TRAP_HANDLER: 0
; COMPUTE_PGM_RSRC2:TGID_X_EN: 1
; COMPUTE_PGM_RSRC2:TGID_Y_EN: 0
; COMPUTE_PGM_RSRC2:TGID_Z_EN: 0
; COMPUTE_PGM_RSRC2:TIDIG_COMP_CNT: 0
	.section	.text._ZN9rocsparseL41csrgemm_numeric_fill_block_per_row_kernelILj1024ELj64ELj8192ELj137ELj32ElldEEvT5_PKS1_S3_NS_24const_host_device_scalarIT6_EEPKT4_S3_PKS5_S9_S3_SB_S6_S9_S3_SB_S9_S3_PS5_21rocsparse_index_base_SD_SD_SD_bbb,"axG",@progbits,_ZN9rocsparseL41csrgemm_numeric_fill_block_per_row_kernelILj1024ELj64ELj8192ELj137ELj32ElldEEvT5_PKS1_S3_NS_24const_host_device_scalarIT6_EEPKT4_S3_PKS5_S9_S3_SB_S6_S9_S3_SB_S9_S3_PS5_21rocsparse_index_base_SD_SD_SD_bbb,comdat
	.globl	_ZN9rocsparseL41csrgemm_numeric_fill_block_per_row_kernelILj1024ELj64ELj8192ELj137ELj32ElldEEvT5_PKS1_S3_NS_24const_host_device_scalarIT6_EEPKT4_S3_PKS5_S9_S3_SB_S6_S9_S3_SB_S9_S3_PS5_21rocsparse_index_base_SD_SD_SD_bbb ; -- Begin function _ZN9rocsparseL41csrgemm_numeric_fill_block_per_row_kernelILj1024ELj64ELj8192ELj137ELj32ElldEEvT5_PKS1_S3_NS_24const_host_device_scalarIT6_EEPKT4_S3_PKS5_S9_S3_SB_S6_S9_S3_SB_S9_S3_PS5_21rocsparse_index_base_SD_SD_SD_bbb
	.p2align	8
	.type	_ZN9rocsparseL41csrgemm_numeric_fill_block_per_row_kernelILj1024ELj64ELj8192ELj137ELj32ElldEEvT5_PKS1_S3_NS_24const_host_device_scalarIT6_EEPKT4_S3_PKS5_S9_S3_SB_S6_S9_S3_SB_S9_S3_PS5_21rocsparse_index_base_SD_SD_SD_bbb,@function
_ZN9rocsparseL41csrgemm_numeric_fill_block_per_row_kernelILj1024ELj64ELj8192ELj137ELj32ElldEEvT5_PKS1_S3_NS_24const_host_device_scalarIT6_EEPKT4_S3_PKS5_S9_S3_SB_S6_S9_S3_SB_S9_S3_PS5_21rocsparse_index_base_SD_SD_SD_bbb: ; @_ZN9rocsparseL41csrgemm_numeric_fill_block_per_row_kernelILj1024ELj64ELj8192ELj137ELj32ElldEEvT5_PKS1_S3_NS_24const_host_device_scalarIT6_EEPKT4_S3_PKS5_S9_S3_SB_S6_S9_S3_SB_S9_S3_PS5_21rocsparse_index_base_SD_SD_SD_bbb
; %bb.0:
	s_clause 0x4
	s_load_b32 s3, s[0:1], 0x98
	s_load_b64 s[10:11], s[0:1], 0x18
	s_load_b128 s[4:7], s[0:1], 0x8
	s_load_b128 s[36:39], s[0:1], 0x88
	s_load_b64 s[8:9], s[0:1], 0x50
	s_mov_b32 s2, s15
	s_waitcnt lgkmcnt(0)
	s_and_b32 s12, 1, s3
	s_bitcmp1_b32 s3, 16
	s_cselect_b32 s13, -1, 0
	s_cmp_eq_u32 s12, 1
	s_cselect_b32 s12, -1, 0
	s_delay_alu instid0(SALU_CYCLE_1)
	s_and_b32 s14, s12, exec_lo
	s_cselect_b32 s15, s11, 0
	s_cselect_b32 s14, s10, 0
	s_xor_b32 s16, s12, -1
	v_dual_mov_b32 v3, s14 :: v_dual_mov_b32 v4, s15
	s_or_b32 s16, s16, s13
	s_delay_alu instid0(SALU_CYCLE_1)
	s_and_b32 vcc_lo, exec_lo, s16
	s_cbranch_vccnz .LBB112_2
; %bb.1:
	v_dual_mov_b32 v1, s10 :: v_dual_mov_b32 v2, s11
	flat_load_b64 v[3:4], v[1:2]
.LBB112_2:
	s_bitcmp1_b32 s3, 8
	s_cselect_b32 s14, -1, 0
	s_delay_alu instid0(SALU_CYCLE_1)
	s_and_b32 s3, s14, exec_lo
	s_cselect_b32 s11, s9, 0
	s_cselect_b32 s10, s8, 0
	s_xor_b32 s3, s14, -1
	v_dual_mov_b32 v1, s10 :: v_dual_mov_b32 v2, s11
	s_or_b32 s3, s3, s13
	s_delay_alu instid0(SALU_CYCLE_1)
	s_and_b32 vcc_lo, exec_lo, s3
	s_cbranch_vccnz .LBB112_4
; %bb.3:
	v_dual_mov_b32 v1, s8 :: v_dual_mov_b32 v2, s9
	flat_load_b64 v[1:2], v[1:2]
.LBB112_4:
	s_load_b64 s[34:35], s[0:1], 0x0
	v_lshl_add_u32 v19, v0, 3, 0
	s_mov_b32 s8, 0
	s_delay_alu instid0(SALU_CYCLE_1) | instskip(NEXT) | instid1(SALU_CYCLE_1)
	s_mov_b32 s9, s8
	v_dual_mov_b32 v5, s8 :: v_dual_mov_b32 v6, s9
	s_delay_alu instid0(VALU_DEP_2)
	v_add_nc_u32_e32 v24, 0x10000, v19
	s_mov_b32 s3, s8
	s_waitcnt lgkmcnt(0)
	v_dual_mov_b32 v7, s34 :: v_dual_mov_b32 v8, s35
	v_dual_mov_b32 v9, s34 :: v_dual_mov_b32 v10, s35
	;; [unrolled: 1-line block ×6, first 2 shown]
	v_mov_b32_e32 v20, s34
	v_dual_mov_b32 v22, s34 :: v_dual_mov_b32 v23, s35
	v_mov_b32_e32 v21, s35
	ds_store_2addr_stride64_b64 v24, v[5:6], v[5:6] offset1:16
	ds_store_2addr_stride64_b64 v24, v[5:6], v[5:6] offset0:32 offset1:48
	ds_store_2addr_stride64_b64 v24, v[5:6], v[5:6] offset0:64 offset1:80
	;; [unrolled: 1-line block ×3, first 2 shown]
	ds_store_2addr_stride64_b64 v19, v[7:8], v[9:10] offset1:16
	ds_store_2addr_stride64_b64 v19, v[11:12], v[13:14] offset0:32 offset1:48
	ds_store_2addr_stride64_b64 v19, v[15:16], v[17:18] offset0:64 offset1:80
	;; [unrolled: 1-line block ×3, first 2 shown]
	s_waitcnt vmcnt(0) lgkmcnt(0)
	s_barrier
	buffer_gl0_inv
	s_load_b64 s[4:5], s[4:5], 0x0
	s_waitcnt lgkmcnt(0)
	s_lshl_b64 s[4:5], s[4:5], 3
	s_delay_alu instid0(SALU_CYCLE_1) | instskip(SKIP_2) | instid1(SALU_CYCLE_1)
	s_add_u32 s4, s6, s4
	s_addc_u32 s5, s7, s5
	s_lshl_b64 s[2:3], s[2:3], 3
	s_add_u32 s2, s4, s2
	s_addc_u32 s3, s5, s3
	s_and_not1_b32 vcc_lo, exec_lo, s12
	s_load_b64 s[40:41], s[2:3], 0x0
	s_cbranch_vccnz .LBB112_28
; %bb.5:
	s_load_b64 s[2:3], s[0:1], 0x20
	s_waitcnt lgkmcnt(0)
	s_lshl_b64 s[4:5], s[40:41], 3
	v_lshrrev_b32_e32 v5, 6, v0
	s_mov_b32 s15, exec_lo
	s_add_u32 s2, s2, s4
	s_addc_u32 s3, s3, s5
	s_load_b128 s[4:7], s[2:3], 0x0
	v_sub_co_u32 v5, s2, v5, s36
	s_delay_alu instid0(VALU_DEP_1) | instskip(SKIP_1) | instid1(VALU_DEP_2)
	v_sub_co_ci_u32_e64 v6, null, 0, 0, s2
	s_waitcnt lgkmcnt(0)
	v_add_co_u32 v5, vcc_lo, s4, v5
	s_delay_alu instid0(VALU_DEP_2)
	v_add_co_ci_u32_e32 v6, vcc_lo, s5, v6, vcc_lo
	s_sub_u32 s2, s6, s36
	s_subb_u32 s3, s7, 0
	s_delay_alu instid0(VALU_DEP_1) | instid1(SALU_CYCLE_1)
	v_cmpx_gt_i64_e64 s[2:3], v[5:6]
	s_cbranch_execz .LBB112_27
; %bb.6:
	s_clause 0x1
	s_load_b64 s[12:13], s[0:1], 0x48
	s_load_b256 s[4:11], s[0:1], 0x28
	v_and_b32_e32 v7, 63, v0
	s_mov_b32 s17, s37
	s_delay_alu instid0(VALU_DEP_1) | instskip(NEXT) | instid1(VALU_DEP_1)
	v_sub_co_u32 v20, s16, v7, s37
	v_sub_co_ci_u32_e64 v21, null, 0, 0, s16
	s_mov_b32 s16, 0
	s_branch .LBB112_8
.LBB112_7:                              ;   in Loop: Header=BB112_8 Depth=1
	s_or_b32 exec_lo, exec_lo, s18
	v_add_co_u32 v5, vcc_lo, v5, 16
	v_add_co_ci_u32_e32 v6, vcc_lo, 0, v6, vcc_lo
	s_delay_alu instid0(VALU_DEP_1) | instskip(SKIP_1) | instid1(SALU_CYCLE_1)
	v_cmp_le_i64_e32 vcc_lo, s[2:3], v[5:6]
	s_or_b32 s16, vcc_lo, s16
	s_and_not1_b32 exec_lo, exec_lo, s16
	s_cbranch_execz .LBB112_27
.LBB112_8:                              ; =>This Loop Header: Depth=1
                                        ;     Child Loop BB112_11 Depth 2
                                        ;       Child Loop BB112_13 Depth 3
                                        ;         Child Loop BB112_19 Depth 4
                                        ;         Child Loop BB112_25 Depth 4
	v_lshlrev_b64 v[11:12], 3, v[5:6]
	s_mov_b32 s18, exec_lo
	s_waitcnt lgkmcnt(0)
	s_delay_alu instid0(VALU_DEP_1) | instskip(NEXT) | instid1(VALU_DEP_2)
	v_add_co_u32 v7, vcc_lo, s4, v11
	v_add_co_ci_u32_e32 v8, vcc_lo, s5, v12, vcc_lo
	global_load_b64 v[7:8], v[7:8], off
	s_waitcnt vmcnt(0)
	v_sub_co_u32 v7, vcc_lo, v7, s36
	v_subrev_co_ci_u32_e32 v8, vcc_lo, 0, v8, vcc_lo
	s_delay_alu instid0(VALU_DEP_1) | instskip(NEXT) | instid1(VALU_DEP_1)
	v_lshlrev_b64 v[7:8], 3, v[7:8]
	v_add_co_u32 v7, vcc_lo, s8, v7
	s_delay_alu instid0(VALU_DEP_2)
	v_add_co_ci_u32_e32 v8, vcc_lo, s9, v8, vcc_lo
	global_load_b128 v[13:16], v[7:8], off
	s_waitcnt vmcnt(0)
	v_sub_co_u32 v7, vcc_lo, v15, s17
	v_subrev_co_ci_u32_e32 v8, vcc_lo, 0, v16, vcc_lo
	v_add_co_u32 v9, vcc_lo, v13, v20
	v_add_co_ci_u32_e32 v10, vcc_lo, v14, v21, vcc_lo
	s_delay_alu instid0(VALU_DEP_1)
	v_cmpx_lt_i64_e64 v[9:10], v[7:8]
	s_cbranch_execz .LBB112_7
; %bb.9:                                ;   in Loop: Header=BB112_8 Depth=1
	v_add_co_u32 v11, vcc_lo, s6, v11
	v_add_co_ci_u32_e32 v12, vcc_lo, s7, v12, vcc_lo
	s_mov_b32 s19, 0
	global_load_b64 v[11:12], v[11:12], off
	s_waitcnt vmcnt(0)
	v_mul_f64 v[11:12], v[3:4], v[11:12]
	s_branch .LBB112_11
.LBB112_10:                             ;   in Loop: Header=BB112_11 Depth=2
	s_or_b32 exec_lo, exec_lo, s20
	v_add_co_u32 v9, vcc_lo, v9, 64
	v_add_co_ci_u32_e32 v10, vcc_lo, 0, v10, vcc_lo
	s_delay_alu instid0(VALU_DEP_1) | instskip(SKIP_1) | instid1(SALU_CYCLE_1)
	v_cmp_ge_i64_e32 vcc_lo, v[9:10], v[7:8]
	s_or_b32 s19, vcc_lo, s19
	s_and_not1_b32 exec_lo, exec_lo, s19
	s_cbranch_execz .LBB112_7
.LBB112_11:                             ;   Parent Loop BB112_8 Depth=1
                                        ; =>  This Loop Header: Depth=2
                                        ;       Child Loop BB112_13 Depth 3
                                        ;         Child Loop BB112_19 Depth 4
                                        ;         Child Loop BB112_25 Depth 4
	v_lshlrev_b64 v[13:14], 3, v[9:10]
	s_mov_b32 s20, 0
	s_delay_alu instid0(VALU_DEP_1) | instskip(NEXT) | instid1(VALU_DEP_2)
	v_add_co_u32 v15, vcc_lo, s12, v13
	v_add_co_ci_u32_e32 v16, vcc_lo, s13, v14, vcc_lo
	v_add_co_u32 v13, vcc_lo, s10, v13
	v_add_co_ci_u32_e32 v14, vcc_lo, s11, v14, vcc_lo
	global_load_b64 v[15:16], v[15:16], off
	global_load_b64 v[17:18], v[13:14], off
	s_waitcnt vmcnt(1)
	v_mul_f64 v[13:14], v[11:12], v[15:16]
	s_waitcnt vmcnt(0)
	v_sub_co_u32 v15, vcc_lo, v17, s17
	v_subrev_co_ci_u32_e32 v16, vcc_lo, 0, v18, vcc_lo
	s_delay_alu instid0(VALU_DEP_2) | instskip(NEXT) | instid1(VALU_DEP_1)
	v_mul_lo_u32 v17, 0x89, v15
	v_and_b32_e32 v22, 0x1fff, v17
	s_branch .LBB112_13
.LBB112_12:                             ;   in Loop: Header=BB112_13 Depth=3
	s_or_b32 exec_lo, exec_lo, s21
	s_xor_b32 s21, s22, -1
	s_delay_alu instid0(SALU_CYCLE_1) | instskip(NEXT) | instid1(SALU_CYCLE_1)
	s_and_b32 s21, exec_lo, s21
	s_or_b32 s20, s21, s20
	s_delay_alu instid0(SALU_CYCLE_1)
	s_and_not1_b32 exec_lo, exec_lo, s20
	s_cbranch_execz .LBB112_10
.LBB112_13:                             ;   Parent Loop BB112_8 Depth=1
                                        ;     Parent Loop BB112_11 Depth=2
                                        ; =>    This Loop Header: Depth=3
                                        ;         Child Loop BB112_19 Depth 4
                                        ;         Child Loop BB112_25 Depth 4
	s_delay_alu instid0(VALU_DEP_1)
	v_lshl_add_u32 v23, v22, 3, 0
	s_mov_b32 s21, exec_lo
                                        ; implicit-def: $sgpr22
	ds_load_b64 v[17:18], v23
	s_waitcnt lgkmcnt(0)
	v_cmpx_ne_u64_e64 v[17:18], v[15:16]
	s_xor_b32 s21, exec_lo, s21
	s_cbranch_execz .LBB112_23
; %bb.14:                               ;   in Loop: Header=BB112_13 Depth=3
	s_mov_b32 s23, exec_lo
                                        ; implicit-def: $sgpr22
	v_cmpx_ne_u64_e64 s[34:35], v[17:18]
	s_xor_b32 s23, exec_lo, s23
; %bb.15:                               ;   in Loop: Header=BB112_13 Depth=3
	v_add_nc_u32_e32 v17, 1, v22
	s_mov_b32 s22, -1
                                        ; implicit-def: $vgpr23
	s_delay_alu instid0(VALU_DEP_1)
	v_and_b32_e32 v22, 0x1fff, v17
; %bb.16:                               ;   in Loop: Header=BB112_13 Depth=3
	s_and_not1_saveexec_b32 s23, s23
	s_cbranch_execz .LBB112_22
; %bb.17:                               ;   in Loop: Header=BB112_13 Depth=3
	v_dual_mov_b32 v17, s34 :: v_dual_mov_b32 v18, s35
	s_mov_b32 s25, -1
	s_mov_b32 s24, exec_lo
	ds_cmpstore_rtn_b64 v[17:18], v23, v[15:16], v[17:18]
	s_waitcnt lgkmcnt(0)
	v_cmpx_eq_u64_e64 s[34:35], v[17:18]
	s_cbranch_execz .LBB112_21
; %bb.18:                               ;   in Loop: Header=BB112_13 Depth=3
	v_lshlrev_b32_e32 v17, 3, v22
	s_mov_b32 s25, 0
	s_delay_alu instid0(VALU_DEP_1)
	v_add3_u32 v23, 0, v17, 0x10000
	ds_load_b64 v[17:18], v23
.LBB112_19:                             ;   Parent Loop BB112_8 Depth=1
                                        ;     Parent Loop BB112_11 Depth=2
                                        ;       Parent Loop BB112_13 Depth=3
                                        ; =>      This Inner Loop Header: Depth=4
	s_waitcnt lgkmcnt(0)
	v_add_f64 v[24:25], v[17:18], v[13:14]
	ds_cmpstore_rtn_b64 v[24:25], v23, v[24:25], v[17:18]
	s_waitcnt lgkmcnt(0)
	v_cmp_eq_u64_e32 vcc_lo, v[24:25], v[17:18]
	v_dual_mov_b32 v17, v24 :: v_dual_mov_b32 v18, v25
	s_or_b32 s25, vcc_lo, s25
	s_delay_alu instid0(SALU_CYCLE_1)
	s_and_not1_b32 exec_lo, exec_lo, s25
	s_cbranch_execnz .LBB112_19
; %bb.20:                               ;   in Loop: Header=BB112_13 Depth=3
	s_or_b32 exec_lo, exec_lo, s25
	s_delay_alu instid0(SALU_CYCLE_1)
	s_xor_b32 s25, exec_lo, -1
.LBB112_21:                             ;   in Loop: Header=BB112_13 Depth=3
	s_or_b32 exec_lo, exec_lo, s24
	s_delay_alu instid0(SALU_CYCLE_1) | instskip(SKIP_1) | instid1(SALU_CYCLE_1)
	s_and_not1_b32 s22, s22, exec_lo
	s_and_b32 s24, s25, exec_lo
	s_or_b32 s22, s22, s24
.LBB112_22:                             ;   in Loop: Header=BB112_13 Depth=3
	s_or_b32 exec_lo, exec_lo, s23
	s_delay_alu instid0(SALU_CYCLE_1)
	s_and_b32 s22, s22, exec_lo
.LBB112_23:                             ;   in Loop: Header=BB112_13 Depth=3
	s_and_not1_saveexec_b32 s21, s21
	s_cbranch_execz .LBB112_12
; %bb.24:                               ;   in Loop: Header=BB112_13 Depth=3
	v_lshlrev_b32_e32 v17, 3, v22
	s_mov_b32 s23, 0
	s_delay_alu instid0(VALU_DEP_1)
	v_add3_u32 v23, 0, v17, 0x10000
	ds_load_b64 v[17:18], v23
.LBB112_25:                             ;   Parent Loop BB112_8 Depth=1
                                        ;     Parent Loop BB112_11 Depth=2
                                        ;       Parent Loop BB112_13 Depth=3
                                        ; =>      This Inner Loop Header: Depth=4
	s_waitcnt lgkmcnt(0)
	v_add_f64 v[24:25], v[17:18], v[13:14]
	ds_cmpstore_rtn_b64 v[24:25], v23, v[24:25], v[17:18]
	s_waitcnt lgkmcnt(0)
	v_cmp_eq_u64_e32 vcc_lo, v[24:25], v[17:18]
	v_dual_mov_b32 v17, v24 :: v_dual_mov_b32 v18, v25
	s_or_b32 s23, vcc_lo, s23
	s_delay_alu instid0(SALU_CYCLE_1)
	s_and_not1_b32 exec_lo, exec_lo, s23
	s_cbranch_execnz .LBB112_25
; %bb.26:                               ;   in Loop: Header=BB112_13 Depth=3
	s_or_b32 exec_lo, exec_lo, s23
	s_delay_alu instid0(SALU_CYCLE_1)
	s_and_not1_b32 s22, s22, exec_lo
	s_branch .LBB112_12
.LBB112_27:
	s_or_b32 exec_lo, exec_lo, s15
.LBB112_28:
	s_clause 0x1
	s_load_b64 s[36:37], s[0:1], 0x80
	s_load_b64 s[42:43], s[0:1], 0x70
	s_and_not1_b32 vcc_lo, exec_lo, s14
	s_cbranch_vccnz .LBB112_49
; %bb.29:
	s_load_b64 s[2:3], s[0:1], 0x58
	s_waitcnt lgkmcnt(0)
	s_lshl_b64 s[4:5], s[40:41], 3
	s_delay_alu instid0(SALU_CYCLE_1) | instskip(SKIP_3) | instid1(VALU_DEP_1)
	s_add_u32 s2, s2, s4
	s_addc_u32 s3, s3, s5
	s_load_b128 s[4:7], s[2:3], 0x0
	v_sub_co_u32 v3, s2, v0, s39
	v_sub_co_ci_u32_e64 v4, null, 0, 0, s2
	s_waitcnt lgkmcnt(0)
	s_delay_alu instid0(VALU_DEP_2) | instskip(NEXT) | instid1(VALU_DEP_2)
	v_add_co_u32 v3, vcc_lo, s4, v3
	v_add_co_ci_u32_e32 v4, vcc_lo, s5, v4, vcc_lo
	s_sub_u32 s4, s6, s39
	s_subb_u32 s5, s7, 0
	s_mov_b32 s6, 0
	s_mov_b32 s7, exec_lo
	v_cmpx_gt_i64_e64 s[4:5], v[3:4]
	s_cbranch_execz .LBB112_48
; %bb.30:
	s_load_b128 s[0:3], s[0:1], 0x60
	s_mov_b32 s8, s39
	s_branch .LBB112_32
.LBB112_31:                             ;   in Loop: Header=BB112_32 Depth=1
	s_or_b32 exec_lo, exec_lo, s9
	v_add_co_u32 v3, vcc_lo, 0x400, v3
	v_add_co_ci_u32_e32 v4, vcc_lo, 0, v4, vcc_lo
	s_delay_alu instid0(VALU_DEP_1) | instskip(SKIP_1) | instid1(SALU_CYCLE_1)
	v_cmp_le_i64_e32 vcc_lo, s[4:5], v[3:4]
	s_or_b32 s6, vcc_lo, s6
	s_and_not1_b32 exec_lo, exec_lo, s6
	s_cbranch_execz .LBB112_48
.LBB112_32:                             ; =>This Loop Header: Depth=1
                                        ;     Child Loop BB112_34 Depth 2
                                        ;       Child Loop BB112_40 Depth 3
                                        ;       Child Loop BB112_46 Depth 3
	v_lshlrev_b64 v[5:6], 3, v[3:4]
	s_mov_b32 s9, 0
	s_waitcnt lgkmcnt(0)
	s_delay_alu instid0(VALU_DEP_1) | instskip(NEXT) | instid1(VALU_DEP_2)
	v_add_co_u32 v7, vcc_lo, s2, v5
	v_add_co_ci_u32_e32 v8, vcc_lo, s3, v6, vcc_lo
	v_add_co_u32 v5, vcc_lo, s0, v5
	v_add_co_ci_u32_e32 v6, vcc_lo, s1, v6, vcc_lo
	global_load_b64 v[7:8], v[7:8], off
	global_load_b64 v[9:10], v[5:6], off
	s_waitcnt vmcnt(1)
	v_mul_f64 v[5:6], v[1:2], v[7:8]
	s_waitcnt vmcnt(0)
	v_sub_co_u32 v7, vcc_lo, v9, s8
	v_subrev_co_ci_u32_e32 v8, vcc_lo, 0, v10, vcc_lo
	s_delay_alu instid0(VALU_DEP_2) | instskip(NEXT) | instid1(VALU_DEP_1)
	v_mul_lo_u32 v9, 0x89, v7
	v_and_b32_e32 v11, 0x1fff, v9
	s_branch .LBB112_34
.LBB112_33:                             ;   in Loop: Header=BB112_34 Depth=2
	s_or_b32 exec_lo, exec_lo, s10
	s_xor_b32 s10, s11, -1
	s_delay_alu instid0(SALU_CYCLE_1) | instskip(NEXT) | instid1(SALU_CYCLE_1)
	s_and_b32 s10, exec_lo, s10
	s_or_b32 s9, s10, s9
	s_delay_alu instid0(SALU_CYCLE_1)
	s_and_not1_b32 exec_lo, exec_lo, s9
	s_cbranch_execz .LBB112_31
.LBB112_34:                             ;   Parent Loop BB112_32 Depth=1
                                        ; =>  This Loop Header: Depth=2
                                        ;       Child Loop BB112_40 Depth 3
                                        ;       Child Loop BB112_46 Depth 3
	s_delay_alu instid0(VALU_DEP_1)
	v_lshl_add_u32 v12, v11, 3, 0
	s_mov_b32 s10, exec_lo
                                        ; implicit-def: $sgpr11
	ds_load_b64 v[9:10], v12
	s_waitcnt lgkmcnt(0)
	v_cmpx_ne_u64_e64 v[9:10], v[7:8]
	s_xor_b32 s10, exec_lo, s10
	s_cbranch_execz .LBB112_44
; %bb.35:                               ;   in Loop: Header=BB112_34 Depth=2
	s_mov_b32 s12, exec_lo
                                        ; implicit-def: $sgpr11
	v_cmpx_ne_u64_e64 s[34:35], v[9:10]
	s_xor_b32 s12, exec_lo, s12
; %bb.36:                               ;   in Loop: Header=BB112_34 Depth=2
	v_add_nc_u32_e32 v9, 1, v11
	s_mov_b32 s11, -1
                                        ; implicit-def: $vgpr12
	s_delay_alu instid0(VALU_DEP_1)
	v_and_b32_e32 v11, 0x1fff, v9
; %bb.37:                               ;   in Loop: Header=BB112_34 Depth=2
	s_and_not1_saveexec_b32 s12, s12
	s_cbranch_execz .LBB112_43
; %bb.38:                               ;   in Loop: Header=BB112_34 Depth=2
	v_dual_mov_b32 v9, s34 :: v_dual_mov_b32 v10, s35
	s_mov_b32 s14, -1
	s_mov_b32 s13, exec_lo
	ds_cmpstore_rtn_b64 v[9:10], v12, v[7:8], v[9:10]
	s_waitcnt lgkmcnt(0)
	v_cmpx_eq_u64_e64 s[34:35], v[9:10]
	s_cbranch_execz .LBB112_42
; %bb.39:                               ;   in Loop: Header=BB112_34 Depth=2
	v_lshlrev_b32_e32 v9, 3, v11
	s_mov_b32 s14, 0
	s_delay_alu instid0(VALU_DEP_1)
	v_add3_u32 v12, 0, v9, 0x10000
	ds_load_b64 v[9:10], v12
.LBB112_40:                             ;   Parent Loop BB112_32 Depth=1
                                        ;     Parent Loop BB112_34 Depth=2
                                        ; =>    This Inner Loop Header: Depth=3
	s_waitcnt lgkmcnt(0)
	v_add_f64 v[13:14], v[9:10], v[5:6]
	ds_cmpstore_rtn_b64 v[13:14], v12, v[13:14], v[9:10]
	s_waitcnt lgkmcnt(0)
	v_cmp_eq_u64_e32 vcc_lo, v[13:14], v[9:10]
	v_dual_mov_b32 v9, v13 :: v_dual_mov_b32 v10, v14
	s_or_b32 s14, vcc_lo, s14
	s_delay_alu instid0(SALU_CYCLE_1)
	s_and_not1_b32 exec_lo, exec_lo, s14
	s_cbranch_execnz .LBB112_40
; %bb.41:                               ;   in Loop: Header=BB112_34 Depth=2
	s_or_b32 exec_lo, exec_lo, s14
	s_delay_alu instid0(SALU_CYCLE_1)
	s_xor_b32 s14, exec_lo, -1
.LBB112_42:                             ;   in Loop: Header=BB112_34 Depth=2
	s_or_b32 exec_lo, exec_lo, s13
	s_delay_alu instid0(SALU_CYCLE_1) | instskip(SKIP_1) | instid1(SALU_CYCLE_1)
	s_and_not1_b32 s11, s11, exec_lo
	s_and_b32 s13, s14, exec_lo
	s_or_b32 s11, s11, s13
.LBB112_43:                             ;   in Loop: Header=BB112_34 Depth=2
	s_or_b32 exec_lo, exec_lo, s12
	s_delay_alu instid0(SALU_CYCLE_1)
	s_and_b32 s11, s11, exec_lo
.LBB112_44:                             ;   in Loop: Header=BB112_34 Depth=2
	s_and_not1_saveexec_b32 s10, s10
	s_cbranch_execz .LBB112_33
; %bb.45:                               ;   in Loop: Header=BB112_34 Depth=2
	v_lshlrev_b32_e32 v9, 3, v11
	s_mov_b32 s12, 0
	s_delay_alu instid0(VALU_DEP_1)
	v_add3_u32 v12, 0, v9, 0x10000
	ds_load_b64 v[9:10], v12
.LBB112_46:                             ;   Parent Loop BB112_32 Depth=1
                                        ;     Parent Loop BB112_34 Depth=2
                                        ; =>    This Inner Loop Header: Depth=3
	s_waitcnt lgkmcnt(0)
	v_add_f64 v[13:14], v[9:10], v[5:6]
	ds_cmpstore_rtn_b64 v[13:14], v12, v[13:14], v[9:10]
	s_waitcnt lgkmcnt(0)
	v_cmp_eq_u64_e32 vcc_lo, v[13:14], v[9:10]
	v_dual_mov_b32 v9, v13 :: v_dual_mov_b32 v10, v14
	s_or_b32 s12, vcc_lo, s12
	s_delay_alu instid0(SALU_CYCLE_1)
	s_and_not1_b32 exec_lo, exec_lo, s12
	s_cbranch_execnz .LBB112_46
; %bb.47:                               ;   in Loop: Header=BB112_34 Depth=2
	s_or_b32 exec_lo, exec_lo, s12
	s_delay_alu instid0(SALU_CYCLE_1)
	s_and_not1_b32 s11, s11, exec_lo
	s_branch .LBB112_33
.LBB112_48:
	s_or_b32 exec_lo, exec_lo, s7
.LBB112_49:
	v_mbcnt_lo_u32_b32 v1, -1, 0
	v_lshrrev_b32_e32 v2, 2, v0
	s_add_i32 s71, 0, 0x200f8
	v_cmp_eq_u32_e32 vcc_lo, 0x3ff, v0
	v_cmp_lt_u32_e64 s0, 31, v0
	v_xor_b32_e32 v1, 63, v1
	v_dual_mov_b32 v14, s71 :: v_dual_and_b32 v3, 0xf8, v2
	v_cmp_lt_u32_e64 s1, 63, v0
	v_cmp_lt_u32_e64 s2, 0x5f, v0
	s_delay_alu instid0(VALU_DEP_4) | instskip(NEXT) | instid1(VALU_DEP_4)
	v_lshrrev_b64 v[1:2], v1, -1
	v_add3_u32 v12, 0, 0x20000, v3
	v_dual_mov_b32 v2, 0 :: v_dual_mov_b32 v5, 0
	v_cmp_lt_u32_e64 s3, 0x7f, v0
	v_cmp_lt_u32_e64 s4, 0x9f, v0
	;; [unrolled: 1-line block ×28, first 2 shown]
	v_or_b32_e32 v13, 0xfffffc00, v0
	v_mov_b32_e32 v3, 0
	s_mov_b32 s39, 0
	s_add_i32 s44, 0, 0x20000
	s_add_i32 s45, 0, 0x20008
	;; [unrolled: 1-line block ×31, first 2 shown]
	s_waitcnt lgkmcnt(0)
	s_barrier
	buffer_gl0_inv
	s_branch .LBB112_51
.LBB112_50:                             ;   in Loop: Header=BB112_51 Depth=1
	s_or_b32 exec_lo, exec_lo, s31
	s_waitcnt lgkmcnt(0)
	s_barrier
	buffer_gl0_inv
	ds_load_b64 v[6:7], v14
	v_add_nc_u32_e32 v13, 0x400, v13
	v_add_nc_u32_e32 v19, 0x2000, v19
	s_delay_alu instid0(VALU_DEP_2) | instskip(NEXT) | instid1(VALU_DEP_1)
	v_cmp_lt_u32_e64 s31, 0x1bff, v13
	s_or_b32 s39, s31, s39
	s_waitcnt lgkmcnt(0)
	v_add_co_u32 v2, s33, v6, v2
	s_delay_alu instid0(VALU_DEP_1)
	v_add_co_ci_u32_e64 v3, s33, v7, v3, s33
	s_and_not1_b32 exec_lo, exec_lo, s39
	s_cbranch_execz .LBB112_117
.LBB112_51:                             ; =>This Inner Loop Header: Depth=1
	ds_load_b64 v[6:7], v19
	v_add_nc_u32_e32 v4, 0x10000, v19
	ds_load_b64 v[8:9], v4
	s_waitcnt lgkmcnt(0)
	s_barrier
	buffer_gl0_inv
	v_cmp_gt_i64_e64 s31, s[34:35], v[6:7]
	s_delay_alu instid0(VALU_DEP_1) | instskip(SKIP_1) | instid1(SALU_CYCLE_1)
	v_and_b32_e32 v10, s31, v1
	s_bcnt1_i32_b32 s33, s31
	v_mov_b32_e32 v4, s33
	s_delay_alu instid0(VALU_DEP_2)
	v_bcnt_u32_b32 v10, v10, 0
	ds_store_b64 v12, v[4:5]
	s_waitcnt lgkmcnt(0)
	s_barrier
	buffer_gl0_inv
	s_and_saveexec_b32 s33, s0
	s_cbranch_execnz .LBB112_84
; %bb.52:                               ;   in Loop: Header=BB112_51 Depth=1
	s_or_b32 exec_lo, exec_lo, s33
	s_and_saveexec_b32 s33, s1
	s_cbranch_execnz .LBB112_85
.LBB112_53:                             ;   in Loop: Header=BB112_51 Depth=1
	s_or_b32 exec_lo, exec_lo, s33
	s_and_saveexec_b32 s33, s2
	s_cbranch_execnz .LBB112_86
.LBB112_54:                             ;   in Loop: Header=BB112_51 Depth=1
	s_or_b32 exec_lo, exec_lo, s33
	s_and_saveexec_b32 s33, s3
	s_cbranch_execnz .LBB112_87
.LBB112_55:                             ;   in Loop: Header=BB112_51 Depth=1
	s_or_b32 exec_lo, exec_lo, s33
	s_and_saveexec_b32 s33, s4
	s_cbranch_execnz .LBB112_88
.LBB112_56:                             ;   in Loop: Header=BB112_51 Depth=1
	s_or_b32 exec_lo, exec_lo, s33
	s_and_saveexec_b32 s33, s5
	s_cbranch_execnz .LBB112_89
.LBB112_57:                             ;   in Loop: Header=BB112_51 Depth=1
	s_or_b32 exec_lo, exec_lo, s33
	s_and_saveexec_b32 s33, s6
	s_cbranch_execnz .LBB112_90
.LBB112_58:                             ;   in Loop: Header=BB112_51 Depth=1
	s_or_b32 exec_lo, exec_lo, s33
	s_and_saveexec_b32 s33, s7
	s_cbranch_execnz .LBB112_91
.LBB112_59:                             ;   in Loop: Header=BB112_51 Depth=1
	s_or_b32 exec_lo, exec_lo, s33
	s_and_saveexec_b32 s33, s8
	s_cbranch_execnz .LBB112_92
.LBB112_60:                             ;   in Loop: Header=BB112_51 Depth=1
	s_or_b32 exec_lo, exec_lo, s33
	s_and_saveexec_b32 s33, s9
	s_cbranch_execnz .LBB112_93
.LBB112_61:                             ;   in Loop: Header=BB112_51 Depth=1
	s_or_b32 exec_lo, exec_lo, s33
	s_and_saveexec_b32 s33, s10
	s_cbranch_execnz .LBB112_94
.LBB112_62:                             ;   in Loop: Header=BB112_51 Depth=1
	s_or_b32 exec_lo, exec_lo, s33
	s_and_saveexec_b32 s33, s11
	s_cbranch_execnz .LBB112_95
.LBB112_63:                             ;   in Loop: Header=BB112_51 Depth=1
	s_or_b32 exec_lo, exec_lo, s33
	s_and_saveexec_b32 s33, s12
	s_cbranch_execnz .LBB112_96
.LBB112_64:                             ;   in Loop: Header=BB112_51 Depth=1
	s_or_b32 exec_lo, exec_lo, s33
	s_and_saveexec_b32 s33, s13
	s_cbranch_execnz .LBB112_97
.LBB112_65:                             ;   in Loop: Header=BB112_51 Depth=1
	s_or_b32 exec_lo, exec_lo, s33
	s_and_saveexec_b32 s33, s14
	s_cbranch_execnz .LBB112_98
.LBB112_66:                             ;   in Loop: Header=BB112_51 Depth=1
	s_or_b32 exec_lo, exec_lo, s33
	s_and_saveexec_b32 s33, s15
	s_cbranch_execnz .LBB112_99
.LBB112_67:                             ;   in Loop: Header=BB112_51 Depth=1
	s_or_b32 exec_lo, exec_lo, s33
	s_and_saveexec_b32 s33, s16
	s_cbranch_execnz .LBB112_100
.LBB112_68:                             ;   in Loop: Header=BB112_51 Depth=1
	s_or_b32 exec_lo, exec_lo, s33
	s_and_saveexec_b32 s33, s17
	s_cbranch_execnz .LBB112_101
.LBB112_69:                             ;   in Loop: Header=BB112_51 Depth=1
	s_or_b32 exec_lo, exec_lo, s33
	s_and_saveexec_b32 s33, s18
	s_cbranch_execnz .LBB112_102
.LBB112_70:                             ;   in Loop: Header=BB112_51 Depth=1
	s_or_b32 exec_lo, exec_lo, s33
	s_and_saveexec_b32 s33, s19
	s_cbranch_execnz .LBB112_103
.LBB112_71:                             ;   in Loop: Header=BB112_51 Depth=1
	s_or_b32 exec_lo, exec_lo, s33
	s_and_saveexec_b32 s33, s20
	s_cbranch_execnz .LBB112_104
.LBB112_72:                             ;   in Loop: Header=BB112_51 Depth=1
	s_or_b32 exec_lo, exec_lo, s33
	s_and_saveexec_b32 s33, s21
	s_cbranch_execnz .LBB112_105
.LBB112_73:                             ;   in Loop: Header=BB112_51 Depth=1
	s_or_b32 exec_lo, exec_lo, s33
	s_and_saveexec_b32 s33, s22
	s_cbranch_execnz .LBB112_106
.LBB112_74:                             ;   in Loop: Header=BB112_51 Depth=1
	s_or_b32 exec_lo, exec_lo, s33
	s_and_saveexec_b32 s33, s23
	s_cbranch_execnz .LBB112_107
.LBB112_75:                             ;   in Loop: Header=BB112_51 Depth=1
	s_or_b32 exec_lo, exec_lo, s33
	s_and_saveexec_b32 s33, s24
	s_cbranch_execnz .LBB112_108
.LBB112_76:                             ;   in Loop: Header=BB112_51 Depth=1
	s_or_b32 exec_lo, exec_lo, s33
	s_and_saveexec_b32 s33, s25
	s_cbranch_execnz .LBB112_109
.LBB112_77:                             ;   in Loop: Header=BB112_51 Depth=1
	s_or_b32 exec_lo, exec_lo, s33
	s_and_saveexec_b32 s33, s26
	s_cbranch_execnz .LBB112_110
.LBB112_78:                             ;   in Loop: Header=BB112_51 Depth=1
	s_or_b32 exec_lo, exec_lo, s33
	s_and_saveexec_b32 s33, s27
	s_cbranch_execnz .LBB112_111
.LBB112_79:                             ;   in Loop: Header=BB112_51 Depth=1
	s_or_b32 exec_lo, exec_lo, s33
	s_and_saveexec_b32 s33, s28
	s_cbranch_execnz .LBB112_112
.LBB112_80:                             ;   in Loop: Header=BB112_51 Depth=1
	s_or_b32 exec_lo, exec_lo, s33
	s_and_saveexec_b32 s33, s29
	s_cbranch_execnz .LBB112_113
.LBB112_81:                             ;   in Loop: Header=BB112_51 Depth=1
	s_or_b32 exec_lo, exec_lo, s33
	s_and_saveexec_b32 s33, s30
	s_cbranch_execnz .LBB112_114
.LBB112_82:                             ;   in Loop: Header=BB112_51 Depth=1
	s_or_b32 exec_lo, exec_lo, s33
	v_ashrrev_i32_e32 v11, 31, v10
	s_and_saveexec_b32 s33, s31
	s_cbranch_execnz .LBB112_115
.LBB112_83:                             ;   in Loop: Header=BB112_51 Depth=1
	s_or_b32 exec_lo, exec_lo, s33
	s_and_saveexec_b32 s31, vcc_lo
	s_cbranch_execz .LBB112_50
	s_branch .LBB112_116
.LBB112_84:                             ;   in Loop: Header=BB112_51 Depth=1
	v_mov_b32_e32 v4, s44
	ds_load_b32 v4, v4
	s_waitcnt lgkmcnt(0)
	v_add_nc_u32_e32 v10, v4, v10
	s_or_b32 exec_lo, exec_lo, s33
	s_and_saveexec_b32 s33, s1
	s_cbranch_execz .LBB112_53
.LBB112_85:                             ;   in Loop: Header=BB112_51 Depth=1
	v_mov_b32_e32 v4, s45
	ds_load_b32 v4, v4
	s_waitcnt lgkmcnt(0)
	v_add_nc_u32_e32 v10, v10, v4
	s_or_b32 exec_lo, exec_lo, s33
	s_and_saveexec_b32 s33, s2
	s_cbranch_execz .LBB112_54
.LBB112_86:                             ;   in Loop: Header=BB112_51 Depth=1
	v_mov_b32_e32 v4, s46
	ds_load_b32 v4, v4
	s_waitcnt lgkmcnt(0)
	v_add_nc_u32_e32 v10, v10, v4
	s_or_b32 exec_lo, exec_lo, s33
	s_and_saveexec_b32 s33, s3
	s_cbranch_execz .LBB112_55
.LBB112_87:                             ;   in Loop: Header=BB112_51 Depth=1
	v_mov_b32_e32 v4, s47
	ds_load_b32 v4, v4
	s_waitcnt lgkmcnt(0)
	v_add_nc_u32_e32 v10, v10, v4
	s_or_b32 exec_lo, exec_lo, s33
	s_and_saveexec_b32 s33, s4
	s_cbranch_execz .LBB112_56
.LBB112_88:                             ;   in Loop: Header=BB112_51 Depth=1
	v_mov_b32_e32 v4, s48
	ds_load_b32 v4, v4
	s_waitcnt lgkmcnt(0)
	v_add_nc_u32_e32 v10, v10, v4
	s_or_b32 exec_lo, exec_lo, s33
	s_and_saveexec_b32 s33, s5
	s_cbranch_execz .LBB112_57
.LBB112_89:                             ;   in Loop: Header=BB112_51 Depth=1
	v_mov_b32_e32 v4, s49
	ds_load_b32 v4, v4
	s_waitcnt lgkmcnt(0)
	v_add_nc_u32_e32 v10, v10, v4
	s_or_b32 exec_lo, exec_lo, s33
	s_and_saveexec_b32 s33, s6
	s_cbranch_execz .LBB112_58
.LBB112_90:                             ;   in Loop: Header=BB112_51 Depth=1
	v_mov_b32_e32 v4, s50
	ds_load_b32 v4, v4
	s_waitcnt lgkmcnt(0)
	v_add_nc_u32_e32 v10, v10, v4
	s_or_b32 exec_lo, exec_lo, s33
	s_and_saveexec_b32 s33, s7
	s_cbranch_execz .LBB112_59
.LBB112_91:                             ;   in Loop: Header=BB112_51 Depth=1
	v_mov_b32_e32 v4, s51
	ds_load_b32 v4, v4
	s_waitcnt lgkmcnt(0)
	v_add_nc_u32_e32 v10, v10, v4
	s_or_b32 exec_lo, exec_lo, s33
	s_and_saveexec_b32 s33, s8
	s_cbranch_execz .LBB112_60
.LBB112_92:                             ;   in Loop: Header=BB112_51 Depth=1
	v_mov_b32_e32 v4, s52
	ds_load_b32 v4, v4
	s_waitcnt lgkmcnt(0)
	v_add_nc_u32_e32 v10, v10, v4
	s_or_b32 exec_lo, exec_lo, s33
	s_and_saveexec_b32 s33, s9
	s_cbranch_execz .LBB112_61
.LBB112_93:                             ;   in Loop: Header=BB112_51 Depth=1
	v_mov_b32_e32 v4, s53
	ds_load_b32 v4, v4
	s_waitcnt lgkmcnt(0)
	v_add_nc_u32_e32 v10, v10, v4
	s_or_b32 exec_lo, exec_lo, s33
	s_and_saveexec_b32 s33, s10
	s_cbranch_execz .LBB112_62
.LBB112_94:                             ;   in Loop: Header=BB112_51 Depth=1
	v_mov_b32_e32 v4, s54
	ds_load_b32 v4, v4
	s_waitcnt lgkmcnt(0)
	v_add_nc_u32_e32 v10, v10, v4
	s_or_b32 exec_lo, exec_lo, s33
	s_and_saveexec_b32 s33, s11
	s_cbranch_execz .LBB112_63
.LBB112_95:                             ;   in Loop: Header=BB112_51 Depth=1
	v_mov_b32_e32 v4, s55
	ds_load_b32 v4, v4
	s_waitcnt lgkmcnt(0)
	v_add_nc_u32_e32 v10, v10, v4
	s_or_b32 exec_lo, exec_lo, s33
	s_and_saveexec_b32 s33, s12
	s_cbranch_execz .LBB112_64
.LBB112_96:                             ;   in Loop: Header=BB112_51 Depth=1
	v_mov_b32_e32 v4, s56
	ds_load_b32 v4, v4
	s_waitcnt lgkmcnt(0)
	v_add_nc_u32_e32 v10, v10, v4
	s_or_b32 exec_lo, exec_lo, s33
	s_and_saveexec_b32 s33, s13
	s_cbranch_execz .LBB112_65
.LBB112_97:                             ;   in Loop: Header=BB112_51 Depth=1
	v_mov_b32_e32 v4, s57
	ds_load_b32 v4, v4
	s_waitcnt lgkmcnt(0)
	v_add_nc_u32_e32 v10, v10, v4
	s_or_b32 exec_lo, exec_lo, s33
	s_and_saveexec_b32 s33, s14
	s_cbranch_execz .LBB112_66
.LBB112_98:                             ;   in Loop: Header=BB112_51 Depth=1
	v_mov_b32_e32 v4, s58
	ds_load_b32 v4, v4
	s_waitcnt lgkmcnt(0)
	v_add_nc_u32_e32 v10, v10, v4
	s_or_b32 exec_lo, exec_lo, s33
	s_and_saveexec_b32 s33, s15
	s_cbranch_execz .LBB112_67
.LBB112_99:                             ;   in Loop: Header=BB112_51 Depth=1
	v_mov_b32_e32 v4, s59
	ds_load_b32 v4, v4
	s_waitcnt lgkmcnt(0)
	v_add_nc_u32_e32 v10, v10, v4
	s_or_b32 exec_lo, exec_lo, s33
	s_and_saveexec_b32 s33, s16
	s_cbranch_execz .LBB112_68
.LBB112_100:                            ;   in Loop: Header=BB112_51 Depth=1
	v_mov_b32_e32 v4, s60
	ds_load_b32 v4, v4
	s_waitcnt lgkmcnt(0)
	v_add_nc_u32_e32 v10, v10, v4
	s_or_b32 exec_lo, exec_lo, s33
	s_and_saveexec_b32 s33, s17
	s_cbranch_execz .LBB112_69
.LBB112_101:                            ;   in Loop: Header=BB112_51 Depth=1
	v_mov_b32_e32 v4, s61
	ds_load_b32 v4, v4
	s_waitcnt lgkmcnt(0)
	v_add_nc_u32_e32 v10, v10, v4
	s_or_b32 exec_lo, exec_lo, s33
	s_and_saveexec_b32 s33, s18
	s_cbranch_execz .LBB112_70
.LBB112_102:                            ;   in Loop: Header=BB112_51 Depth=1
	v_mov_b32_e32 v4, s62
	ds_load_b32 v4, v4
	s_waitcnt lgkmcnt(0)
	v_add_nc_u32_e32 v10, v10, v4
	s_or_b32 exec_lo, exec_lo, s33
	s_and_saveexec_b32 s33, s19
	s_cbranch_execz .LBB112_71
.LBB112_103:                            ;   in Loop: Header=BB112_51 Depth=1
	v_mov_b32_e32 v4, s63
	ds_load_b32 v4, v4
	s_waitcnt lgkmcnt(0)
	v_add_nc_u32_e32 v10, v10, v4
	s_or_b32 exec_lo, exec_lo, s33
	s_and_saveexec_b32 s33, s20
	s_cbranch_execz .LBB112_72
.LBB112_104:                            ;   in Loop: Header=BB112_51 Depth=1
	v_mov_b32_e32 v4, s64
	ds_load_b32 v4, v4
	s_waitcnt lgkmcnt(0)
	v_add_nc_u32_e32 v10, v10, v4
	s_or_b32 exec_lo, exec_lo, s33
	s_and_saveexec_b32 s33, s21
	s_cbranch_execz .LBB112_73
.LBB112_105:                            ;   in Loop: Header=BB112_51 Depth=1
	v_mov_b32_e32 v4, s65
	ds_load_b32 v4, v4
	s_waitcnt lgkmcnt(0)
	v_add_nc_u32_e32 v10, v10, v4
	s_or_b32 exec_lo, exec_lo, s33
	s_and_saveexec_b32 s33, s22
	s_cbranch_execz .LBB112_74
.LBB112_106:                            ;   in Loop: Header=BB112_51 Depth=1
	v_mov_b32_e32 v4, s66
	ds_load_b32 v4, v4
	s_waitcnt lgkmcnt(0)
	v_add_nc_u32_e32 v10, v10, v4
	s_or_b32 exec_lo, exec_lo, s33
	s_and_saveexec_b32 s33, s23
	s_cbranch_execz .LBB112_75
.LBB112_107:                            ;   in Loop: Header=BB112_51 Depth=1
	v_mov_b32_e32 v4, s67
	ds_load_b32 v4, v4
	s_waitcnt lgkmcnt(0)
	v_add_nc_u32_e32 v10, v10, v4
	s_or_b32 exec_lo, exec_lo, s33
	s_and_saveexec_b32 s33, s24
	s_cbranch_execz .LBB112_76
.LBB112_108:                            ;   in Loop: Header=BB112_51 Depth=1
	v_mov_b32_e32 v4, s68
	ds_load_b32 v4, v4
	s_waitcnt lgkmcnt(0)
	v_add_nc_u32_e32 v10, v10, v4
	s_or_b32 exec_lo, exec_lo, s33
	s_and_saveexec_b32 s33, s25
	s_cbranch_execz .LBB112_77
.LBB112_109:                            ;   in Loop: Header=BB112_51 Depth=1
	v_mov_b32_e32 v4, s69
	ds_load_b32 v4, v4
	s_waitcnt lgkmcnt(0)
	v_add_nc_u32_e32 v10, v10, v4
	s_or_b32 exec_lo, exec_lo, s33
	s_and_saveexec_b32 s33, s26
	s_cbranch_execz .LBB112_78
.LBB112_110:                            ;   in Loop: Header=BB112_51 Depth=1
	v_mov_b32_e32 v4, s70
	ds_load_b32 v4, v4
	s_waitcnt lgkmcnt(0)
	v_add_nc_u32_e32 v10, v10, v4
	s_or_b32 exec_lo, exec_lo, s33
	s_and_saveexec_b32 s33, s27
	s_cbranch_execz .LBB112_79
.LBB112_111:                            ;   in Loop: Header=BB112_51 Depth=1
	v_mov_b32_e32 v4, s72
	ds_load_b32 v4, v4
	s_waitcnt lgkmcnt(0)
	v_add_nc_u32_e32 v10, v10, v4
	s_or_b32 exec_lo, exec_lo, s33
	s_and_saveexec_b32 s33, s28
	s_cbranch_execz .LBB112_80
.LBB112_112:                            ;   in Loop: Header=BB112_51 Depth=1
	v_mov_b32_e32 v4, s73
	ds_load_b32 v4, v4
	s_waitcnt lgkmcnt(0)
	v_add_nc_u32_e32 v10, v10, v4
	s_or_b32 exec_lo, exec_lo, s33
	s_and_saveexec_b32 s33, s29
	s_cbranch_execz .LBB112_81
.LBB112_113:                            ;   in Loop: Header=BB112_51 Depth=1
	v_mov_b32_e32 v4, s74
	ds_load_b32 v4, v4
	s_waitcnt lgkmcnt(0)
	v_add_nc_u32_e32 v10, v10, v4
	s_or_b32 exec_lo, exec_lo, s33
	s_and_saveexec_b32 s33, s30
	s_cbranch_execz .LBB112_82
.LBB112_114:                            ;   in Loop: Header=BB112_51 Depth=1
	v_mov_b32_e32 v4, s75
	ds_load_b32 v4, v4
	s_waitcnt lgkmcnt(0)
	v_add_nc_u32_e32 v10, v10, v4
	s_or_b32 exec_lo, exec_lo, s33
	s_delay_alu instid0(VALU_DEP_1)
	v_ashrrev_i32_e32 v11, 31, v10
	s_and_saveexec_b32 s33, s31
	s_cbranch_execz .LBB112_83
.LBB112_115:                            ;   in Loop: Header=BB112_51 Depth=1
	v_add3_u32 v4, v2, -1, v10
	s_delay_alu instid0(VALU_DEP_1) | instskip(NEXT) | instid1(VALU_DEP_1)
	v_lshl_add_u32 v4, v4, 3, 0
	v_add_nc_u32_e32 v15, 0x10000, v4
	ds_store_b64 v4, v[6:7]
	ds_store_b64 v15, v[8:9]
	s_or_b32 exec_lo, exec_lo, s33
	s_and_saveexec_b32 s31, vcc_lo
	s_cbranch_execz .LBB112_50
.LBB112_116:                            ;   in Loop: Header=BB112_51 Depth=1
	v_mov_b32_e32 v4, s71
	ds_store_b64 v4, v[10:11]
	s_branch .LBB112_50
.LBB112_117:
	s_or_b32 exec_lo, exec_lo, s39
	s_lshl_b64 s[0:1], s[40:41], 3
	v_mov_b32_e32 v1, 0
	s_add_u32 s0, s42, s0
	s_addc_u32 s1, s43, s1
	s_mov_b32 s6, exec_lo
	s_load_b128 s[0:3], s[0:1], 0x0
	s_waitcnt lgkmcnt(0)
	s_sub_u32 s4, s2, s0
	s_subb_u32 s5, s3, s1
	s_delay_alu instid0(SALU_CYCLE_1)
	v_cmpx_gt_i64_e64 s[4:5], v[0:1]
	s_cbranch_execz .LBB112_127
; %bb.118:
	s_sub_u32 s8, s0, s38
	s_subb_u32 s9, s1, 0
	s_and_b32 s6, s4, 7
	s_sub_u32 s0, s0, s2
	s_subb_u32 s1, s1, s3
	s_mov_b32 s7, 0
	v_cmp_lt_u64_e64 s12, s[0:1], -7
	s_and_b32 s2, s4, -8
	s_cmp_lg_u64 s[6:7], 0
	s_mov_b32 s3, s5
	s_cselect_b32 s13, -1, 0
	s_mov_b32 s14, s7
	s_branch .LBB112_120
.LBB112_119:                            ;   in Loop: Header=BB112_120 Depth=1
	v_add_co_u32 v0, vcc_lo, 0x400, v0
	v_add_co_ci_u32_e32 v1, vcc_lo, 0, v1, vcc_lo
	s_waitcnt lgkmcnt(1)
	v_lshlrev_b64 v[4:5], 3, v[6:7]
	s_delay_alu instid0(VALU_DEP_2) | instskip(NEXT) | instid1(VALU_DEP_2)
	v_cmp_le_i64_e32 vcc_lo, s[4:5], v[0:1]
	v_add_co_u32 v4, s0, s36, v4
	s_delay_alu instid0(VALU_DEP_1)
	v_add_co_ci_u32_e64 v5, s0, s37, v5, s0
	s_or_b32 s14, vcc_lo, s14
	s_waitcnt lgkmcnt(0)
	global_store_b64 v[4:5], v[2:3], off
	s_and_not1_b32 exec_lo, exec_lo, s14
	s_cbranch_execz .LBB112_127
.LBB112_120:                            ; =>This Loop Header: Depth=1
                                        ;     Child Loop BB112_122 Depth 2
                                        ;     Child Loop BB112_126 Depth 2
	v_lshl_add_u32 v2, v0, 3, 0
	s_and_not1_b32 vcc_lo, exec_lo, s12
	s_mov_b64 s[0:1], 0
	v_dual_mov_b32 v6, s8 :: v_dual_mov_b32 v7, s9
	s_delay_alu instid0(VALU_DEP_2)
	v_add_nc_u32_e32 v3, 0x10000, v2
	ds_load_b64 v[4:5], v2
	ds_load_b64 v[2:3], v3
	s_cbranch_vccnz .LBB112_124
; %bb.121:                              ;   in Loop: Header=BB112_120 Depth=1
	v_dual_mov_b32 v6, s8 :: v_dual_mov_b32 v7, s9
	s_mov_b64 s[10:11], 0
	s_mov_b32 s1, 0
.LBB112_122:                            ;   Parent Loop BB112_120 Depth=1
                                        ; =>  This Inner Loop Header: Depth=2
	s_delay_alu instid0(SALU_CYCLE_1)
	v_mov_b32_e32 v20, s1
	s_add_u32 s10, s10, 8
	s_addc_u32 s11, s11, 0
	s_add_i32 s1, s1, 64
	s_cmp_eq_u64 s[2:3], s[10:11]
	ds_load_2addr_b64 v[8:11], v20 offset1:1
	ds_load_2addr_b64 v[12:15], v20 offset0:2 offset1:3
	ds_load_2addr_b64 v[16:19], v20 offset0:4 offset1:5
	;; [unrolled: 1-line block ×3, first 2 shown]
	s_waitcnt lgkmcnt(3)
	v_cmp_gt_i64_e32 vcc_lo, v[4:5], v[8:9]
	v_cndmask_b32_e64 v8, 0, 1, vcc_lo
	v_cmp_gt_i64_e32 vcc_lo, v[4:5], v[10:11]
	v_cndmask_b32_e64 v9, 0, 1, vcc_lo
	s_waitcnt lgkmcnt(2)
	v_cmp_gt_i64_e32 vcc_lo, v[4:5], v[12:13]
	v_cndmask_b32_e64 v10, 0, 1, vcc_lo
	v_cmp_gt_i64_e32 vcc_lo, v[4:5], v[14:15]
	v_cndmask_b32_e64 v11, 0, 1, vcc_lo
	s_waitcnt lgkmcnt(1)
	v_cmp_gt_i64_e32 vcc_lo, v[4:5], v[16:17]
	v_cndmask_b32_e64 v12, 0, 1, vcc_lo
	v_add_co_u32 v6, vcc_lo, v6, v8
	v_add_co_ci_u32_e32 v7, vcc_lo, 0, v7, vcc_lo
	v_cmp_gt_i64_e32 vcc_lo, v[4:5], v[18:19]
	s_delay_alu instid0(VALU_DEP_3) | instskip(NEXT) | instid1(VALU_DEP_1)
	v_add_co_u32 v6, s0, v6, v9
	v_add_co_ci_u32_e64 v7, s0, 0, v7, s0
	v_cndmask_b32_e64 v8, 0, 1, vcc_lo
	s_delay_alu instid0(VALU_DEP_3) | instskip(NEXT) | instid1(VALU_DEP_3)
	v_add_co_u32 v6, vcc_lo, v6, v10
	v_add_co_ci_u32_e32 v7, vcc_lo, 0, v7, vcc_lo
	s_waitcnt lgkmcnt(0)
	v_cmp_gt_i64_e32 vcc_lo, v[4:5], v[20:21]
	s_delay_alu instid0(VALU_DEP_3) | instskip(NEXT) | instid1(VALU_DEP_1)
	v_add_co_u32 v6, s0, v6, v11
	v_add_co_ci_u32_e64 v7, s0, 0, v7, s0
	v_cndmask_b32_e64 v9, 0, 1, vcc_lo
	s_delay_alu instid0(VALU_DEP_3) | instskip(NEXT) | instid1(VALU_DEP_3)
	v_add_co_u32 v6, vcc_lo, v6, v12
	v_add_co_ci_u32_e32 v7, vcc_lo, 0, v7, vcc_lo
	v_cmp_gt_i64_e32 vcc_lo, v[4:5], v[22:23]
	s_delay_alu instid0(VALU_DEP_3) | instskip(NEXT) | instid1(VALU_DEP_1)
	v_add_co_u32 v6, s0, v6, v8
	v_add_co_ci_u32_e64 v7, s0, 0, v7, s0
	v_cndmask_b32_e64 v8, 0, 1, vcc_lo
	s_delay_alu instid0(VALU_DEP_3) | instskip(NEXT) | instid1(VALU_DEP_3)
	v_add_co_u32 v6, vcc_lo, v6, v9
	v_add_co_ci_u32_e32 v7, vcc_lo, 0, v7, vcc_lo
	s_delay_alu instid0(VALU_DEP_2) | instskip(NEXT) | instid1(VALU_DEP_2)
	v_add_co_u32 v6, vcc_lo, v6, v8
	v_add_co_ci_u32_e32 v7, vcc_lo, 0, v7, vcc_lo
	s_cbranch_scc0 .LBB112_122
; %bb.123:                              ;   in Loop: Header=BB112_120 Depth=1
	s_mov_b64 s[0:1], s[2:3]
.LBB112_124:                            ;   in Loop: Header=BB112_120 Depth=1
	s_and_not1_b32 vcc_lo, exec_lo, s13
	s_cbranch_vccnz .LBB112_119
; %bb.125:                              ;   in Loop: Header=BB112_120 Depth=1
	s_lshl_b32 s0, s0, 3
	s_delay_alu instid0(SALU_CYCLE_1)
	s_add_i32 s10, s0, 0
	s_mov_b64 s[0:1], s[6:7]
.LBB112_126:                            ;   Parent Loop BB112_120 Depth=1
                                        ; =>  This Inner Loop Header: Depth=2
	v_mov_b32_e32 v8, s10
	s_add_i32 s10, s10, 8
	s_add_u32 s0, s0, -1
	s_addc_u32 s1, s1, -1
	s_delay_alu instid0(SALU_CYCLE_1) | instskip(SKIP_4) | instid1(VALU_DEP_1)
	s_cmp_lg_u64 s[0:1], 0
	ds_load_b64 v[8:9], v8
	s_waitcnt lgkmcnt(0)
	v_cmp_gt_i64_e32 vcc_lo, v[4:5], v[8:9]
	v_cndmask_b32_e64 v8, 0, 1, vcc_lo
	v_add_co_u32 v6, vcc_lo, v6, v8
	v_add_co_ci_u32_e32 v7, vcc_lo, 0, v7, vcc_lo
	s_cbranch_scc1 .LBB112_126
	s_branch .LBB112_119
.LBB112_127:
	s_nop 0
	s_sendmsg sendmsg(MSG_DEALLOC_VGPRS)
	s_endpgm
	.section	.rodata,"a",@progbits
	.p2align	6, 0x0
	.amdhsa_kernel _ZN9rocsparseL41csrgemm_numeric_fill_block_per_row_kernelILj1024ELj64ELj8192ELj137ELj32ElldEEvT5_PKS1_S3_NS_24const_host_device_scalarIT6_EEPKT4_S3_PKS5_S9_S3_SB_S6_S9_S3_SB_S9_S3_PS5_21rocsparse_index_base_SD_SD_SD_bbb
		.amdhsa_group_segment_fixed_size 0
		.amdhsa_private_segment_fixed_size 0
		.amdhsa_kernarg_size 156
		.amdhsa_user_sgpr_count 15
		.amdhsa_user_sgpr_dispatch_ptr 0
		.amdhsa_user_sgpr_queue_ptr 0
		.amdhsa_user_sgpr_kernarg_segment_ptr 1
		.amdhsa_user_sgpr_dispatch_id 0
		.amdhsa_user_sgpr_private_segment_size 0
		.amdhsa_wavefront_size32 1
		.amdhsa_uses_dynamic_stack 0
		.amdhsa_enable_private_segment 0
		.amdhsa_system_sgpr_workgroup_id_x 1
		.amdhsa_system_sgpr_workgroup_id_y 0
		.amdhsa_system_sgpr_workgroup_id_z 0
		.amdhsa_system_sgpr_workgroup_info 0
		.amdhsa_system_vgpr_workitem_id 0
		.amdhsa_next_free_vgpr 26
		.amdhsa_next_free_sgpr 76
		.amdhsa_reserve_vcc 1
		.amdhsa_float_round_mode_32 0
		.amdhsa_float_round_mode_16_64 0
		.amdhsa_float_denorm_mode_32 3
		.amdhsa_float_denorm_mode_16_64 3
		.amdhsa_dx10_clamp 1
		.amdhsa_ieee_mode 1
		.amdhsa_fp16_overflow 0
		.amdhsa_workgroup_processor_mode 1
		.amdhsa_memory_ordered 1
		.amdhsa_forward_progress 0
		.amdhsa_shared_vgpr_count 0
		.amdhsa_exception_fp_ieee_invalid_op 0
		.amdhsa_exception_fp_denorm_src 0
		.amdhsa_exception_fp_ieee_div_zero 0
		.amdhsa_exception_fp_ieee_overflow 0
		.amdhsa_exception_fp_ieee_underflow 0
		.amdhsa_exception_fp_ieee_inexact 0
		.amdhsa_exception_int_div_zero 0
	.end_amdhsa_kernel
	.section	.text._ZN9rocsparseL41csrgemm_numeric_fill_block_per_row_kernelILj1024ELj64ELj8192ELj137ELj32ElldEEvT5_PKS1_S3_NS_24const_host_device_scalarIT6_EEPKT4_S3_PKS5_S9_S3_SB_S6_S9_S3_SB_S9_S3_PS5_21rocsparse_index_base_SD_SD_SD_bbb,"axG",@progbits,_ZN9rocsparseL41csrgemm_numeric_fill_block_per_row_kernelILj1024ELj64ELj8192ELj137ELj32ElldEEvT5_PKS1_S3_NS_24const_host_device_scalarIT6_EEPKT4_S3_PKS5_S9_S3_SB_S6_S9_S3_SB_S9_S3_PS5_21rocsparse_index_base_SD_SD_SD_bbb,comdat
.Lfunc_end112:
	.size	_ZN9rocsparseL41csrgemm_numeric_fill_block_per_row_kernelILj1024ELj64ELj8192ELj137ELj32ElldEEvT5_PKS1_S3_NS_24const_host_device_scalarIT6_EEPKT4_S3_PKS5_S9_S3_SB_S6_S9_S3_SB_S9_S3_PS5_21rocsparse_index_base_SD_SD_SD_bbb, .Lfunc_end112-_ZN9rocsparseL41csrgemm_numeric_fill_block_per_row_kernelILj1024ELj64ELj8192ELj137ELj32ElldEEvT5_PKS1_S3_NS_24const_host_device_scalarIT6_EEPKT4_S3_PKS5_S9_S3_SB_S6_S9_S3_SB_S9_S3_PS5_21rocsparse_index_base_SD_SD_SD_bbb
                                        ; -- End function
	.section	.AMDGPU.csdata,"",@progbits
; Kernel info:
; codeLenInByte = 5152
; NumSgprs: 78
; NumVgprs: 26
; ScratchSize: 0
; MemoryBound: 0
; FloatMode: 240
; IeeeMode: 1
; LDSByteSize: 0 bytes/workgroup (compile time only)
; SGPRBlocks: 9
; VGPRBlocks: 3
; NumSGPRsForWavesPerEU: 78
; NumVGPRsForWavesPerEU: 26
; Occupancy: 16
; WaveLimiterHint : 1
; COMPUTE_PGM_RSRC2:SCRATCH_EN: 0
; COMPUTE_PGM_RSRC2:USER_SGPR: 15
; COMPUTE_PGM_RSRC2:TRAP_HANDLER: 0
; COMPUTE_PGM_RSRC2:TGID_X_EN: 1
; COMPUTE_PGM_RSRC2:TGID_Y_EN: 0
; COMPUTE_PGM_RSRC2:TGID_Z_EN: 0
; COMPUTE_PGM_RSRC2:TIDIG_COMP_CNT: 0
	.section	.text._ZN9rocsparseL41csrgemm_numeric_fill_block_per_row_kernelILj1024ELj64ELj8192ELj137ELj64ElldEEvT5_PKS1_S3_NS_24const_host_device_scalarIT6_EEPKT4_S3_PKS5_S9_S3_SB_S6_S9_S3_SB_S9_S3_PS5_21rocsparse_index_base_SD_SD_SD_bbb,"axG",@progbits,_ZN9rocsparseL41csrgemm_numeric_fill_block_per_row_kernelILj1024ELj64ELj8192ELj137ELj64ElldEEvT5_PKS1_S3_NS_24const_host_device_scalarIT6_EEPKT4_S3_PKS5_S9_S3_SB_S6_S9_S3_SB_S9_S3_PS5_21rocsparse_index_base_SD_SD_SD_bbb,comdat
	.globl	_ZN9rocsparseL41csrgemm_numeric_fill_block_per_row_kernelILj1024ELj64ELj8192ELj137ELj64ElldEEvT5_PKS1_S3_NS_24const_host_device_scalarIT6_EEPKT4_S3_PKS5_S9_S3_SB_S6_S9_S3_SB_S9_S3_PS5_21rocsparse_index_base_SD_SD_SD_bbb ; -- Begin function _ZN9rocsparseL41csrgemm_numeric_fill_block_per_row_kernelILj1024ELj64ELj8192ELj137ELj64ElldEEvT5_PKS1_S3_NS_24const_host_device_scalarIT6_EEPKT4_S3_PKS5_S9_S3_SB_S6_S9_S3_SB_S9_S3_PS5_21rocsparse_index_base_SD_SD_SD_bbb
	.p2align	8
	.type	_ZN9rocsparseL41csrgemm_numeric_fill_block_per_row_kernelILj1024ELj64ELj8192ELj137ELj64ElldEEvT5_PKS1_S3_NS_24const_host_device_scalarIT6_EEPKT4_S3_PKS5_S9_S3_SB_S6_S9_S3_SB_S9_S3_PS5_21rocsparse_index_base_SD_SD_SD_bbb,@function
_ZN9rocsparseL41csrgemm_numeric_fill_block_per_row_kernelILj1024ELj64ELj8192ELj137ELj64ElldEEvT5_PKS1_S3_NS_24const_host_device_scalarIT6_EEPKT4_S3_PKS5_S9_S3_SB_S6_S9_S3_SB_S9_S3_PS5_21rocsparse_index_base_SD_SD_SD_bbb: ; @_ZN9rocsparseL41csrgemm_numeric_fill_block_per_row_kernelILj1024ELj64ELj8192ELj137ELj64ElldEEvT5_PKS1_S3_NS_24const_host_device_scalarIT6_EEPKT4_S3_PKS5_S9_S3_SB_S6_S9_S3_SB_S9_S3_PS5_21rocsparse_index_base_SD_SD_SD_bbb
; %bb.0:
	s_clause 0x4
	s_load_b32 s3, s[0:1], 0x98
	s_load_b64 s[10:11], s[0:1], 0x18
	s_load_b128 s[4:7], s[0:1], 0x8
	s_load_b128 s[16:19], s[0:1], 0x88
	s_load_b64 s[8:9], s[0:1], 0x50
	s_mov_b32 s2, s15
	s_waitcnt lgkmcnt(0)
	s_and_b32 s12, 1, s3
	s_bitcmp1_b32 s3, 16
	s_cselect_b32 s13, -1, 0
	s_cmp_eq_u32 s12, 1
	s_cselect_b32 s12, -1, 0
	s_delay_alu instid0(SALU_CYCLE_1)
	s_and_b32 s14, s12, exec_lo
	s_cselect_b32 s15, s11, 0
	s_cselect_b32 s14, s10, 0
	s_xor_b32 s20, s12, -1
	v_dual_mov_b32 v3, s14 :: v_dual_mov_b32 v4, s15
	s_or_b32 s20, s20, s13
	s_delay_alu instid0(SALU_CYCLE_1)
	s_and_b32 vcc_lo, exec_lo, s20
	s_cbranch_vccnz .LBB113_2
; %bb.1:
	v_dual_mov_b32 v1, s10 :: v_dual_mov_b32 v2, s11
	flat_load_b64 v[3:4], v[1:2]
.LBB113_2:
	s_bitcmp1_b32 s3, 8
	s_cselect_b32 s14, -1, 0
	s_delay_alu instid0(SALU_CYCLE_1)
	s_and_b32 s3, s14, exec_lo
	s_cselect_b32 s11, s9, 0
	s_cselect_b32 s10, s8, 0
	s_xor_b32 s3, s14, -1
	v_dual_mov_b32 v1, s10 :: v_dual_mov_b32 v2, s11
	s_or_b32 s3, s3, s13
	s_delay_alu instid0(SALU_CYCLE_1)
	s_and_b32 vcc_lo, exec_lo, s3
	s_cbranch_vccnz .LBB113_4
; %bb.3:
	v_dual_mov_b32 v1, s8 :: v_dual_mov_b32 v2, s9
	flat_load_b64 v[1:2], v[1:2]
.LBB113_4:
	s_load_b64 s[20:21], s[0:1], 0x0
	v_lshl_add_u32 v19, v0, 3, 0
	s_mov_b32 s8, 0
	s_delay_alu instid0(SALU_CYCLE_1) | instskip(NEXT) | instid1(SALU_CYCLE_1)
	s_mov_b32 s9, s8
	v_dual_mov_b32 v5, s8 :: v_dual_mov_b32 v6, s9
	s_delay_alu instid0(VALU_DEP_2)
	v_add_nc_u32_e32 v24, 0x10000, v19
	s_mov_b32 s3, s8
	s_waitcnt lgkmcnt(0)
	v_dual_mov_b32 v7, s20 :: v_dual_mov_b32 v8, s21
	v_dual_mov_b32 v9, s20 :: v_dual_mov_b32 v10, s21
	;; [unrolled: 1-line block ×8, first 2 shown]
	ds_store_2addr_stride64_b64 v24, v[5:6], v[5:6] offset1:16
	ds_store_2addr_stride64_b64 v24, v[5:6], v[5:6] offset0:32 offset1:48
	ds_store_2addr_stride64_b64 v24, v[5:6], v[5:6] offset0:64 offset1:80
	;; [unrolled: 1-line block ×3, first 2 shown]
	ds_store_2addr_stride64_b64 v19, v[7:8], v[9:10] offset1:16
	ds_store_2addr_stride64_b64 v19, v[11:12], v[13:14] offset0:32 offset1:48
	ds_store_2addr_stride64_b64 v19, v[15:16], v[17:18] offset0:64 offset1:80
	;; [unrolled: 1-line block ×3, first 2 shown]
	s_waitcnt vmcnt(0) lgkmcnt(0)
	s_barrier
	buffer_gl0_inv
	s_load_b64 s[4:5], s[4:5], 0x0
	v_lshrrev_b32_e32 v20, 6, v0
	s_waitcnt lgkmcnt(0)
	s_lshl_b64 s[4:5], s[4:5], 3
	s_delay_alu instid0(SALU_CYCLE_1) | instskip(SKIP_2) | instid1(SALU_CYCLE_1)
	s_add_u32 s4, s6, s4
	s_addc_u32 s5, s7, s5
	s_lshl_b64 s[2:3], s[2:3], 3
	s_add_u32 s2, s4, s2
	s_addc_u32 s3, s5, s3
	s_and_not1_b32 vcc_lo, exec_lo, s12
	s_load_b64 s[22:23], s[2:3], 0x0
	s_cbranch_vccnz .LBB113_28
; %bb.5:
	s_load_b64 s[2:3], s[0:1], 0x20
	s_waitcnt lgkmcnt(0)
	s_lshl_b64 s[4:5], s[22:23], 3
	s_mov_b32 s15, exec_lo
	s_add_u32 s2, s2, s4
	s_addc_u32 s3, s3, s5
	s_load_b128 s[4:7], s[2:3], 0x0
	v_sub_co_u32 v5, s2, v20, s16
	s_delay_alu instid0(VALU_DEP_1) | instskip(SKIP_1) | instid1(VALU_DEP_2)
	v_sub_co_ci_u32_e64 v6, null, 0, 0, s2
	s_waitcnt lgkmcnt(0)
	v_add_co_u32 v5, vcc_lo, s4, v5
	s_delay_alu instid0(VALU_DEP_2)
	v_add_co_ci_u32_e32 v6, vcc_lo, s5, v6, vcc_lo
	s_sub_u32 s2, s6, s16
	s_subb_u32 s3, s7, 0
	s_delay_alu instid0(VALU_DEP_1) | instid1(SALU_CYCLE_1)
	v_cmpx_gt_i64_e64 s[2:3], v[5:6]
	s_cbranch_execz .LBB113_27
; %bb.6:
	s_clause 0x1
	s_load_b64 s[12:13], s[0:1], 0x48
	s_load_b256 s[4:11], s[0:1], 0x28
	v_and_b32_e32 v7, 63, v0
	s_delay_alu instid0(VALU_DEP_1) | instskip(NEXT) | instid1(VALU_DEP_1)
	v_sub_co_u32 v21, s24, v7, s17
	v_sub_co_ci_u32_e64 v22, null, 0, 0, s24
	s_mov_b32 s24, 0
	s_branch .LBB113_8
.LBB113_7:                              ;   in Loop: Header=BB113_8 Depth=1
	s_or_b32 exec_lo, exec_lo, s25
	v_add_co_u32 v5, vcc_lo, v5, 16
	v_add_co_ci_u32_e32 v6, vcc_lo, 0, v6, vcc_lo
	s_delay_alu instid0(VALU_DEP_1) | instskip(SKIP_1) | instid1(SALU_CYCLE_1)
	v_cmp_le_i64_e32 vcc_lo, s[2:3], v[5:6]
	s_or_b32 s24, vcc_lo, s24
	s_and_not1_b32 exec_lo, exec_lo, s24
	s_cbranch_execz .LBB113_27
.LBB113_8:                              ; =>This Loop Header: Depth=1
                                        ;     Child Loop BB113_11 Depth 2
                                        ;       Child Loop BB113_13 Depth 3
                                        ;         Child Loop BB113_19 Depth 4
                                        ;         Child Loop BB113_25 Depth 4
	v_lshlrev_b64 v[11:12], 3, v[5:6]
	s_mov_b32 s25, exec_lo
	s_waitcnt lgkmcnt(0)
	s_delay_alu instid0(VALU_DEP_1) | instskip(NEXT) | instid1(VALU_DEP_2)
	v_add_co_u32 v7, vcc_lo, s4, v11
	v_add_co_ci_u32_e32 v8, vcc_lo, s5, v12, vcc_lo
	global_load_b64 v[7:8], v[7:8], off
	s_waitcnt vmcnt(0)
	v_sub_co_u32 v7, vcc_lo, v7, s16
	v_subrev_co_ci_u32_e32 v8, vcc_lo, 0, v8, vcc_lo
	s_delay_alu instid0(VALU_DEP_1) | instskip(NEXT) | instid1(VALU_DEP_1)
	v_lshlrev_b64 v[7:8], 3, v[7:8]
	v_add_co_u32 v7, vcc_lo, s8, v7
	s_delay_alu instid0(VALU_DEP_2)
	v_add_co_ci_u32_e32 v8, vcc_lo, s9, v8, vcc_lo
	global_load_b128 v[13:16], v[7:8], off
	s_waitcnt vmcnt(0)
	v_sub_co_u32 v7, vcc_lo, v15, s17
	v_subrev_co_ci_u32_e32 v8, vcc_lo, 0, v16, vcc_lo
	v_add_co_u32 v9, vcc_lo, v13, v21
	v_add_co_ci_u32_e32 v10, vcc_lo, v14, v22, vcc_lo
	s_delay_alu instid0(VALU_DEP_1)
	v_cmpx_lt_i64_e64 v[9:10], v[7:8]
	s_cbranch_execz .LBB113_7
; %bb.9:                                ;   in Loop: Header=BB113_8 Depth=1
	v_add_co_u32 v11, vcc_lo, s6, v11
	v_add_co_ci_u32_e32 v12, vcc_lo, s7, v12, vcc_lo
	s_mov_b32 s26, 0
	global_load_b64 v[11:12], v[11:12], off
	s_waitcnt vmcnt(0)
	v_mul_f64 v[11:12], v[3:4], v[11:12]
	s_branch .LBB113_11
.LBB113_10:                             ;   in Loop: Header=BB113_11 Depth=2
	s_or_b32 exec_lo, exec_lo, s27
	v_add_co_u32 v9, vcc_lo, v9, 64
	v_add_co_ci_u32_e32 v10, vcc_lo, 0, v10, vcc_lo
	s_delay_alu instid0(VALU_DEP_1) | instskip(SKIP_1) | instid1(SALU_CYCLE_1)
	v_cmp_ge_i64_e32 vcc_lo, v[9:10], v[7:8]
	s_or_b32 s26, vcc_lo, s26
	s_and_not1_b32 exec_lo, exec_lo, s26
	s_cbranch_execz .LBB113_7
.LBB113_11:                             ;   Parent Loop BB113_8 Depth=1
                                        ; =>  This Loop Header: Depth=2
                                        ;       Child Loop BB113_13 Depth 3
                                        ;         Child Loop BB113_19 Depth 4
                                        ;         Child Loop BB113_25 Depth 4
	v_lshlrev_b64 v[13:14], 3, v[9:10]
	s_mov_b32 s27, 0
	s_delay_alu instid0(VALU_DEP_1) | instskip(NEXT) | instid1(VALU_DEP_2)
	v_add_co_u32 v15, vcc_lo, s12, v13
	v_add_co_ci_u32_e32 v16, vcc_lo, s13, v14, vcc_lo
	v_add_co_u32 v13, vcc_lo, s10, v13
	v_add_co_ci_u32_e32 v14, vcc_lo, s11, v14, vcc_lo
	global_load_b64 v[15:16], v[15:16], off
	global_load_b64 v[17:18], v[13:14], off
	s_waitcnt vmcnt(1)
	v_mul_f64 v[13:14], v[11:12], v[15:16]
	s_waitcnt vmcnt(0)
	v_sub_co_u32 v15, vcc_lo, v17, s17
	v_subrev_co_ci_u32_e32 v16, vcc_lo, 0, v18, vcc_lo
	s_delay_alu instid0(VALU_DEP_2) | instskip(NEXT) | instid1(VALU_DEP_1)
	v_mul_lo_u32 v17, 0x89, v15
	v_and_b32_e32 v23, 0x1fff, v17
	s_branch .LBB113_13
.LBB113_12:                             ;   in Loop: Header=BB113_13 Depth=3
	s_or_b32 exec_lo, exec_lo, s28
	s_xor_b32 s28, s29, -1
	s_delay_alu instid0(SALU_CYCLE_1) | instskip(NEXT) | instid1(SALU_CYCLE_1)
	s_and_b32 s28, exec_lo, s28
	s_or_b32 s27, s28, s27
	s_delay_alu instid0(SALU_CYCLE_1)
	s_and_not1_b32 exec_lo, exec_lo, s27
	s_cbranch_execz .LBB113_10
.LBB113_13:                             ;   Parent Loop BB113_8 Depth=1
                                        ;     Parent Loop BB113_11 Depth=2
                                        ; =>    This Loop Header: Depth=3
                                        ;         Child Loop BB113_19 Depth 4
                                        ;         Child Loop BB113_25 Depth 4
	s_delay_alu instid0(VALU_DEP_1)
	v_lshl_add_u32 v24, v23, 3, 0
	s_mov_b32 s28, exec_lo
                                        ; implicit-def: $sgpr29
	ds_load_b64 v[17:18], v24
	s_waitcnt lgkmcnt(0)
	v_cmpx_ne_u64_e64 v[17:18], v[15:16]
	s_xor_b32 s28, exec_lo, s28
	s_cbranch_execz .LBB113_23
; %bb.14:                               ;   in Loop: Header=BB113_13 Depth=3
	s_mov_b32 s30, exec_lo
                                        ; implicit-def: $sgpr29
	v_cmpx_ne_u64_e64 s[20:21], v[17:18]
	s_xor_b32 s30, exec_lo, s30
; %bb.15:                               ;   in Loop: Header=BB113_13 Depth=3
	v_add_nc_u32_e32 v17, 1, v23
	s_mov_b32 s29, -1
                                        ; implicit-def: $vgpr24
	s_delay_alu instid0(VALU_DEP_1)
	v_and_b32_e32 v23, 0x1fff, v17
; %bb.16:                               ;   in Loop: Header=BB113_13 Depth=3
	s_and_not1_saveexec_b32 s30, s30
	s_cbranch_execz .LBB113_22
; %bb.17:                               ;   in Loop: Header=BB113_13 Depth=3
	v_dual_mov_b32 v17, s20 :: v_dual_mov_b32 v18, s21
	s_mov_b32 s33, -1
	s_mov_b32 s31, exec_lo
	ds_cmpstore_rtn_b64 v[17:18], v24, v[15:16], v[17:18]
	s_waitcnt lgkmcnt(0)
	v_cmpx_eq_u64_e64 s[20:21], v[17:18]
	s_cbranch_execz .LBB113_21
; %bb.18:                               ;   in Loop: Header=BB113_13 Depth=3
	v_lshlrev_b32_e32 v17, 3, v23
	s_mov_b32 s33, 0
	s_delay_alu instid0(VALU_DEP_1)
	v_add3_u32 v24, 0, v17, 0x10000
	ds_load_b64 v[17:18], v24
.LBB113_19:                             ;   Parent Loop BB113_8 Depth=1
                                        ;     Parent Loop BB113_11 Depth=2
                                        ;       Parent Loop BB113_13 Depth=3
                                        ; =>      This Inner Loop Header: Depth=4
	s_waitcnt lgkmcnt(0)
	v_add_f64 v[25:26], v[17:18], v[13:14]
	ds_cmpstore_rtn_b64 v[25:26], v24, v[25:26], v[17:18]
	s_waitcnt lgkmcnt(0)
	v_cmp_eq_u64_e32 vcc_lo, v[25:26], v[17:18]
	v_dual_mov_b32 v17, v25 :: v_dual_mov_b32 v18, v26
	s_or_b32 s33, vcc_lo, s33
	s_delay_alu instid0(SALU_CYCLE_1)
	s_and_not1_b32 exec_lo, exec_lo, s33
	s_cbranch_execnz .LBB113_19
; %bb.20:                               ;   in Loop: Header=BB113_13 Depth=3
	s_or_b32 exec_lo, exec_lo, s33
	s_delay_alu instid0(SALU_CYCLE_1)
	s_xor_b32 s33, exec_lo, -1
.LBB113_21:                             ;   in Loop: Header=BB113_13 Depth=3
	s_or_b32 exec_lo, exec_lo, s31
	s_delay_alu instid0(SALU_CYCLE_1) | instskip(SKIP_1) | instid1(SALU_CYCLE_1)
	s_and_not1_b32 s29, s29, exec_lo
	s_and_b32 s31, s33, exec_lo
	s_or_b32 s29, s29, s31
.LBB113_22:                             ;   in Loop: Header=BB113_13 Depth=3
	s_or_b32 exec_lo, exec_lo, s30
	s_delay_alu instid0(SALU_CYCLE_1)
	s_and_b32 s29, s29, exec_lo
.LBB113_23:                             ;   in Loop: Header=BB113_13 Depth=3
	s_and_not1_saveexec_b32 s28, s28
	s_cbranch_execz .LBB113_12
; %bb.24:                               ;   in Loop: Header=BB113_13 Depth=3
	v_lshlrev_b32_e32 v17, 3, v23
	s_mov_b32 s30, 0
	s_delay_alu instid0(VALU_DEP_1)
	v_add3_u32 v24, 0, v17, 0x10000
	ds_load_b64 v[17:18], v24
.LBB113_25:                             ;   Parent Loop BB113_8 Depth=1
                                        ;     Parent Loop BB113_11 Depth=2
                                        ;       Parent Loop BB113_13 Depth=3
                                        ; =>      This Inner Loop Header: Depth=4
	s_waitcnt lgkmcnt(0)
	v_add_f64 v[25:26], v[17:18], v[13:14]
	ds_cmpstore_rtn_b64 v[25:26], v24, v[25:26], v[17:18]
	s_waitcnt lgkmcnt(0)
	v_cmp_eq_u64_e32 vcc_lo, v[25:26], v[17:18]
	v_dual_mov_b32 v17, v25 :: v_dual_mov_b32 v18, v26
	s_or_b32 s30, vcc_lo, s30
	s_delay_alu instid0(SALU_CYCLE_1)
	s_and_not1_b32 exec_lo, exec_lo, s30
	s_cbranch_execnz .LBB113_25
; %bb.26:                               ;   in Loop: Header=BB113_13 Depth=3
	s_or_b32 exec_lo, exec_lo, s30
	s_delay_alu instid0(SALU_CYCLE_1)
	s_and_not1_b32 s29, s29, exec_lo
	s_branch .LBB113_12
.LBB113_27:
	s_or_b32 exec_lo, exec_lo, s15
.LBB113_28:
	s_clause 0x1
	s_load_b64 s[24:25], s[0:1], 0x80
	s_load_b64 s[26:27], s[0:1], 0x70
	s_and_not1_b32 vcc_lo, exec_lo, s14
	s_cbranch_vccnz .LBB113_49
; %bb.29:
	s_load_b64 s[2:3], s[0:1], 0x58
	s_waitcnt lgkmcnt(0)
	s_lshl_b64 s[4:5], s[22:23], 3
	s_delay_alu instid0(SALU_CYCLE_1) | instskip(SKIP_3) | instid1(VALU_DEP_1)
	s_add_u32 s2, s2, s4
	s_addc_u32 s3, s3, s5
	s_load_b128 s[4:7], s[2:3], 0x0
	v_sub_co_u32 v3, s2, v0, s19
	v_sub_co_ci_u32_e64 v4, null, 0, 0, s2
	s_waitcnt lgkmcnt(0)
	s_delay_alu instid0(VALU_DEP_2) | instskip(NEXT) | instid1(VALU_DEP_2)
	v_add_co_u32 v3, vcc_lo, s4, v3
	v_add_co_ci_u32_e32 v4, vcc_lo, s5, v4, vcc_lo
	s_sub_u32 s4, s6, s19
	s_subb_u32 s5, s7, 0
	s_mov_b32 s6, 0
	s_mov_b32 s7, exec_lo
	v_cmpx_gt_i64_e64 s[4:5], v[3:4]
	s_cbranch_execz .LBB113_48
; %bb.30:
	s_load_b128 s[0:3], s[0:1], 0x60
	s_mov_b32 s8, s19
	s_branch .LBB113_32
.LBB113_31:                             ;   in Loop: Header=BB113_32 Depth=1
	s_or_b32 exec_lo, exec_lo, s9
	v_add_co_u32 v3, vcc_lo, 0x400, v3
	v_add_co_ci_u32_e32 v4, vcc_lo, 0, v4, vcc_lo
	s_delay_alu instid0(VALU_DEP_1) | instskip(SKIP_1) | instid1(SALU_CYCLE_1)
	v_cmp_le_i64_e32 vcc_lo, s[4:5], v[3:4]
	s_or_b32 s6, vcc_lo, s6
	s_and_not1_b32 exec_lo, exec_lo, s6
	s_cbranch_execz .LBB113_48
.LBB113_32:                             ; =>This Loop Header: Depth=1
                                        ;     Child Loop BB113_34 Depth 2
                                        ;       Child Loop BB113_40 Depth 3
                                        ;       Child Loop BB113_46 Depth 3
	v_lshlrev_b64 v[5:6], 3, v[3:4]
	s_mov_b32 s9, 0
	s_waitcnt lgkmcnt(0)
	s_delay_alu instid0(VALU_DEP_1) | instskip(NEXT) | instid1(VALU_DEP_2)
	v_add_co_u32 v7, vcc_lo, s2, v5
	v_add_co_ci_u32_e32 v8, vcc_lo, s3, v6, vcc_lo
	v_add_co_u32 v5, vcc_lo, s0, v5
	v_add_co_ci_u32_e32 v6, vcc_lo, s1, v6, vcc_lo
	global_load_b64 v[7:8], v[7:8], off
	global_load_b64 v[9:10], v[5:6], off
	s_waitcnt vmcnt(1)
	v_mul_f64 v[5:6], v[1:2], v[7:8]
	s_waitcnt vmcnt(0)
	v_sub_co_u32 v7, vcc_lo, v9, s8
	v_subrev_co_ci_u32_e32 v8, vcc_lo, 0, v10, vcc_lo
	s_delay_alu instid0(VALU_DEP_2) | instskip(NEXT) | instid1(VALU_DEP_1)
	v_mul_lo_u32 v9, 0x89, v7
	v_and_b32_e32 v11, 0x1fff, v9
	s_branch .LBB113_34
.LBB113_33:                             ;   in Loop: Header=BB113_34 Depth=2
	s_or_b32 exec_lo, exec_lo, s10
	s_xor_b32 s10, s11, -1
	s_delay_alu instid0(SALU_CYCLE_1) | instskip(NEXT) | instid1(SALU_CYCLE_1)
	s_and_b32 s10, exec_lo, s10
	s_or_b32 s9, s10, s9
	s_delay_alu instid0(SALU_CYCLE_1)
	s_and_not1_b32 exec_lo, exec_lo, s9
	s_cbranch_execz .LBB113_31
.LBB113_34:                             ;   Parent Loop BB113_32 Depth=1
                                        ; =>  This Loop Header: Depth=2
                                        ;       Child Loop BB113_40 Depth 3
                                        ;       Child Loop BB113_46 Depth 3
	s_delay_alu instid0(VALU_DEP_1)
	v_lshl_add_u32 v12, v11, 3, 0
	s_mov_b32 s10, exec_lo
                                        ; implicit-def: $sgpr11
	ds_load_b64 v[9:10], v12
	s_waitcnt lgkmcnt(0)
	v_cmpx_ne_u64_e64 v[9:10], v[7:8]
	s_xor_b32 s10, exec_lo, s10
	s_cbranch_execz .LBB113_44
; %bb.35:                               ;   in Loop: Header=BB113_34 Depth=2
	s_mov_b32 s12, exec_lo
                                        ; implicit-def: $sgpr11
	v_cmpx_ne_u64_e64 s[20:21], v[9:10]
	s_xor_b32 s12, exec_lo, s12
; %bb.36:                               ;   in Loop: Header=BB113_34 Depth=2
	v_add_nc_u32_e32 v9, 1, v11
	s_mov_b32 s11, -1
                                        ; implicit-def: $vgpr12
	s_delay_alu instid0(VALU_DEP_1)
	v_and_b32_e32 v11, 0x1fff, v9
; %bb.37:                               ;   in Loop: Header=BB113_34 Depth=2
	s_and_not1_saveexec_b32 s12, s12
	s_cbranch_execz .LBB113_43
; %bb.38:                               ;   in Loop: Header=BB113_34 Depth=2
	v_dual_mov_b32 v9, s20 :: v_dual_mov_b32 v10, s21
	s_mov_b32 s14, -1
	s_mov_b32 s13, exec_lo
	ds_cmpstore_rtn_b64 v[9:10], v12, v[7:8], v[9:10]
	s_waitcnt lgkmcnt(0)
	v_cmpx_eq_u64_e64 s[20:21], v[9:10]
	s_cbranch_execz .LBB113_42
; %bb.39:                               ;   in Loop: Header=BB113_34 Depth=2
	v_lshlrev_b32_e32 v9, 3, v11
	s_mov_b32 s14, 0
	s_delay_alu instid0(VALU_DEP_1)
	v_add3_u32 v12, 0, v9, 0x10000
	ds_load_b64 v[9:10], v12
.LBB113_40:                             ;   Parent Loop BB113_32 Depth=1
                                        ;     Parent Loop BB113_34 Depth=2
                                        ; =>    This Inner Loop Header: Depth=3
	s_waitcnt lgkmcnt(0)
	v_add_f64 v[13:14], v[9:10], v[5:6]
	ds_cmpstore_rtn_b64 v[13:14], v12, v[13:14], v[9:10]
	s_waitcnt lgkmcnt(0)
	v_cmp_eq_u64_e32 vcc_lo, v[13:14], v[9:10]
	v_dual_mov_b32 v9, v13 :: v_dual_mov_b32 v10, v14
	s_or_b32 s14, vcc_lo, s14
	s_delay_alu instid0(SALU_CYCLE_1)
	s_and_not1_b32 exec_lo, exec_lo, s14
	s_cbranch_execnz .LBB113_40
; %bb.41:                               ;   in Loop: Header=BB113_34 Depth=2
	s_or_b32 exec_lo, exec_lo, s14
	s_delay_alu instid0(SALU_CYCLE_1)
	s_xor_b32 s14, exec_lo, -1
.LBB113_42:                             ;   in Loop: Header=BB113_34 Depth=2
	s_or_b32 exec_lo, exec_lo, s13
	s_delay_alu instid0(SALU_CYCLE_1) | instskip(SKIP_1) | instid1(SALU_CYCLE_1)
	s_and_not1_b32 s11, s11, exec_lo
	s_and_b32 s13, s14, exec_lo
	s_or_b32 s11, s11, s13
.LBB113_43:                             ;   in Loop: Header=BB113_34 Depth=2
	s_or_b32 exec_lo, exec_lo, s12
	s_delay_alu instid0(SALU_CYCLE_1)
	s_and_b32 s11, s11, exec_lo
.LBB113_44:                             ;   in Loop: Header=BB113_34 Depth=2
	s_and_not1_saveexec_b32 s10, s10
	s_cbranch_execz .LBB113_33
; %bb.45:                               ;   in Loop: Header=BB113_34 Depth=2
	v_lshlrev_b32_e32 v9, 3, v11
	s_mov_b32 s12, 0
	s_delay_alu instid0(VALU_DEP_1)
	v_add3_u32 v12, 0, v9, 0x10000
	ds_load_b64 v[9:10], v12
.LBB113_46:                             ;   Parent Loop BB113_32 Depth=1
                                        ;     Parent Loop BB113_34 Depth=2
                                        ; =>    This Inner Loop Header: Depth=3
	s_waitcnt lgkmcnt(0)
	v_add_f64 v[13:14], v[9:10], v[5:6]
	ds_cmpstore_rtn_b64 v[13:14], v12, v[13:14], v[9:10]
	s_waitcnt lgkmcnt(0)
	v_cmp_eq_u64_e32 vcc_lo, v[13:14], v[9:10]
	v_dual_mov_b32 v9, v13 :: v_dual_mov_b32 v10, v14
	s_or_b32 s12, vcc_lo, s12
	s_delay_alu instid0(SALU_CYCLE_1)
	s_and_not1_b32 exec_lo, exec_lo, s12
	s_cbranch_execnz .LBB113_46
; %bb.47:                               ;   in Loop: Header=BB113_34 Depth=2
	s_or_b32 exec_lo, exec_lo, s12
	s_delay_alu instid0(SALU_CYCLE_1)
	s_and_not1_b32 s11, s11, exec_lo
	s_branch .LBB113_33
.LBB113_48:
	s_or_b32 exec_lo, exec_lo, s7
.LBB113_49:
	v_mbcnt_lo_u32_b32 v1, -1, 0
	v_dual_mov_b32 v5, 0 :: v_dual_lshlrev_b32 v2, 3, v20
	s_add_i32 s39, 0, 0x20078
	v_cmp_eq_u32_e32 vcc_lo, 0x3ff, v0
	s_delay_alu instid0(VALU_DEP_3) | instskip(NEXT) | instid1(VALU_DEP_3)
	v_xor_b32_e32 v1, 63, v1
	v_add3_u32 v12, 0, 0x20000, v2
	v_cmp_lt_u32_e64 s0, 63, v0
	v_cmp_lt_u32_e64 s1, 0x7f, v0
	;; [unrolled: 1-line block ×3, first 2 shown]
	v_lshrrev_b64 v[1:2], v1, -1
	v_mov_b32_e32 v2, 0
	v_cmp_lt_u32_e64 s3, 0xff, v0
	v_cmp_lt_u32_e64 s4, 0x13f, v0
	;; [unrolled: 1-line block ×12, first 2 shown]
	v_or_b32_e32 v13, 0xfffffc00, v0
	v_dual_mov_b32 v3, 0 :: v_dual_mov_b32 v14, s39
	s_mov_b32 s17, 0
	s_add_i32 s19, 0, 0x20000
	s_add_i32 s28, 0, 0x20008
	;; [unrolled: 1-line block ×15, first 2 shown]
	s_waitcnt lgkmcnt(0)
	s_barrier
	buffer_gl0_inv
	s_branch .LBB113_51
.LBB113_50:                             ;   in Loop: Header=BB113_51 Depth=1
	s_or_b32 exec_lo, exec_lo, s15
	s_waitcnt lgkmcnt(0)
	s_barrier
	buffer_gl0_inv
	ds_load_b64 v[6:7], v14
	v_add_nc_u32_e32 v13, 0x400, v13
	v_add_nc_u32_e32 v19, 0x2000, v19
	s_delay_alu instid0(VALU_DEP_2) | instskip(NEXT) | instid1(VALU_DEP_1)
	v_cmp_lt_u32_e64 s15, 0x1bff, v13
	s_or_b32 s17, s15, s17
	s_waitcnt lgkmcnt(0)
	v_add_co_u32 v2, s16, v6, v2
	s_delay_alu instid0(VALU_DEP_1)
	v_add_co_ci_u32_e64 v3, s16, v7, v3, s16
	s_and_not1_b32 exec_lo, exec_lo, s17
	s_cbranch_execz .LBB113_85
.LBB113_51:                             ; =>This Inner Loop Header: Depth=1
	ds_load_b64 v[6:7], v19
	v_add_nc_u32_e32 v4, 0x10000, v19
	ds_load_b64 v[8:9], v4
	s_waitcnt lgkmcnt(0)
	s_barrier
	buffer_gl0_inv
	v_cmp_gt_i64_e64 s15, s[20:21], v[6:7]
	s_delay_alu instid0(VALU_DEP_1) | instskip(SKIP_1) | instid1(SALU_CYCLE_1)
	v_and_b32_e32 v10, s15, v1
	s_bcnt1_i32_b32 s16, s15
	v_mov_b32_e32 v4, s16
	s_delay_alu instid0(VALU_DEP_2)
	v_bcnt_u32_b32 v10, v10, 0
	ds_store_b64 v12, v[4:5]
	s_waitcnt lgkmcnt(0)
	s_barrier
	buffer_gl0_inv
	s_and_saveexec_b32 s16, s0
	s_cbranch_execnz .LBB113_68
; %bb.52:                               ;   in Loop: Header=BB113_51 Depth=1
	s_or_b32 exec_lo, exec_lo, s16
	s_and_saveexec_b32 s16, s1
	s_cbranch_execnz .LBB113_69
.LBB113_53:                             ;   in Loop: Header=BB113_51 Depth=1
	s_or_b32 exec_lo, exec_lo, s16
	s_and_saveexec_b32 s16, s2
	s_cbranch_execnz .LBB113_70
.LBB113_54:                             ;   in Loop: Header=BB113_51 Depth=1
	s_or_b32 exec_lo, exec_lo, s16
	s_and_saveexec_b32 s16, s3
	s_cbranch_execnz .LBB113_71
.LBB113_55:                             ;   in Loop: Header=BB113_51 Depth=1
	s_or_b32 exec_lo, exec_lo, s16
	s_and_saveexec_b32 s16, s4
	s_cbranch_execnz .LBB113_72
.LBB113_56:                             ;   in Loop: Header=BB113_51 Depth=1
	s_or_b32 exec_lo, exec_lo, s16
	s_and_saveexec_b32 s16, s5
	s_cbranch_execnz .LBB113_73
.LBB113_57:                             ;   in Loop: Header=BB113_51 Depth=1
	s_or_b32 exec_lo, exec_lo, s16
	s_and_saveexec_b32 s16, s6
	s_cbranch_execnz .LBB113_74
.LBB113_58:                             ;   in Loop: Header=BB113_51 Depth=1
	s_or_b32 exec_lo, exec_lo, s16
	s_and_saveexec_b32 s16, s7
	s_cbranch_execnz .LBB113_75
.LBB113_59:                             ;   in Loop: Header=BB113_51 Depth=1
	s_or_b32 exec_lo, exec_lo, s16
	s_and_saveexec_b32 s16, s8
	s_cbranch_execnz .LBB113_76
.LBB113_60:                             ;   in Loop: Header=BB113_51 Depth=1
	s_or_b32 exec_lo, exec_lo, s16
	s_and_saveexec_b32 s16, s9
	s_cbranch_execnz .LBB113_77
.LBB113_61:                             ;   in Loop: Header=BB113_51 Depth=1
	s_or_b32 exec_lo, exec_lo, s16
	s_and_saveexec_b32 s16, s10
	s_cbranch_execnz .LBB113_78
.LBB113_62:                             ;   in Loop: Header=BB113_51 Depth=1
	s_or_b32 exec_lo, exec_lo, s16
	s_and_saveexec_b32 s16, s11
	s_cbranch_execnz .LBB113_79
.LBB113_63:                             ;   in Loop: Header=BB113_51 Depth=1
	s_or_b32 exec_lo, exec_lo, s16
	s_and_saveexec_b32 s16, s12
	s_cbranch_execnz .LBB113_80
.LBB113_64:                             ;   in Loop: Header=BB113_51 Depth=1
	s_or_b32 exec_lo, exec_lo, s16
	s_and_saveexec_b32 s16, s13
	s_cbranch_execnz .LBB113_81
.LBB113_65:                             ;   in Loop: Header=BB113_51 Depth=1
	s_or_b32 exec_lo, exec_lo, s16
	s_and_saveexec_b32 s16, s14
	s_cbranch_execnz .LBB113_82
.LBB113_66:                             ;   in Loop: Header=BB113_51 Depth=1
	s_or_b32 exec_lo, exec_lo, s16
	v_ashrrev_i32_e32 v11, 31, v10
	s_and_saveexec_b32 s16, s15
	s_cbranch_execnz .LBB113_83
.LBB113_67:                             ;   in Loop: Header=BB113_51 Depth=1
	s_or_b32 exec_lo, exec_lo, s16
	s_and_saveexec_b32 s15, vcc_lo
	s_cbranch_execz .LBB113_50
	s_branch .LBB113_84
.LBB113_68:                             ;   in Loop: Header=BB113_51 Depth=1
	v_mov_b32_e32 v4, s19
	ds_load_b32 v4, v4
	s_waitcnt lgkmcnt(0)
	v_add_nc_u32_e32 v10, v4, v10
	s_or_b32 exec_lo, exec_lo, s16
	s_and_saveexec_b32 s16, s1
	s_cbranch_execz .LBB113_53
.LBB113_69:                             ;   in Loop: Header=BB113_51 Depth=1
	v_mov_b32_e32 v4, s28
	ds_load_b32 v4, v4
	s_waitcnt lgkmcnt(0)
	v_add_nc_u32_e32 v10, v10, v4
	s_or_b32 exec_lo, exec_lo, s16
	s_and_saveexec_b32 s16, s2
	s_cbranch_execz .LBB113_54
.LBB113_70:                             ;   in Loop: Header=BB113_51 Depth=1
	v_mov_b32_e32 v4, s29
	ds_load_b32 v4, v4
	s_waitcnt lgkmcnt(0)
	v_add_nc_u32_e32 v10, v10, v4
	s_or_b32 exec_lo, exec_lo, s16
	s_and_saveexec_b32 s16, s3
	s_cbranch_execz .LBB113_55
.LBB113_71:                             ;   in Loop: Header=BB113_51 Depth=1
	v_mov_b32_e32 v4, s30
	ds_load_b32 v4, v4
	s_waitcnt lgkmcnt(0)
	v_add_nc_u32_e32 v10, v10, v4
	s_or_b32 exec_lo, exec_lo, s16
	s_and_saveexec_b32 s16, s4
	s_cbranch_execz .LBB113_56
.LBB113_72:                             ;   in Loop: Header=BB113_51 Depth=1
	v_mov_b32_e32 v4, s31
	ds_load_b32 v4, v4
	s_waitcnt lgkmcnt(0)
	v_add_nc_u32_e32 v10, v10, v4
	s_or_b32 exec_lo, exec_lo, s16
	s_and_saveexec_b32 s16, s5
	s_cbranch_execz .LBB113_57
.LBB113_73:                             ;   in Loop: Header=BB113_51 Depth=1
	v_mov_b32_e32 v4, s33
	ds_load_b32 v4, v4
	s_waitcnt lgkmcnt(0)
	v_add_nc_u32_e32 v10, v10, v4
	s_or_b32 exec_lo, exec_lo, s16
	s_and_saveexec_b32 s16, s6
	s_cbranch_execz .LBB113_58
.LBB113_74:                             ;   in Loop: Header=BB113_51 Depth=1
	v_mov_b32_e32 v4, s34
	ds_load_b32 v4, v4
	s_waitcnt lgkmcnt(0)
	v_add_nc_u32_e32 v10, v10, v4
	s_or_b32 exec_lo, exec_lo, s16
	s_and_saveexec_b32 s16, s7
	s_cbranch_execz .LBB113_59
.LBB113_75:                             ;   in Loop: Header=BB113_51 Depth=1
	v_mov_b32_e32 v4, s35
	ds_load_b32 v4, v4
	s_waitcnt lgkmcnt(0)
	v_add_nc_u32_e32 v10, v10, v4
	s_or_b32 exec_lo, exec_lo, s16
	s_and_saveexec_b32 s16, s8
	s_cbranch_execz .LBB113_60
.LBB113_76:                             ;   in Loop: Header=BB113_51 Depth=1
	v_mov_b32_e32 v4, s36
	ds_load_b32 v4, v4
	s_waitcnt lgkmcnt(0)
	v_add_nc_u32_e32 v10, v10, v4
	s_or_b32 exec_lo, exec_lo, s16
	s_and_saveexec_b32 s16, s9
	s_cbranch_execz .LBB113_61
.LBB113_77:                             ;   in Loop: Header=BB113_51 Depth=1
	v_mov_b32_e32 v4, s37
	ds_load_b32 v4, v4
	s_waitcnt lgkmcnt(0)
	v_add_nc_u32_e32 v10, v10, v4
	s_or_b32 exec_lo, exec_lo, s16
	s_and_saveexec_b32 s16, s10
	s_cbranch_execz .LBB113_62
.LBB113_78:                             ;   in Loop: Header=BB113_51 Depth=1
	v_mov_b32_e32 v4, s38
	ds_load_b32 v4, v4
	s_waitcnt lgkmcnt(0)
	v_add_nc_u32_e32 v10, v10, v4
	s_or_b32 exec_lo, exec_lo, s16
	s_and_saveexec_b32 s16, s11
	s_cbranch_execz .LBB113_63
.LBB113_79:                             ;   in Loop: Header=BB113_51 Depth=1
	v_mov_b32_e32 v4, s40
	ds_load_b32 v4, v4
	s_waitcnt lgkmcnt(0)
	v_add_nc_u32_e32 v10, v10, v4
	s_or_b32 exec_lo, exec_lo, s16
	s_and_saveexec_b32 s16, s12
	s_cbranch_execz .LBB113_64
.LBB113_80:                             ;   in Loop: Header=BB113_51 Depth=1
	v_mov_b32_e32 v4, s41
	ds_load_b32 v4, v4
	s_waitcnt lgkmcnt(0)
	v_add_nc_u32_e32 v10, v10, v4
	s_or_b32 exec_lo, exec_lo, s16
	s_and_saveexec_b32 s16, s13
	s_cbranch_execz .LBB113_65
.LBB113_81:                             ;   in Loop: Header=BB113_51 Depth=1
	v_mov_b32_e32 v4, s42
	ds_load_b32 v4, v4
	s_waitcnt lgkmcnt(0)
	v_add_nc_u32_e32 v10, v10, v4
	s_or_b32 exec_lo, exec_lo, s16
	s_and_saveexec_b32 s16, s14
	s_cbranch_execz .LBB113_66
.LBB113_82:                             ;   in Loop: Header=BB113_51 Depth=1
	v_mov_b32_e32 v4, s43
	ds_load_b32 v4, v4
	s_waitcnt lgkmcnt(0)
	v_add_nc_u32_e32 v10, v10, v4
	s_or_b32 exec_lo, exec_lo, s16
	s_delay_alu instid0(VALU_DEP_1)
	v_ashrrev_i32_e32 v11, 31, v10
	s_and_saveexec_b32 s16, s15
	s_cbranch_execz .LBB113_67
.LBB113_83:                             ;   in Loop: Header=BB113_51 Depth=1
	v_add3_u32 v4, v2, -1, v10
	s_delay_alu instid0(VALU_DEP_1) | instskip(NEXT) | instid1(VALU_DEP_1)
	v_lshl_add_u32 v4, v4, 3, 0
	v_add_nc_u32_e32 v15, 0x10000, v4
	ds_store_b64 v4, v[6:7]
	ds_store_b64 v15, v[8:9]
	s_or_b32 exec_lo, exec_lo, s16
	s_and_saveexec_b32 s15, vcc_lo
	s_cbranch_execz .LBB113_50
.LBB113_84:                             ;   in Loop: Header=BB113_51 Depth=1
	v_mov_b32_e32 v4, s39
	ds_store_b64 v4, v[10:11]
	s_branch .LBB113_50
.LBB113_85:
	s_or_b32 exec_lo, exec_lo, s17
	s_lshl_b64 s[0:1], s[22:23], 3
	v_mov_b32_e32 v1, 0
	s_add_u32 s0, s26, s0
	s_addc_u32 s1, s27, s1
	s_mov_b32 s6, exec_lo
	s_load_b128 s[0:3], s[0:1], 0x0
	s_waitcnt lgkmcnt(0)
	s_sub_u32 s4, s2, s0
	s_subb_u32 s5, s3, s1
	s_delay_alu instid0(SALU_CYCLE_1)
	v_cmpx_gt_i64_e64 s[4:5], v[0:1]
	s_cbranch_execz .LBB113_95
; %bb.86:
	s_sub_u32 s8, s0, s18
	s_subb_u32 s9, s1, 0
	s_and_b32 s6, s4, 7
	s_sub_u32 s0, s0, s2
	s_subb_u32 s1, s1, s3
	s_mov_b32 s7, 0
	v_cmp_lt_u64_e64 s12, s[0:1], -7
	s_and_b32 s2, s4, -8
	s_cmp_lg_u64 s[6:7], 0
	s_mov_b32 s3, s5
	s_cselect_b32 s13, -1, 0
	s_mov_b32 s14, s7
	s_branch .LBB113_88
.LBB113_87:                             ;   in Loop: Header=BB113_88 Depth=1
	v_add_co_u32 v0, vcc_lo, 0x400, v0
	v_add_co_ci_u32_e32 v1, vcc_lo, 0, v1, vcc_lo
	s_waitcnt lgkmcnt(1)
	v_lshlrev_b64 v[4:5], 3, v[6:7]
	s_delay_alu instid0(VALU_DEP_2) | instskip(NEXT) | instid1(VALU_DEP_2)
	v_cmp_le_i64_e32 vcc_lo, s[4:5], v[0:1]
	v_add_co_u32 v4, s0, s24, v4
	s_delay_alu instid0(VALU_DEP_1)
	v_add_co_ci_u32_e64 v5, s0, s25, v5, s0
	s_or_b32 s14, vcc_lo, s14
	s_waitcnt lgkmcnt(0)
	global_store_b64 v[4:5], v[2:3], off
	s_and_not1_b32 exec_lo, exec_lo, s14
	s_cbranch_execz .LBB113_95
.LBB113_88:                             ; =>This Loop Header: Depth=1
                                        ;     Child Loop BB113_90 Depth 2
                                        ;     Child Loop BB113_94 Depth 2
	v_lshl_add_u32 v2, v0, 3, 0
	s_and_not1_b32 vcc_lo, exec_lo, s12
	s_mov_b64 s[0:1], 0
	v_dual_mov_b32 v6, s8 :: v_dual_mov_b32 v7, s9
	s_delay_alu instid0(VALU_DEP_2)
	v_add_nc_u32_e32 v3, 0x10000, v2
	ds_load_b64 v[4:5], v2
	ds_load_b64 v[2:3], v3
	s_cbranch_vccnz .LBB113_92
; %bb.89:                               ;   in Loop: Header=BB113_88 Depth=1
	v_dual_mov_b32 v6, s8 :: v_dual_mov_b32 v7, s9
	s_mov_b64 s[10:11], 0
	s_mov_b32 s1, 0
.LBB113_90:                             ;   Parent Loop BB113_88 Depth=1
                                        ; =>  This Inner Loop Header: Depth=2
	s_delay_alu instid0(SALU_CYCLE_1)
	v_mov_b32_e32 v20, s1
	s_add_u32 s10, s10, 8
	s_addc_u32 s11, s11, 0
	s_add_i32 s1, s1, 64
	s_cmp_eq_u64 s[2:3], s[10:11]
	ds_load_2addr_b64 v[8:11], v20 offset1:1
	ds_load_2addr_b64 v[12:15], v20 offset0:2 offset1:3
	ds_load_2addr_b64 v[16:19], v20 offset0:4 offset1:5
	ds_load_2addr_b64 v[20:23], v20 offset0:6 offset1:7
	s_waitcnt lgkmcnt(3)
	v_cmp_gt_i64_e32 vcc_lo, v[4:5], v[8:9]
	v_cndmask_b32_e64 v8, 0, 1, vcc_lo
	v_cmp_gt_i64_e32 vcc_lo, v[4:5], v[10:11]
	v_cndmask_b32_e64 v9, 0, 1, vcc_lo
	s_waitcnt lgkmcnt(2)
	v_cmp_gt_i64_e32 vcc_lo, v[4:5], v[12:13]
	v_cndmask_b32_e64 v10, 0, 1, vcc_lo
	v_cmp_gt_i64_e32 vcc_lo, v[4:5], v[14:15]
	v_cndmask_b32_e64 v11, 0, 1, vcc_lo
	s_waitcnt lgkmcnt(1)
	v_cmp_gt_i64_e32 vcc_lo, v[4:5], v[16:17]
	v_cndmask_b32_e64 v12, 0, 1, vcc_lo
	v_add_co_u32 v6, vcc_lo, v6, v8
	v_add_co_ci_u32_e32 v7, vcc_lo, 0, v7, vcc_lo
	v_cmp_gt_i64_e32 vcc_lo, v[4:5], v[18:19]
	s_delay_alu instid0(VALU_DEP_3) | instskip(NEXT) | instid1(VALU_DEP_1)
	v_add_co_u32 v6, s0, v6, v9
	v_add_co_ci_u32_e64 v7, s0, 0, v7, s0
	v_cndmask_b32_e64 v8, 0, 1, vcc_lo
	s_delay_alu instid0(VALU_DEP_3) | instskip(NEXT) | instid1(VALU_DEP_3)
	v_add_co_u32 v6, vcc_lo, v6, v10
	v_add_co_ci_u32_e32 v7, vcc_lo, 0, v7, vcc_lo
	s_waitcnt lgkmcnt(0)
	v_cmp_gt_i64_e32 vcc_lo, v[4:5], v[20:21]
	s_delay_alu instid0(VALU_DEP_3) | instskip(NEXT) | instid1(VALU_DEP_1)
	v_add_co_u32 v6, s0, v6, v11
	v_add_co_ci_u32_e64 v7, s0, 0, v7, s0
	v_cndmask_b32_e64 v9, 0, 1, vcc_lo
	s_delay_alu instid0(VALU_DEP_3) | instskip(NEXT) | instid1(VALU_DEP_3)
	v_add_co_u32 v6, vcc_lo, v6, v12
	v_add_co_ci_u32_e32 v7, vcc_lo, 0, v7, vcc_lo
	v_cmp_gt_i64_e32 vcc_lo, v[4:5], v[22:23]
	s_delay_alu instid0(VALU_DEP_3) | instskip(NEXT) | instid1(VALU_DEP_1)
	v_add_co_u32 v6, s0, v6, v8
	v_add_co_ci_u32_e64 v7, s0, 0, v7, s0
	v_cndmask_b32_e64 v8, 0, 1, vcc_lo
	s_delay_alu instid0(VALU_DEP_3) | instskip(NEXT) | instid1(VALU_DEP_3)
	v_add_co_u32 v6, vcc_lo, v6, v9
	v_add_co_ci_u32_e32 v7, vcc_lo, 0, v7, vcc_lo
	s_delay_alu instid0(VALU_DEP_2) | instskip(NEXT) | instid1(VALU_DEP_2)
	v_add_co_u32 v6, vcc_lo, v6, v8
	v_add_co_ci_u32_e32 v7, vcc_lo, 0, v7, vcc_lo
	s_cbranch_scc0 .LBB113_90
; %bb.91:                               ;   in Loop: Header=BB113_88 Depth=1
	s_mov_b64 s[0:1], s[2:3]
.LBB113_92:                             ;   in Loop: Header=BB113_88 Depth=1
	s_and_not1_b32 vcc_lo, exec_lo, s13
	s_cbranch_vccnz .LBB113_87
; %bb.93:                               ;   in Loop: Header=BB113_88 Depth=1
	s_lshl_b32 s0, s0, 3
	s_delay_alu instid0(SALU_CYCLE_1)
	s_add_i32 s10, s0, 0
	s_mov_b64 s[0:1], s[6:7]
.LBB113_94:                             ;   Parent Loop BB113_88 Depth=1
                                        ; =>  This Inner Loop Header: Depth=2
	v_mov_b32_e32 v8, s10
	s_add_i32 s10, s10, 8
	s_add_u32 s0, s0, -1
	s_addc_u32 s1, s1, -1
	s_delay_alu instid0(SALU_CYCLE_1) | instskip(SKIP_4) | instid1(VALU_DEP_1)
	s_cmp_lg_u64 s[0:1], 0
	ds_load_b64 v[8:9], v8
	s_waitcnt lgkmcnt(0)
	v_cmp_gt_i64_e32 vcc_lo, v[4:5], v[8:9]
	v_cndmask_b32_e64 v8, 0, 1, vcc_lo
	v_add_co_u32 v6, vcc_lo, v6, v8
	v_add_co_ci_u32_e32 v7, vcc_lo, 0, v7, vcc_lo
	s_cbranch_scc1 .LBB113_94
	s_branch .LBB113_87
.LBB113_95:
	s_nop 0
	s_sendmsg sendmsg(MSG_DEALLOC_VGPRS)
	s_endpgm
	.section	.rodata,"a",@progbits
	.p2align	6, 0x0
	.amdhsa_kernel _ZN9rocsparseL41csrgemm_numeric_fill_block_per_row_kernelILj1024ELj64ELj8192ELj137ELj64ElldEEvT5_PKS1_S3_NS_24const_host_device_scalarIT6_EEPKT4_S3_PKS5_S9_S3_SB_S6_S9_S3_SB_S9_S3_PS5_21rocsparse_index_base_SD_SD_SD_bbb
		.amdhsa_group_segment_fixed_size 0
		.amdhsa_private_segment_fixed_size 0
		.amdhsa_kernarg_size 156
		.amdhsa_user_sgpr_count 15
		.amdhsa_user_sgpr_dispatch_ptr 0
		.amdhsa_user_sgpr_queue_ptr 0
		.amdhsa_user_sgpr_kernarg_segment_ptr 1
		.amdhsa_user_sgpr_dispatch_id 0
		.amdhsa_user_sgpr_private_segment_size 0
		.amdhsa_wavefront_size32 1
		.amdhsa_uses_dynamic_stack 0
		.amdhsa_enable_private_segment 0
		.amdhsa_system_sgpr_workgroup_id_x 1
		.amdhsa_system_sgpr_workgroup_id_y 0
		.amdhsa_system_sgpr_workgroup_id_z 0
		.amdhsa_system_sgpr_workgroup_info 0
		.amdhsa_system_vgpr_workitem_id 0
		.amdhsa_next_free_vgpr 27
		.amdhsa_next_free_sgpr 44
		.amdhsa_reserve_vcc 1
		.amdhsa_float_round_mode_32 0
		.amdhsa_float_round_mode_16_64 0
		.amdhsa_float_denorm_mode_32 3
		.amdhsa_float_denorm_mode_16_64 3
		.amdhsa_dx10_clamp 1
		.amdhsa_ieee_mode 1
		.amdhsa_fp16_overflow 0
		.amdhsa_workgroup_processor_mode 1
		.amdhsa_memory_ordered 1
		.amdhsa_forward_progress 0
		.amdhsa_shared_vgpr_count 0
		.amdhsa_exception_fp_ieee_invalid_op 0
		.amdhsa_exception_fp_denorm_src 0
		.amdhsa_exception_fp_ieee_div_zero 0
		.amdhsa_exception_fp_ieee_overflow 0
		.amdhsa_exception_fp_ieee_underflow 0
		.amdhsa_exception_fp_ieee_inexact 0
		.amdhsa_exception_int_div_zero 0
	.end_amdhsa_kernel
	.section	.text._ZN9rocsparseL41csrgemm_numeric_fill_block_per_row_kernelILj1024ELj64ELj8192ELj137ELj64ElldEEvT5_PKS1_S3_NS_24const_host_device_scalarIT6_EEPKT4_S3_PKS5_S9_S3_SB_S6_S9_S3_SB_S9_S3_PS5_21rocsparse_index_base_SD_SD_SD_bbb,"axG",@progbits,_ZN9rocsparseL41csrgemm_numeric_fill_block_per_row_kernelILj1024ELj64ELj8192ELj137ELj64ElldEEvT5_PKS1_S3_NS_24const_host_device_scalarIT6_EEPKT4_S3_PKS5_S9_S3_SB_S6_S9_S3_SB_S9_S3_PS5_21rocsparse_index_base_SD_SD_SD_bbb,comdat
.Lfunc_end113:
	.size	_ZN9rocsparseL41csrgemm_numeric_fill_block_per_row_kernelILj1024ELj64ELj8192ELj137ELj64ElldEEvT5_PKS1_S3_NS_24const_host_device_scalarIT6_EEPKT4_S3_PKS5_S9_S3_SB_S6_S9_S3_SB_S9_S3_PS5_21rocsparse_index_base_SD_SD_SD_bbb, .Lfunc_end113-_ZN9rocsparseL41csrgemm_numeric_fill_block_per_row_kernelILj1024ELj64ELj8192ELj137ELj64ElldEEvT5_PKS1_S3_NS_24const_host_device_scalarIT6_EEPKT4_S3_PKS5_S9_S3_SB_S6_S9_S3_SB_S9_S3_PS5_21rocsparse_index_base_SD_SD_SD_bbb
                                        ; -- End function
	.section	.AMDGPU.csdata,"",@progbits
; Kernel info:
; codeLenInByte = 4120
; NumSgprs: 46
; NumVgprs: 27
; ScratchSize: 0
; MemoryBound: 0
; FloatMode: 240
; IeeeMode: 1
; LDSByteSize: 0 bytes/workgroup (compile time only)
; SGPRBlocks: 5
; VGPRBlocks: 3
; NumSGPRsForWavesPerEU: 46
; NumVGPRsForWavesPerEU: 27
; Occupancy: 16
; WaveLimiterHint : 1
; COMPUTE_PGM_RSRC2:SCRATCH_EN: 0
; COMPUTE_PGM_RSRC2:USER_SGPR: 15
; COMPUTE_PGM_RSRC2:TRAP_HANDLER: 0
; COMPUTE_PGM_RSRC2:TGID_X_EN: 1
; COMPUTE_PGM_RSRC2:TGID_Y_EN: 0
; COMPUTE_PGM_RSRC2:TGID_Z_EN: 0
; COMPUTE_PGM_RSRC2:TIDIG_COMP_CNT: 0
	.section	.text._ZN9rocsparseL41csrgemm_numeric_fill_block_per_row_kernelILj1024ELj64ELj16384ELj137ELj32ElldEEvT5_PKS1_S3_NS_24const_host_device_scalarIT6_EEPKT4_S3_PKS5_S9_S3_SB_S6_S9_S3_SB_S9_S3_PS5_21rocsparse_index_base_SD_SD_SD_bbb,"axG",@progbits,_ZN9rocsparseL41csrgemm_numeric_fill_block_per_row_kernelILj1024ELj64ELj16384ELj137ELj32ElldEEvT5_PKS1_S3_NS_24const_host_device_scalarIT6_EEPKT4_S3_PKS5_S9_S3_SB_S6_S9_S3_SB_S9_S3_PS5_21rocsparse_index_base_SD_SD_SD_bbb,comdat
	.globl	_ZN9rocsparseL41csrgemm_numeric_fill_block_per_row_kernelILj1024ELj64ELj16384ELj137ELj32ElldEEvT5_PKS1_S3_NS_24const_host_device_scalarIT6_EEPKT4_S3_PKS5_S9_S3_SB_S6_S9_S3_SB_S9_S3_PS5_21rocsparse_index_base_SD_SD_SD_bbb ; -- Begin function _ZN9rocsparseL41csrgemm_numeric_fill_block_per_row_kernelILj1024ELj64ELj16384ELj137ELj32ElldEEvT5_PKS1_S3_NS_24const_host_device_scalarIT6_EEPKT4_S3_PKS5_S9_S3_SB_S6_S9_S3_SB_S9_S3_PS5_21rocsparse_index_base_SD_SD_SD_bbb
	.p2align	8
	.type	_ZN9rocsparseL41csrgemm_numeric_fill_block_per_row_kernelILj1024ELj64ELj16384ELj137ELj32ElldEEvT5_PKS1_S3_NS_24const_host_device_scalarIT6_EEPKT4_S3_PKS5_S9_S3_SB_S6_S9_S3_SB_S9_S3_PS5_21rocsparse_index_base_SD_SD_SD_bbb,@function
_ZN9rocsparseL41csrgemm_numeric_fill_block_per_row_kernelILj1024ELj64ELj16384ELj137ELj32ElldEEvT5_PKS1_S3_NS_24const_host_device_scalarIT6_EEPKT4_S3_PKS5_S9_S3_SB_S6_S9_S3_SB_S9_S3_PS5_21rocsparse_index_base_SD_SD_SD_bbb: ; @_ZN9rocsparseL41csrgemm_numeric_fill_block_per_row_kernelILj1024ELj64ELj16384ELj137ELj32ElldEEvT5_PKS1_S3_NS_24const_host_device_scalarIT6_EEPKT4_S3_PKS5_S9_S3_SB_S6_S9_S3_SB_S9_S3_PS5_21rocsparse_index_base_SD_SD_SD_bbb
; %bb.0:
	s_clause 0x3
	s_load_b32 s3, s[0:1], 0x98
	s_load_b64 s[4:5], s[0:1], 0x18
	s_load_b128 s[44:47], s[0:1], 0x88
	s_load_b64 s[20:21], s[0:1], 0x50
	s_mov_b32 s2, s15
	s_waitcnt lgkmcnt(0)
	s_and_b32 s6, 1, s3
	s_bitcmp1_b32 s3, 16
	s_cselect_b32 s24, -1, 0
	s_cmp_eq_u32 s6, 1
	s_cselect_b32 s23, -1, 0
	s_delay_alu instid0(SALU_CYCLE_1)
	s_and_b32 s6, s23, exec_lo
	s_cselect_b32 s7, s5, 0
	s_cselect_b32 s6, s4, 0
	s_xor_b32 s8, s23, -1
	v_dual_mov_b32 v3, s6 :: v_dual_mov_b32 v4, s7
	s_or_b32 s8, s8, s24
	s_delay_alu instid0(SALU_CYCLE_1)
	s_and_b32 vcc_lo, exec_lo, s8
	s_cbranch_vccnz .LBB114_2
; %bb.1:
	v_dual_mov_b32 v1, s4 :: v_dual_mov_b32 v2, s5
	flat_load_b64 v[3:4], v[1:2]
.LBB114_2:
	s_clause 0x4
	s_load_b64 s[34:35], s[0:1], 0x80
	s_load_b256 s[36:43], s[0:1], 0x58
	s_load_b128 s[12:15], s[0:1], 0x40
	s_load_b128 s[16:19], s[0:1], 0x8
	s_load_b256 s[4:11], s[0:1], 0x20
	s_bitcmp1_b32 s3, 8
	s_cselect_b32 s22, -1, 0
	s_delay_alu instid0(SALU_CYCLE_1)
	s_and_b32 s3, s22, exec_lo
	s_cselect_b32 s27, s21, 0
	s_cselect_b32 s26, s20, 0
	s_xor_b32 s3, s22, -1
	v_dual_mov_b32 v1, s26 :: v_dual_mov_b32 v2, s27
	s_or_b32 s3, s3, s24
	s_delay_alu instid0(SALU_CYCLE_1)
	s_and_b32 vcc_lo, exec_lo, s3
	s_cbranch_vccnz .LBB114_4
; %bb.3:
	v_dual_mov_b32 v1, s20 :: v_dual_mov_b32 v2, s21
	flat_load_b64 v[1:2], v[1:2]
.LBB114_4:
	s_load_b64 s[48:49], s[0:1], 0x0
	v_mov_b32_e32 v5, 0
	v_lshl_add_u32 v19, v0, 3, 0
	v_or_b32_e32 v20, 0xfffffc00, v0
	s_mov_b32 s0, 0
	s_delay_alu instid0(VALU_DEP_1)
	v_dual_mov_b32 v9, v19 :: v_dual_mov_b32 v10, v20
	s_waitcnt lgkmcnt(0)
	v_dual_mov_b32 v7, s48 :: v_dual_mov_b32 v8, s49
	v_mov_b32_e32 v6, v5
.LBB114_5:                              ; =>This Inner Loop Header: Depth=1
	s_delay_alu instid0(VALU_DEP_3)
	v_add_nc_u32_e32 v10, 0x400, v10
	v_add_nc_u32_e32 v11, 0x20000, v9
	ds_store_b64 v9, v[7:8]
	v_add_nc_u32_e32 v9, 0x2000, v9
	v_cmp_lt_u32_e32 vcc_lo, 0x3bff, v10
	ds_store_b64 v11, v[5:6]
	s_or_b32 s0, vcc_lo, s0
	s_delay_alu instid0(SALU_CYCLE_1)
	s_and_not1_b32 exec_lo, exec_lo, s0
	s_cbranch_execnz .LBB114_5
; %bb.6:
	s_or_b32 exec_lo, exec_lo, s0
	s_waitcnt vmcnt(0) lgkmcnt(0)
	s_barrier
	buffer_gl0_inv
	s_load_b64 s[0:1], s[16:17], 0x0
	s_mov_b32 s3, 0
	s_waitcnt lgkmcnt(0)
	s_lshl_b64 s[0:1], s[0:1], 3
	s_delay_alu instid0(SALU_CYCLE_1) | instskip(SKIP_2) | instid1(SALU_CYCLE_1)
	s_add_u32 s16, s18, s0
	s_addc_u32 s17, s19, s1
	s_lshl_b64 s[0:1], s[2:3], 3
	s_add_u32 s0, s16, s0
	s_addc_u32 s1, s17, s1
	s_and_b32 vcc_lo, exec_lo, s23
	s_load_b64 s[50:51], s[0:1], 0x0
	s_cbranch_vccz .LBB114_30
; %bb.7:
	s_waitcnt lgkmcnt(0)
	s_lshl_b64 s[0:1], s[50:51], 3
	v_lshrrev_b32_e32 v5, 6, v0
	s_add_u32 s0, s4, s0
	s_addc_u32 s1, s5, s1
	s_load_b128 s[0:3], s[0:1], 0x0
	s_delay_alu instid0(VALU_DEP_1) | instskip(NEXT) | instid1(VALU_DEP_1)
	v_sub_co_u32 v5, s4, v5, s44
	v_sub_co_ci_u32_e64 v6, null, 0, 0, s4
	s_waitcnt lgkmcnt(0)
	s_delay_alu instid0(VALU_DEP_2) | instskip(NEXT) | instid1(VALU_DEP_2)
	v_add_co_u32 v5, vcc_lo, s0, v5
	v_add_co_ci_u32_e32 v6, vcc_lo, s1, v6, vcc_lo
	s_sub_u32 s0, s2, s44
	s_subb_u32 s1, s3, 0
	s_mov_b32 s2, exec_lo
	s_delay_alu instid0(VALU_DEP_1)
	v_cmpx_gt_i64_e64 s[0:1], v[5:6]
	s_cbranch_execz .LBB114_29
; %bb.8:
	v_and_b32_e32 v7, 63, v0
	s_mov_b32 s4, s45
	s_delay_alu instid0(VALU_DEP_1) | instskip(NEXT) | instid1(VALU_DEP_1)
	v_sub_co_u32 v21, s3, v7, s45
	v_sub_co_ci_u32_e64 v22, null, 0, 0, s3
	s_mov_b32 s3, 0
	s_branch .LBB114_10
.LBB114_9:                              ;   in Loop: Header=BB114_10 Depth=1
	s_or_b32 exec_lo, exec_lo, s5
	v_add_co_u32 v5, vcc_lo, v5, 16
	v_add_co_ci_u32_e32 v6, vcc_lo, 0, v6, vcc_lo
	s_delay_alu instid0(VALU_DEP_1) | instskip(SKIP_1) | instid1(SALU_CYCLE_1)
	v_cmp_le_i64_e32 vcc_lo, s[0:1], v[5:6]
	s_or_b32 s3, vcc_lo, s3
	s_and_not1_b32 exec_lo, exec_lo, s3
	s_cbranch_execz .LBB114_29
.LBB114_10:                             ; =>This Loop Header: Depth=1
                                        ;     Child Loop BB114_13 Depth 2
                                        ;       Child Loop BB114_15 Depth 3
                                        ;         Child Loop BB114_21 Depth 4
                                        ;         Child Loop BB114_27 Depth 4
	v_lshlrev_b64 v[11:12], 3, v[5:6]
	s_mov_b32 s5, exec_lo
	s_delay_alu instid0(VALU_DEP_1) | instskip(NEXT) | instid1(VALU_DEP_2)
	v_add_co_u32 v7, vcc_lo, s6, v11
	v_add_co_ci_u32_e32 v8, vcc_lo, s7, v12, vcc_lo
	global_load_b64 v[7:8], v[7:8], off
	s_waitcnt vmcnt(0)
	v_sub_co_u32 v7, vcc_lo, v7, s44
	v_subrev_co_ci_u32_e32 v8, vcc_lo, 0, v8, vcc_lo
	s_delay_alu instid0(VALU_DEP_1) | instskip(NEXT) | instid1(VALU_DEP_1)
	v_lshlrev_b64 v[7:8], 3, v[7:8]
	v_add_co_u32 v7, vcc_lo, s10, v7
	s_delay_alu instid0(VALU_DEP_2)
	v_add_co_ci_u32_e32 v8, vcc_lo, s11, v8, vcc_lo
	global_load_b128 v[13:16], v[7:8], off
	s_waitcnt vmcnt(0)
	v_sub_co_u32 v7, vcc_lo, v15, s4
	v_subrev_co_ci_u32_e32 v8, vcc_lo, 0, v16, vcc_lo
	v_add_co_u32 v9, vcc_lo, v13, v21
	v_add_co_ci_u32_e32 v10, vcc_lo, v14, v22, vcc_lo
	s_delay_alu instid0(VALU_DEP_1)
	v_cmpx_lt_i64_e64 v[9:10], v[7:8]
	s_cbranch_execz .LBB114_9
; %bb.11:                               ;   in Loop: Header=BB114_10 Depth=1
	v_add_co_u32 v11, vcc_lo, s8, v11
	v_add_co_ci_u32_e32 v12, vcc_lo, s9, v12, vcc_lo
	s_mov_b32 s16, 0
	global_load_b64 v[11:12], v[11:12], off
	s_waitcnt vmcnt(0)
	v_mul_f64 v[11:12], v[3:4], v[11:12]
	s_branch .LBB114_13
.LBB114_12:                             ;   in Loop: Header=BB114_13 Depth=2
	s_or_b32 exec_lo, exec_lo, s17
	v_add_co_u32 v9, vcc_lo, v9, 64
	v_add_co_ci_u32_e32 v10, vcc_lo, 0, v10, vcc_lo
	s_delay_alu instid0(VALU_DEP_1) | instskip(SKIP_1) | instid1(SALU_CYCLE_1)
	v_cmp_ge_i64_e32 vcc_lo, v[9:10], v[7:8]
	s_or_b32 s16, vcc_lo, s16
	s_and_not1_b32 exec_lo, exec_lo, s16
	s_cbranch_execz .LBB114_9
.LBB114_13:                             ;   Parent Loop BB114_10 Depth=1
                                        ; =>  This Loop Header: Depth=2
                                        ;       Child Loop BB114_15 Depth 3
                                        ;         Child Loop BB114_21 Depth 4
                                        ;         Child Loop BB114_27 Depth 4
	v_lshlrev_b64 v[13:14], 3, v[9:10]
	s_mov_b32 s17, 0
	s_delay_alu instid0(VALU_DEP_1) | instskip(NEXT) | instid1(VALU_DEP_2)
	v_add_co_u32 v15, vcc_lo, s14, v13
	v_add_co_ci_u32_e32 v16, vcc_lo, s15, v14, vcc_lo
	v_add_co_u32 v13, vcc_lo, s12, v13
	v_add_co_ci_u32_e32 v14, vcc_lo, s13, v14, vcc_lo
	global_load_b64 v[15:16], v[15:16], off
	global_load_b64 v[17:18], v[13:14], off
	s_waitcnt vmcnt(1)
	v_mul_f64 v[13:14], v[11:12], v[15:16]
	s_waitcnt vmcnt(0)
	v_sub_co_u32 v15, vcc_lo, v17, s4
	v_subrev_co_ci_u32_e32 v16, vcc_lo, 0, v18, vcc_lo
	s_delay_alu instid0(VALU_DEP_2) | instskip(NEXT) | instid1(VALU_DEP_1)
	v_mul_lo_u32 v17, 0x89, v15
	v_and_b32_e32 v23, 0x3fff, v17
	s_branch .LBB114_15
.LBB114_14:                             ;   in Loop: Header=BB114_15 Depth=3
	s_or_b32 exec_lo, exec_lo, s18
	s_xor_b32 s18, s19, -1
	s_delay_alu instid0(SALU_CYCLE_1) | instskip(NEXT) | instid1(SALU_CYCLE_1)
	s_and_b32 s18, exec_lo, s18
	s_or_b32 s17, s18, s17
	s_delay_alu instid0(SALU_CYCLE_1)
	s_and_not1_b32 exec_lo, exec_lo, s17
	s_cbranch_execz .LBB114_12
.LBB114_15:                             ;   Parent Loop BB114_10 Depth=1
                                        ;     Parent Loop BB114_13 Depth=2
                                        ; =>    This Loop Header: Depth=3
                                        ;         Child Loop BB114_21 Depth 4
                                        ;         Child Loop BB114_27 Depth 4
	s_delay_alu instid0(VALU_DEP_1)
	v_lshl_add_u32 v24, v23, 3, 0
	s_mov_b32 s18, exec_lo
                                        ; implicit-def: $sgpr19
	ds_load_b64 v[17:18], v24
	s_waitcnt lgkmcnt(0)
	v_cmpx_ne_u64_e64 v[17:18], v[15:16]
	s_xor_b32 s18, exec_lo, s18
	s_cbranch_execz .LBB114_25
; %bb.16:                               ;   in Loop: Header=BB114_15 Depth=3
	s_mov_b32 s20, exec_lo
                                        ; implicit-def: $sgpr19
	v_cmpx_ne_u64_e64 s[48:49], v[17:18]
	s_xor_b32 s20, exec_lo, s20
; %bb.17:                               ;   in Loop: Header=BB114_15 Depth=3
	v_add_nc_u32_e32 v17, 1, v23
	s_mov_b32 s19, -1
                                        ; implicit-def: $vgpr24
	s_delay_alu instid0(VALU_DEP_1)
	v_and_b32_e32 v23, 0x3fff, v17
; %bb.18:                               ;   in Loop: Header=BB114_15 Depth=3
	s_and_not1_saveexec_b32 s20, s20
	s_cbranch_execz .LBB114_24
; %bb.19:                               ;   in Loop: Header=BB114_15 Depth=3
	v_dual_mov_b32 v17, s48 :: v_dual_mov_b32 v18, s49
	s_mov_b32 s23, -1
	s_mov_b32 s21, exec_lo
	ds_cmpstore_rtn_b64 v[17:18], v24, v[15:16], v[17:18]
	s_waitcnt lgkmcnt(0)
	v_cmpx_eq_u64_e64 s[48:49], v[17:18]
	s_cbranch_execz .LBB114_23
; %bb.20:                               ;   in Loop: Header=BB114_15 Depth=3
	v_lshlrev_b32_e32 v17, 3, v23
	s_mov_b32 s23, 0
	s_delay_alu instid0(VALU_DEP_1)
	v_add3_u32 v24, 0, v17, 0x20000
	ds_load_b64 v[17:18], v24
.LBB114_21:                             ;   Parent Loop BB114_10 Depth=1
                                        ;     Parent Loop BB114_13 Depth=2
                                        ;       Parent Loop BB114_15 Depth=3
                                        ; =>      This Inner Loop Header: Depth=4
	s_waitcnt lgkmcnt(0)
	v_add_f64 v[25:26], v[17:18], v[13:14]
	ds_cmpstore_rtn_b64 v[25:26], v24, v[25:26], v[17:18]
	s_waitcnt lgkmcnt(0)
	v_cmp_eq_u64_e32 vcc_lo, v[25:26], v[17:18]
	v_dual_mov_b32 v17, v25 :: v_dual_mov_b32 v18, v26
	s_or_b32 s23, vcc_lo, s23
	s_delay_alu instid0(SALU_CYCLE_1)
	s_and_not1_b32 exec_lo, exec_lo, s23
	s_cbranch_execnz .LBB114_21
; %bb.22:                               ;   in Loop: Header=BB114_15 Depth=3
	s_or_b32 exec_lo, exec_lo, s23
	s_delay_alu instid0(SALU_CYCLE_1)
	s_xor_b32 s23, exec_lo, -1
.LBB114_23:                             ;   in Loop: Header=BB114_15 Depth=3
	s_or_b32 exec_lo, exec_lo, s21
	s_delay_alu instid0(SALU_CYCLE_1) | instskip(SKIP_1) | instid1(SALU_CYCLE_1)
	s_and_not1_b32 s19, s19, exec_lo
	s_and_b32 s21, s23, exec_lo
	s_or_b32 s19, s19, s21
.LBB114_24:                             ;   in Loop: Header=BB114_15 Depth=3
	s_or_b32 exec_lo, exec_lo, s20
	s_delay_alu instid0(SALU_CYCLE_1)
	s_and_b32 s19, s19, exec_lo
.LBB114_25:                             ;   in Loop: Header=BB114_15 Depth=3
	s_and_not1_saveexec_b32 s18, s18
	s_cbranch_execz .LBB114_14
; %bb.26:                               ;   in Loop: Header=BB114_15 Depth=3
	v_lshlrev_b32_e32 v17, 3, v23
	s_mov_b32 s20, 0
	s_delay_alu instid0(VALU_DEP_1)
	v_add3_u32 v24, 0, v17, 0x20000
	ds_load_b64 v[17:18], v24
.LBB114_27:                             ;   Parent Loop BB114_10 Depth=1
                                        ;     Parent Loop BB114_13 Depth=2
                                        ;       Parent Loop BB114_15 Depth=3
                                        ; =>      This Inner Loop Header: Depth=4
	s_waitcnt lgkmcnt(0)
	v_add_f64 v[25:26], v[17:18], v[13:14]
	ds_cmpstore_rtn_b64 v[25:26], v24, v[25:26], v[17:18]
	s_waitcnt lgkmcnt(0)
	v_cmp_eq_u64_e32 vcc_lo, v[25:26], v[17:18]
	v_dual_mov_b32 v17, v25 :: v_dual_mov_b32 v18, v26
	s_or_b32 s20, vcc_lo, s20
	s_delay_alu instid0(SALU_CYCLE_1)
	s_and_not1_b32 exec_lo, exec_lo, s20
	s_cbranch_execnz .LBB114_27
; %bb.28:                               ;   in Loop: Header=BB114_15 Depth=3
	s_or_b32 exec_lo, exec_lo, s20
	s_delay_alu instid0(SALU_CYCLE_1)
	s_and_not1_b32 s19, s19, exec_lo
	s_branch .LBB114_14
.LBB114_29:
	s_or_b32 exec_lo, exec_lo, s2
.LBB114_30:
	s_delay_alu instid0(SALU_CYCLE_1)
	s_and_not1_b32 vcc_lo, exec_lo, s22
	s_cbranch_vccnz .LBB114_51
; %bb.31:
	s_waitcnt lgkmcnt(0)
	s_lshl_b64 s[0:1], s[50:51], 3
	v_sub_co_u32 v3, s4, v0, s47
	s_add_u32 s0, s36, s0
	s_addc_u32 s1, s37, s1
	v_sub_co_ci_u32_e64 v4, null, 0, 0, s4
	s_load_b128 s[0:3], s[0:1], 0x0
	s_waitcnt lgkmcnt(0)
	v_add_co_u32 v3, vcc_lo, s0, v3
	s_delay_alu instid0(VALU_DEP_2)
	v_add_co_ci_u32_e32 v4, vcc_lo, s1, v4, vcc_lo
	s_sub_u32 s0, s2, s47
	s_subb_u32 s1, s3, 0
	s_mov_b32 s2, 0
	s_mov_b32 s3, exec_lo
	v_cmpx_gt_i64_e64 s[0:1], v[3:4]
	s_cbranch_execz .LBB114_50
; %bb.32:
	s_mov_b32 s4, s47
	s_branch .LBB114_34
.LBB114_33:                             ;   in Loop: Header=BB114_34 Depth=1
	s_or_b32 exec_lo, exec_lo, s5
	v_add_co_u32 v3, vcc_lo, 0x400, v3
	v_add_co_ci_u32_e32 v4, vcc_lo, 0, v4, vcc_lo
	s_delay_alu instid0(VALU_DEP_1) | instskip(SKIP_1) | instid1(SALU_CYCLE_1)
	v_cmp_le_i64_e32 vcc_lo, s[0:1], v[3:4]
	s_or_b32 s2, vcc_lo, s2
	s_and_not1_b32 exec_lo, exec_lo, s2
	s_cbranch_execz .LBB114_50
.LBB114_34:                             ; =>This Loop Header: Depth=1
                                        ;     Child Loop BB114_36 Depth 2
                                        ;       Child Loop BB114_42 Depth 3
                                        ;       Child Loop BB114_48 Depth 3
	v_lshlrev_b64 v[5:6], 3, v[3:4]
	s_mov_b32 s5, 0
	s_delay_alu instid0(VALU_DEP_1) | instskip(NEXT) | instid1(VALU_DEP_2)
	v_add_co_u32 v7, vcc_lo, s40, v5
	v_add_co_ci_u32_e32 v8, vcc_lo, s41, v6, vcc_lo
	v_add_co_u32 v5, vcc_lo, s38, v5
	v_add_co_ci_u32_e32 v6, vcc_lo, s39, v6, vcc_lo
	global_load_b64 v[7:8], v[7:8], off
	global_load_b64 v[9:10], v[5:6], off
	s_waitcnt vmcnt(1)
	v_mul_f64 v[5:6], v[1:2], v[7:8]
	s_waitcnt vmcnt(0)
	v_sub_co_u32 v7, vcc_lo, v9, s4
	v_subrev_co_ci_u32_e32 v8, vcc_lo, 0, v10, vcc_lo
	s_delay_alu instid0(VALU_DEP_2) | instskip(NEXT) | instid1(VALU_DEP_1)
	v_mul_lo_u32 v9, 0x89, v7
	v_and_b32_e32 v11, 0x3fff, v9
	s_branch .LBB114_36
.LBB114_35:                             ;   in Loop: Header=BB114_36 Depth=2
	s_or_b32 exec_lo, exec_lo, s6
	s_xor_b32 s6, s7, -1
	s_delay_alu instid0(SALU_CYCLE_1) | instskip(NEXT) | instid1(SALU_CYCLE_1)
	s_and_b32 s6, exec_lo, s6
	s_or_b32 s5, s6, s5
	s_delay_alu instid0(SALU_CYCLE_1)
	s_and_not1_b32 exec_lo, exec_lo, s5
	s_cbranch_execz .LBB114_33
.LBB114_36:                             ;   Parent Loop BB114_34 Depth=1
                                        ; =>  This Loop Header: Depth=2
                                        ;       Child Loop BB114_42 Depth 3
                                        ;       Child Loop BB114_48 Depth 3
	s_delay_alu instid0(VALU_DEP_1)
	v_lshl_add_u32 v12, v11, 3, 0
	s_mov_b32 s6, exec_lo
                                        ; implicit-def: $sgpr7
	ds_load_b64 v[9:10], v12
	s_waitcnt lgkmcnt(0)
	v_cmpx_ne_u64_e64 v[9:10], v[7:8]
	s_xor_b32 s6, exec_lo, s6
	s_cbranch_execz .LBB114_46
; %bb.37:                               ;   in Loop: Header=BB114_36 Depth=2
	s_mov_b32 s8, exec_lo
                                        ; implicit-def: $sgpr7
	v_cmpx_ne_u64_e64 s[48:49], v[9:10]
	s_xor_b32 s8, exec_lo, s8
; %bb.38:                               ;   in Loop: Header=BB114_36 Depth=2
	v_add_nc_u32_e32 v9, 1, v11
	s_mov_b32 s7, -1
                                        ; implicit-def: $vgpr12
	s_delay_alu instid0(VALU_DEP_1)
	v_and_b32_e32 v11, 0x3fff, v9
; %bb.39:                               ;   in Loop: Header=BB114_36 Depth=2
	s_and_not1_saveexec_b32 s8, s8
	s_cbranch_execz .LBB114_45
; %bb.40:                               ;   in Loop: Header=BB114_36 Depth=2
	v_dual_mov_b32 v9, s48 :: v_dual_mov_b32 v10, s49
	s_mov_b32 s10, -1
	s_mov_b32 s9, exec_lo
	ds_cmpstore_rtn_b64 v[9:10], v12, v[7:8], v[9:10]
	s_waitcnt lgkmcnt(0)
	v_cmpx_eq_u64_e64 s[48:49], v[9:10]
	s_cbranch_execz .LBB114_44
; %bb.41:                               ;   in Loop: Header=BB114_36 Depth=2
	v_lshlrev_b32_e32 v9, 3, v11
	s_mov_b32 s10, 0
	s_delay_alu instid0(VALU_DEP_1)
	v_add3_u32 v12, 0, v9, 0x20000
	ds_load_b64 v[9:10], v12
.LBB114_42:                             ;   Parent Loop BB114_34 Depth=1
                                        ;     Parent Loop BB114_36 Depth=2
                                        ; =>    This Inner Loop Header: Depth=3
	s_waitcnt lgkmcnt(0)
	v_add_f64 v[13:14], v[9:10], v[5:6]
	ds_cmpstore_rtn_b64 v[13:14], v12, v[13:14], v[9:10]
	s_waitcnt lgkmcnt(0)
	v_cmp_eq_u64_e32 vcc_lo, v[13:14], v[9:10]
	v_dual_mov_b32 v9, v13 :: v_dual_mov_b32 v10, v14
	s_or_b32 s10, vcc_lo, s10
	s_delay_alu instid0(SALU_CYCLE_1)
	s_and_not1_b32 exec_lo, exec_lo, s10
	s_cbranch_execnz .LBB114_42
; %bb.43:                               ;   in Loop: Header=BB114_36 Depth=2
	s_or_b32 exec_lo, exec_lo, s10
	s_delay_alu instid0(SALU_CYCLE_1)
	s_xor_b32 s10, exec_lo, -1
.LBB114_44:                             ;   in Loop: Header=BB114_36 Depth=2
	s_or_b32 exec_lo, exec_lo, s9
	s_delay_alu instid0(SALU_CYCLE_1) | instskip(SKIP_1) | instid1(SALU_CYCLE_1)
	s_and_not1_b32 s7, s7, exec_lo
	s_and_b32 s9, s10, exec_lo
	s_or_b32 s7, s7, s9
.LBB114_45:                             ;   in Loop: Header=BB114_36 Depth=2
	s_or_b32 exec_lo, exec_lo, s8
	s_delay_alu instid0(SALU_CYCLE_1)
	s_and_b32 s7, s7, exec_lo
.LBB114_46:                             ;   in Loop: Header=BB114_36 Depth=2
	s_and_not1_saveexec_b32 s6, s6
	s_cbranch_execz .LBB114_35
; %bb.47:                               ;   in Loop: Header=BB114_36 Depth=2
	v_lshlrev_b32_e32 v9, 3, v11
	s_mov_b32 s8, 0
	s_delay_alu instid0(VALU_DEP_1)
	v_add3_u32 v12, 0, v9, 0x20000
	ds_load_b64 v[9:10], v12
.LBB114_48:                             ;   Parent Loop BB114_34 Depth=1
                                        ;     Parent Loop BB114_36 Depth=2
                                        ; =>    This Inner Loop Header: Depth=3
	s_waitcnt lgkmcnt(0)
	v_add_f64 v[13:14], v[9:10], v[5:6]
	ds_cmpstore_rtn_b64 v[13:14], v12, v[13:14], v[9:10]
	s_waitcnt lgkmcnt(0)
	v_cmp_eq_u64_e32 vcc_lo, v[13:14], v[9:10]
	v_dual_mov_b32 v9, v13 :: v_dual_mov_b32 v10, v14
	s_or_b32 s8, vcc_lo, s8
	s_delay_alu instid0(SALU_CYCLE_1)
	s_and_not1_b32 exec_lo, exec_lo, s8
	s_cbranch_execnz .LBB114_48
; %bb.49:                               ;   in Loop: Header=BB114_36 Depth=2
	s_or_b32 exec_lo, exec_lo, s8
	s_delay_alu instid0(SALU_CYCLE_1)
	s_and_not1_b32 s7, s7, exec_lo
	s_branch .LBB114_35
.LBB114_50:
	s_or_b32 exec_lo, exec_lo, s3
.LBB114_51:
	v_mbcnt_lo_u32_b32 v1, -1, 0
	v_lshrrev_b32_e32 v2, 2, v0
	s_add_i32 s71, 0, 0x400f8
	v_cmp_eq_u32_e32 vcc_lo, 0x3ff, v0
	v_cmp_lt_u32_e64 s0, 31, v0
	v_xor_b32_e32 v1, 63, v1
	v_and_b32_e32 v3, 0xf8, v2
	v_cmp_lt_u32_e64 s1, 63, v0
	v_cmp_lt_u32_e64 s2, 0x5f, v0
	;; [unrolled: 1-line block ×3, first 2 shown]
	v_lshrrev_b64 v[1:2], v1, -1
	v_add3_u32 v12, 0, 0x40000, v3
	v_dual_mov_b32 v2, 0 :: v_dual_mov_b32 v5, 0
	v_cmp_lt_u32_e64 s4, 0x9f, v0
	v_cmp_lt_u32_e64 s5, 0xbf, v0
	;; [unrolled: 1-line block ×27, first 2 shown]
	v_mov_b32_e32 v3, 0
	v_mov_b32_e32 v13, s71
	s_mov_b32 s36, 0
	s_add_i32 s37, 0, 0x40000
	s_add_i32 s38, 0, 0x40008
	s_add_i32 s39, 0, 0x40010
	s_add_i32 s40, 0, 0x40018
	s_add_i32 s41, 0, 0x40020
	s_add_i32 s44, 0, 0x40028
	s_add_i32 s45, 0, 0x40030
	s_add_i32 s47, 0, 0x40038
	s_add_i32 s52, 0, 0x40040
	s_add_i32 s53, 0, 0x40048
	s_add_i32 s54, 0, 0x40050
	s_add_i32 s55, 0, 0x40058
	s_add_i32 s56, 0, 0x40060
	s_add_i32 s57, 0, 0x40068
	s_add_i32 s58, 0, 0x40070
	s_add_i32 s59, 0, 0x40078
	s_add_i32 s60, 0, 0x40080
	s_add_i32 s61, 0, 0x40088
	s_add_i32 s62, 0, 0x40090
	s_add_i32 s63, 0, 0x40098
	s_add_i32 s64, 0, 0x400a0
	s_add_i32 s65, 0, 0x400a8
	s_add_i32 s66, 0, 0x400b0
	s_add_i32 s67, 0, 0x400b8
	s_add_i32 s68, 0, 0x400c0
	s_add_i32 s69, 0, 0x400c8
	s_add_i32 s70, 0, 0x400d0
	s_add_i32 s72, 0, 0x400d8
	s_add_i32 s73, 0, 0x400e0
	s_add_i32 s74, 0, 0x400e8
	s_add_i32 s75, 0, 0x400f0
	s_waitcnt lgkmcnt(0)
	s_barrier
	buffer_gl0_inv
	s_branch .LBB114_53
.LBB114_52:                             ;   in Loop: Header=BB114_53 Depth=1
	s_or_b32 exec_lo, exec_lo, s31
	s_waitcnt lgkmcnt(0)
	s_barrier
	buffer_gl0_inv
	ds_load_b64 v[6:7], v13
	v_add_nc_u32_e32 v20, 0x400, v20
	v_add_nc_u32_e32 v19, 0x2000, v19
	s_delay_alu instid0(VALU_DEP_2) | instskip(NEXT) | instid1(VALU_DEP_1)
	v_cmp_lt_u32_e64 s31, 0x3bff, v20
	s_or_b32 s36, s31, s36
	s_waitcnt lgkmcnt(0)
	v_add_co_u32 v2, s33, v6, v2
	s_delay_alu instid0(VALU_DEP_1)
	v_add_co_ci_u32_e64 v3, s33, v7, v3, s33
	s_and_not1_b32 exec_lo, exec_lo, s36
	s_cbranch_execz .LBB114_119
.LBB114_53:                             ; =>This Inner Loop Header: Depth=1
	ds_load_b64 v[6:7], v19
	v_add_nc_u32_e32 v4, 0x20000, v19
	ds_load_b64 v[8:9], v4
	s_waitcnt lgkmcnt(0)
	s_barrier
	buffer_gl0_inv
	v_cmp_gt_i64_e64 s31, s[48:49], v[6:7]
	s_delay_alu instid0(VALU_DEP_1) | instskip(SKIP_1) | instid1(SALU_CYCLE_1)
	v_and_b32_e32 v10, s31, v1
	s_bcnt1_i32_b32 s33, s31
	v_mov_b32_e32 v4, s33
	s_delay_alu instid0(VALU_DEP_2)
	v_bcnt_u32_b32 v10, v10, 0
	ds_store_b64 v12, v[4:5]
	s_waitcnt lgkmcnt(0)
	s_barrier
	buffer_gl0_inv
	s_and_saveexec_b32 s33, s0
	s_cbranch_execnz .LBB114_86
; %bb.54:                               ;   in Loop: Header=BB114_53 Depth=1
	s_or_b32 exec_lo, exec_lo, s33
	s_and_saveexec_b32 s33, s1
	s_cbranch_execnz .LBB114_87
.LBB114_55:                             ;   in Loop: Header=BB114_53 Depth=1
	s_or_b32 exec_lo, exec_lo, s33
	s_and_saveexec_b32 s33, s2
	s_cbranch_execnz .LBB114_88
.LBB114_56:                             ;   in Loop: Header=BB114_53 Depth=1
	s_or_b32 exec_lo, exec_lo, s33
	s_and_saveexec_b32 s33, s3
	s_cbranch_execnz .LBB114_89
.LBB114_57:                             ;   in Loop: Header=BB114_53 Depth=1
	s_or_b32 exec_lo, exec_lo, s33
	s_and_saveexec_b32 s33, s4
	s_cbranch_execnz .LBB114_90
.LBB114_58:                             ;   in Loop: Header=BB114_53 Depth=1
	s_or_b32 exec_lo, exec_lo, s33
	s_and_saveexec_b32 s33, s5
	s_cbranch_execnz .LBB114_91
.LBB114_59:                             ;   in Loop: Header=BB114_53 Depth=1
	s_or_b32 exec_lo, exec_lo, s33
	s_and_saveexec_b32 s33, s6
	s_cbranch_execnz .LBB114_92
.LBB114_60:                             ;   in Loop: Header=BB114_53 Depth=1
	s_or_b32 exec_lo, exec_lo, s33
	s_and_saveexec_b32 s33, s7
	s_cbranch_execnz .LBB114_93
.LBB114_61:                             ;   in Loop: Header=BB114_53 Depth=1
	s_or_b32 exec_lo, exec_lo, s33
	s_and_saveexec_b32 s33, s8
	s_cbranch_execnz .LBB114_94
.LBB114_62:                             ;   in Loop: Header=BB114_53 Depth=1
	s_or_b32 exec_lo, exec_lo, s33
	s_and_saveexec_b32 s33, s9
	s_cbranch_execnz .LBB114_95
.LBB114_63:                             ;   in Loop: Header=BB114_53 Depth=1
	s_or_b32 exec_lo, exec_lo, s33
	s_and_saveexec_b32 s33, s10
	s_cbranch_execnz .LBB114_96
.LBB114_64:                             ;   in Loop: Header=BB114_53 Depth=1
	s_or_b32 exec_lo, exec_lo, s33
	s_and_saveexec_b32 s33, s11
	s_cbranch_execnz .LBB114_97
.LBB114_65:                             ;   in Loop: Header=BB114_53 Depth=1
	s_or_b32 exec_lo, exec_lo, s33
	s_and_saveexec_b32 s33, s12
	s_cbranch_execnz .LBB114_98
.LBB114_66:                             ;   in Loop: Header=BB114_53 Depth=1
	s_or_b32 exec_lo, exec_lo, s33
	s_and_saveexec_b32 s33, s13
	s_cbranch_execnz .LBB114_99
.LBB114_67:                             ;   in Loop: Header=BB114_53 Depth=1
	s_or_b32 exec_lo, exec_lo, s33
	s_and_saveexec_b32 s33, s14
	s_cbranch_execnz .LBB114_100
.LBB114_68:                             ;   in Loop: Header=BB114_53 Depth=1
	s_or_b32 exec_lo, exec_lo, s33
	s_and_saveexec_b32 s33, s15
	s_cbranch_execnz .LBB114_101
.LBB114_69:                             ;   in Loop: Header=BB114_53 Depth=1
	s_or_b32 exec_lo, exec_lo, s33
	s_and_saveexec_b32 s33, s16
	s_cbranch_execnz .LBB114_102
.LBB114_70:                             ;   in Loop: Header=BB114_53 Depth=1
	s_or_b32 exec_lo, exec_lo, s33
	s_and_saveexec_b32 s33, s17
	s_cbranch_execnz .LBB114_103
.LBB114_71:                             ;   in Loop: Header=BB114_53 Depth=1
	s_or_b32 exec_lo, exec_lo, s33
	s_and_saveexec_b32 s33, s18
	s_cbranch_execnz .LBB114_104
.LBB114_72:                             ;   in Loop: Header=BB114_53 Depth=1
	s_or_b32 exec_lo, exec_lo, s33
	s_and_saveexec_b32 s33, s19
	s_cbranch_execnz .LBB114_105
.LBB114_73:                             ;   in Loop: Header=BB114_53 Depth=1
	s_or_b32 exec_lo, exec_lo, s33
	s_and_saveexec_b32 s33, s20
	s_cbranch_execnz .LBB114_106
.LBB114_74:                             ;   in Loop: Header=BB114_53 Depth=1
	s_or_b32 exec_lo, exec_lo, s33
	s_and_saveexec_b32 s33, s21
	s_cbranch_execnz .LBB114_107
.LBB114_75:                             ;   in Loop: Header=BB114_53 Depth=1
	s_or_b32 exec_lo, exec_lo, s33
	s_and_saveexec_b32 s33, s22
	s_cbranch_execnz .LBB114_108
.LBB114_76:                             ;   in Loop: Header=BB114_53 Depth=1
	s_or_b32 exec_lo, exec_lo, s33
	s_and_saveexec_b32 s33, s23
	s_cbranch_execnz .LBB114_109
.LBB114_77:                             ;   in Loop: Header=BB114_53 Depth=1
	s_or_b32 exec_lo, exec_lo, s33
	s_and_saveexec_b32 s33, s24
	s_cbranch_execnz .LBB114_110
.LBB114_78:                             ;   in Loop: Header=BB114_53 Depth=1
	s_or_b32 exec_lo, exec_lo, s33
	s_and_saveexec_b32 s33, s25
	s_cbranch_execnz .LBB114_111
.LBB114_79:                             ;   in Loop: Header=BB114_53 Depth=1
	s_or_b32 exec_lo, exec_lo, s33
	s_and_saveexec_b32 s33, s26
	s_cbranch_execnz .LBB114_112
.LBB114_80:                             ;   in Loop: Header=BB114_53 Depth=1
	s_or_b32 exec_lo, exec_lo, s33
	s_and_saveexec_b32 s33, s27
	s_cbranch_execnz .LBB114_113
.LBB114_81:                             ;   in Loop: Header=BB114_53 Depth=1
	s_or_b32 exec_lo, exec_lo, s33
	s_and_saveexec_b32 s33, s28
	s_cbranch_execnz .LBB114_114
.LBB114_82:                             ;   in Loop: Header=BB114_53 Depth=1
	s_or_b32 exec_lo, exec_lo, s33
	s_and_saveexec_b32 s33, s29
	s_cbranch_execnz .LBB114_115
.LBB114_83:                             ;   in Loop: Header=BB114_53 Depth=1
	s_or_b32 exec_lo, exec_lo, s33
	s_and_saveexec_b32 s33, s30
	s_cbranch_execnz .LBB114_116
.LBB114_84:                             ;   in Loop: Header=BB114_53 Depth=1
	s_or_b32 exec_lo, exec_lo, s33
	v_ashrrev_i32_e32 v11, 31, v10
	s_and_saveexec_b32 s33, s31
	s_cbranch_execnz .LBB114_117
.LBB114_85:                             ;   in Loop: Header=BB114_53 Depth=1
	s_or_b32 exec_lo, exec_lo, s33
	s_and_saveexec_b32 s31, vcc_lo
	s_cbranch_execz .LBB114_52
	s_branch .LBB114_118
.LBB114_86:                             ;   in Loop: Header=BB114_53 Depth=1
	v_mov_b32_e32 v4, s37
	ds_load_b32 v4, v4
	s_waitcnt lgkmcnt(0)
	v_add_nc_u32_e32 v10, v4, v10
	s_or_b32 exec_lo, exec_lo, s33
	s_and_saveexec_b32 s33, s1
	s_cbranch_execz .LBB114_55
.LBB114_87:                             ;   in Loop: Header=BB114_53 Depth=1
	v_mov_b32_e32 v4, s38
	ds_load_b32 v4, v4
	s_waitcnt lgkmcnt(0)
	v_add_nc_u32_e32 v10, v10, v4
	s_or_b32 exec_lo, exec_lo, s33
	s_and_saveexec_b32 s33, s2
	s_cbranch_execz .LBB114_56
.LBB114_88:                             ;   in Loop: Header=BB114_53 Depth=1
	v_mov_b32_e32 v4, s39
	ds_load_b32 v4, v4
	s_waitcnt lgkmcnt(0)
	v_add_nc_u32_e32 v10, v10, v4
	s_or_b32 exec_lo, exec_lo, s33
	s_and_saveexec_b32 s33, s3
	s_cbranch_execz .LBB114_57
.LBB114_89:                             ;   in Loop: Header=BB114_53 Depth=1
	v_mov_b32_e32 v4, s40
	ds_load_b32 v4, v4
	s_waitcnt lgkmcnt(0)
	v_add_nc_u32_e32 v10, v10, v4
	s_or_b32 exec_lo, exec_lo, s33
	s_and_saveexec_b32 s33, s4
	s_cbranch_execz .LBB114_58
.LBB114_90:                             ;   in Loop: Header=BB114_53 Depth=1
	v_mov_b32_e32 v4, s41
	ds_load_b32 v4, v4
	s_waitcnt lgkmcnt(0)
	v_add_nc_u32_e32 v10, v10, v4
	s_or_b32 exec_lo, exec_lo, s33
	s_and_saveexec_b32 s33, s5
	s_cbranch_execz .LBB114_59
.LBB114_91:                             ;   in Loop: Header=BB114_53 Depth=1
	v_mov_b32_e32 v4, s44
	ds_load_b32 v4, v4
	s_waitcnt lgkmcnt(0)
	v_add_nc_u32_e32 v10, v10, v4
	s_or_b32 exec_lo, exec_lo, s33
	s_and_saveexec_b32 s33, s6
	s_cbranch_execz .LBB114_60
.LBB114_92:                             ;   in Loop: Header=BB114_53 Depth=1
	v_mov_b32_e32 v4, s45
	ds_load_b32 v4, v4
	s_waitcnt lgkmcnt(0)
	v_add_nc_u32_e32 v10, v10, v4
	s_or_b32 exec_lo, exec_lo, s33
	s_and_saveexec_b32 s33, s7
	s_cbranch_execz .LBB114_61
.LBB114_93:                             ;   in Loop: Header=BB114_53 Depth=1
	v_mov_b32_e32 v4, s47
	ds_load_b32 v4, v4
	s_waitcnt lgkmcnt(0)
	v_add_nc_u32_e32 v10, v10, v4
	s_or_b32 exec_lo, exec_lo, s33
	s_and_saveexec_b32 s33, s8
	s_cbranch_execz .LBB114_62
.LBB114_94:                             ;   in Loop: Header=BB114_53 Depth=1
	v_mov_b32_e32 v4, s52
	ds_load_b32 v4, v4
	s_waitcnt lgkmcnt(0)
	v_add_nc_u32_e32 v10, v10, v4
	s_or_b32 exec_lo, exec_lo, s33
	s_and_saveexec_b32 s33, s9
	s_cbranch_execz .LBB114_63
.LBB114_95:                             ;   in Loop: Header=BB114_53 Depth=1
	v_mov_b32_e32 v4, s53
	ds_load_b32 v4, v4
	s_waitcnt lgkmcnt(0)
	v_add_nc_u32_e32 v10, v10, v4
	s_or_b32 exec_lo, exec_lo, s33
	s_and_saveexec_b32 s33, s10
	s_cbranch_execz .LBB114_64
.LBB114_96:                             ;   in Loop: Header=BB114_53 Depth=1
	v_mov_b32_e32 v4, s54
	ds_load_b32 v4, v4
	s_waitcnt lgkmcnt(0)
	v_add_nc_u32_e32 v10, v10, v4
	s_or_b32 exec_lo, exec_lo, s33
	s_and_saveexec_b32 s33, s11
	s_cbranch_execz .LBB114_65
.LBB114_97:                             ;   in Loop: Header=BB114_53 Depth=1
	v_mov_b32_e32 v4, s55
	ds_load_b32 v4, v4
	s_waitcnt lgkmcnt(0)
	v_add_nc_u32_e32 v10, v10, v4
	s_or_b32 exec_lo, exec_lo, s33
	s_and_saveexec_b32 s33, s12
	s_cbranch_execz .LBB114_66
.LBB114_98:                             ;   in Loop: Header=BB114_53 Depth=1
	v_mov_b32_e32 v4, s56
	ds_load_b32 v4, v4
	s_waitcnt lgkmcnt(0)
	v_add_nc_u32_e32 v10, v10, v4
	s_or_b32 exec_lo, exec_lo, s33
	s_and_saveexec_b32 s33, s13
	s_cbranch_execz .LBB114_67
.LBB114_99:                             ;   in Loop: Header=BB114_53 Depth=1
	v_mov_b32_e32 v4, s57
	ds_load_b32 v4, v4
	s_waitcnt lgkmcnt(0)
	v_add_nc_u32_e32 v10, v10, v4
	s_or_b32 exec_lo, exec_lo, s33
	s_and_saveexec_b32 s33, s14
	s_cbranch_execz .LBB114_68
.LBB114_100:                            ;   in Loop: Header=BB114_53 Depth=1
	v_mov_b32_e32 v4, s58
	ds_load_b32 v4, v4
	s_waitcnt lgkmcnt(0)
	v_add_nc_u32_e32 v10, v10, v4
	s_or_b32 exec_lo, exec_lo, s33
	s_and_saveexec_b32 s33, s15
	s_cbranch_execz .LBB114_69
.LBB114_101:                            ;   in Loop: Header=BB114_53 Depth=1
	v_mov_b32_e32 v4, s59
	ds_load_b32 v4, v4
	s_waitcnt lgkmcnt(0)
	v_add_nc_u32_e32 v10, v10, v4
	s_or_b32 exec_lo, exec_lo, s33
	s_and_saveexec_b32 s33, s16
	s_cbranch_execz .LBB114_70
.LBB114_102:                            ;   in Loop: Header=BB114_53 Depth=1
	v_mov_b32_e32 v4, s60
	ds_load_b32 v4, v4
	s_waitcnt lgkmcnt(0)
	v_add_nc_u32_e32 v10, v10, v4
	s_or_b32 exec_lo, exec_lo, s33
	s_and_saveexec_b32 s33, s17
	s_cbranch_execz .LBB114_71
.LBB114_103:                            ;   in Loop: Header=BB114_53 Depth=1
	v_mov_b32_e32 v4, s61
	ds_load_b32 v4, v4
	s_waitcnt lgkmcnt(0)
	v_add_nc_u32_e32 v10, v10, v4
	s_or_b32 exec_lo, exec_lo, s33
	s_and_saveexec_b32 s33, s18
	s_cbranch_execz .LBB114_72
.LBB114_104:                            ;   in Loop: Header=BB114_53 Depth=1
	v_mov_b32_e32 v4, s62
	ds_load_b32 v4, v4
	s_waitcnt lgkmcnt(0)
	v_add_nc_u32_e32 v10, v10, v4
	s_or_b32 exec_lo, exec_lo, s33
	s_and_saveexec_b32 s33, s19
	s_cbranch_execz .LBB114_73
.LBB114_105:                            ;   in Loop: Header=BB114_53 Depth=1
	v_mov_b32_e32 v4, s63
	ds_load_b32 v4, v4
	s_waitcnt lgkmcnt(0)
	v_add_nc_u32_e32 v10, v10, v4
	s_or_b32 exec_lo, exec_lo, s33
	s_and_saveexec_b32 s33, s20
	s_cbranch_execz .LBB114_74
.LBB114_106:                            ;   in Loop: Header=BB114_53 Depth=1
	v_mov_b32_e32 v4, s64
	ds_load_b32 v4, v4
	s_waitcnt lgkmcnt(0)
	v_add_nc_u32_e32 v10, v10, v4
	s_or_b32 exec_lo, exec_lo, s33
	s_and_saveexec_b32 s33, s21
	s_cbranch_execz .LBB114_75
.LBB114_107:                            ;   in Loop: Header=BB114_53 Depth=1
	v_mov_b32_e32 v4, s65
	ds_load_b32 v4, v4
	s_waitcnt lgkmcnt(0)
	v_add_nc_u32_e32 v10, v10, v4
	s_or_b32 exec_lo, exec_lo, s33
	s_and_saveexec_b32 s33, s22
	s_cbranch_execz .LBB114_76
.LBB114_108:                            ;   in Loop: Header=BB114_53 Depth=1
	v_mov_b32_e32 v4, s66
	ds_load_b32 v4, v4
	s_waitcnt lgkmcnt(0)
	v_add_nc_u32_e32 v10, v10, v4
	s_or_b32 exec_lo, exec_lo, s33
	s_and_saveexec_b32 s33, s23
	s_cbranch_execz .LBB114_77
.LBB114_109:                            ;   in Loop: Header=BB114_53 Depth=1
	v_mov_b32_e32 v4, s67
	ds_load_b32 v4, v4
	s_waitcnt lgkmcnt(0)
	v_add_nc_u32_e32 v10, v10, v4
	s_or_b32 exec_lo, exec_lo, s33
	s_and_saveexec_b32 s33, s24
	s_cbranch_execz .LBB114_78
.LBB114_110:                            ;   in Loop: Header=BB114_53 Depth=1
	v_mov_b32_e32 v4, s68
	ds_load_b32 v4, v4
	s_waitcnt lgkmcnt(0)
	v_add_nc_u32_e32 v10, v10, v4
	s_or_b32 exec_lo, exec_lo, s33
	s_and_saveexec_b32 s33, s25
	s_cbranch_execz .LBB114_79
.LBB114_111:                            ;   in Loop: Header=BB114_53 Depth=1
	v_mov_b32_e32 v4, s69
	ds_load_b32 v4, v4
	s_waitcnt lgkmcnt(0)
	v_add_nc_u32_e32 v10, v10, v4
	s_or_b32 exec_lo, exec_lo, s33
	s_and_saveexec_b32 s33, s26
	s_cbranch_execz .LBB114_80
.LBB114_112:                            ;   in Loop: Header=BB114_53 Depth=1
	v_mov_b32_e32 v4, s70
	ds_load_b32 v4, v4
	s_waitcnt lgkmcnt(0)
	v_add_nc_u32_e32 v10, v10, v4
	s_or_b32 exec_lo, exec_lo, s33
	s_and_saveexec_b32 s33, s27
	s_cbranch_execz .LBB114_81
.LBB114_113:                            ;   in Loop: Header=BB114_53 Depth=1
	v_mov_b32_e32 v4, s72
	ds_load_b32 v4, v4
	s_waitcnt lgkmcnt(0)
	v_add_nc_u32_e32 v10, v10, v4
	s_or_b32 exec_lo, exec_lo, s33
	s_and_saveexec_b32 s33, s28
	s_cbranch_execz .LBB114_82
.LBB114_114:                            ;   in Loop: Header=BB114_53 Depth=1
	v_mov_b32_e32 v4, s73
	ds_load_b32 v4, v4
	s_waitcnt lgkmcnt(0)
	v_add_nc_u32_e32 v10, v10, v4
	s_or_b32 exec_lo, exec_lo, s33
	s_and_saveexec_b32 s33, s29
	s_cbranch_execz .LBB114_83
.LBB114_115:                            ;   in Loop: Header=BB114_53 Depth=1
	v_mov_b32_e32 v4, s74
	ds_load_b32 v4, v4
	s_waitcnt lgkmcnt(0)
	v_add_nc_u32_e32 v10, v10, v4
	s_or_b32 exec_lo, exec_lo, s33
	s_and_saveexec_b32 s33, s30
	s_cbranch_execz .LBB114_84
.LBB114_116:                            ;   in Loop: Header=BB114_53 Depth=1
	v_mov_b32_e32 v4, s75
	ds_load_b32 v4, v4
	s_waitcnt lgkmcnt(0)
	v_add_nc_u32_e32 v10, v10, v4
	s_or_b32 exec_lo, exec_lo, s33
	s_delay_alu instid0(VALU_DEP_1)
	v_ashrrev_i32_e32 v11, 31, v10
	s_and_saveexec_b32 s33, s31
	s_cbranch_execz .LBB114_85
.LBB114_117:                            ;   in Loop: Header=BB114_53 Depth=1
	v_add3_u32 v4, v2, -1, v10
	s_delay_alu instid0(VALU_DEP_1) | instskip(NEXT) | instid1(VALU_DEP_1)
	v_lshl_add_u32 v4, v4, 3, 0
	v_add_nc_u32_e32 v14, 0x20000, v4
	ds_store_b64 v4, v[6:7]
	ds_store_b64 v14, v[8:9]
	s_or_b32 exec_lo, exec_lo, s33
	s_and_saveexec_b32 s31, vcc_lo
	s_cbranch_execz .LBB114_52
.LBB114_118:                            ;   in Loop: Header=BB114_53 Depth=1
	v_mov_b32_e32 v4, s71
	ds_store_b64 v4, v[10:11]
	s_branch .LBB114_52
.LBB114_119:
	s_or_b32 exec_lo, exec_lo, s36
	s_lshl_b64 s[0:1], s[50:51], 3
	v_mov_b32_e32 v1, 0
	s_add_u32 s0, s42, s0
	s_addc_u32 s1, s43, s1
	s_mov_b32 s6, exec_lo
	s_load_b128 s[0:3], s[0:1], 0x0
	s_waitcnt lgkmcnt(0)
	s_sub_u32 s4, s2, s0
	s_subb_u32 s5, s3, s1
	s_delay_alu instid0(SALU_CYCLE_1)
	v_cmpx_gt_i64_e64 s[4:5], v[0:1]
	s_cbranch_execz .LBB114_129
; %bb.120:
	s_sub_u32 s8, s0, s46
	s_subb_u32 s9, s1, 0
	s_and_b32 s6, s4, 7
	s_sub_u32 s0, s0, s2
	s_subb_u32 s1, s1, s3
	s_mov_b32 s7, 0
	v_cmp_lt_u64_e64 s12, s[0:1], -7
	s_and_b32 s2, s4, -8
	s_cmp_lg_u64 s[6:7], 0
	s_mov_b32 s3, s5
	s_cselect_b32 s13, -1, 0
	s_mov_b32 s14, s7
	s_branch .LBB114_122
.LBB114_121:                            ;   in Loop: Header=BB114_122 Depth=1
	v_add_co_u32 v0, vcc_lo, 0x400, v0
	v_add_co_ci_u32_e32 v1, vcc_lo, 0, v1, vcc_lo
	s_waitcnt lgkmcnt(1)
	v_lshlrev_b64 v[4:5], 3, v[6:7]
	s_delay_alu instid0(VALU_DEP_2) | instskip(NEXT) | instid1(VALU_DEP_2)
	v_cmp_le_i64_e32 vcc_lo, s[4:5], v[0:1]
	v_add_co_u32 v4, s0, s34, v4
	s_delay_alu instid0(VALU_DEP_1)
	v_add_co_ci_u32_e64 v5, s0, s35, v5, s0
	s_or_b32 s14, vcc_lo, s14
	s_waitcnt lgkmcnt(0)
	global_store_b64 v[4:5], v[2:3], off
	s_and_not1_b32 exec_lo, exec_lo, s14
	s_cbranch_execz .LBB114_129
.LBB114_122:                            ; =>This Loop Header: Depth=1
                                        ;     Child Loop BB114_124 Depth 2
                                        ;     Child Loop BB114_128 Depth 2
	v_lshl_add_u32 v2, v0, 3, 0
	s_and_not1_b32 vcc_lo, exec_lo, s12
	s_mov_b64 s[0:1], 0
	v_dual_mov_b32 v6, s8 :: v_dual_mov_b32 v7, s9
	s_delay_alu instid0(VALU_DEP_2)
	v_add_nc_u32_e32 v3, 0x20000, v2
	ds_load_b64 v[4:5], v2
	ds_load_b64 v[2:3], v3
	s_cbranch_vccnz .LBB114_126
; %bb.123:                              ;   in Loop: Header=BB114_122 Depth=1
	v_dual_mov_b32 v6, s8 :: v_dual_mov_b32 v7, s9
	s_mov_b64 s[10:11], 0
	s_mov_b32 s1, 0
.LBB114_124:                            ;   Parent Loop BB114_122 Depth=1
                                        ; =>  This Inner Loop Header: Depth=2
	s_delay_alu instid0(SALU_CYCLE_1)
	v_mov_b32_e32 v20, s1
	s_add_u32 s10, s10, 8
	s_addc_u32 s11, s11, 0
	s_add_i32 s1, s1, 64
	s_cmp_eq_u64 s[2:3], s[10:11]
	ds_load_2addr_b64 v[8:11], v20 offset1:1
	ds_load_2addr_b64 v[12:15], v20 offset0:2 offset1:3
	ds_load_2addr_b64 v[16:19], v20 offset0:4 offset1:5
	;; [unrolled: 1-line block ×3, first 2 shown]
	s_waitcnt lgkmcnt(3)
	v_cmp_gt_i64_e32 vcc_lo, v[4:5], v[8:9]
	v_cndmask_b32_e64 v8, 0, 1, vcc_lo
	v_cmp_gt_i64_e32 vcc_lo, v[4:5], v[10:11]
	v_cndmask_b32_e64 v9, 0, 1, vcc_lo
	s_waitcnt lgkmcnt(2)
	v_cmp_gt_i64_e32 vcc_lo, v[4:5], v[12:13]
	v_cndmask_b32_e64 v10, 0, 1, vcc_lo
	v_cmp_gt_i64_e32 vcc_lo, v[4:5], v[14:15]
	v_cndmask_b32_e64 v11, 0, 1, vcc_lo
	s_waitcnt lgkmcnt(1)
	v_cmp_gt_i64_e32 vcc_lo, v[4:5], v[16:17]
	v_cndmask_b32_e64 v12, 0, 1, vcc_lo
	v_add_co_u32 v6, vcc_lo, v6, v8
	v_add_co_ci_u32_e32 v7, vcc_lo, 0, v7, vcc_lo
	v_cmp_gt_i64_e32 vcc_lo, v[4:5], v[18:19]
	s_delay_alu instid0(VALU_DEP_3) | instskip(NEXT) | instid1(VALU_DEP_1)
	v_add_co_u32 v6, s0, v6, v9
	v_add_co_ci_u32_e64 v7, s0, 0, v7, s0
	v_cndmask_b32_e64 v8, 0, 1, vcc_lo
	s_delay_alu instid0(VALU_DEP_3) | instskip(NEXT) | instid1(VALU_DEP_3)
	v_add_co_u32 v6, vcc_lo, v6, v10
	v_add_co_ci_u32_e32 v7, vcc_lo, 0, v7, vcc_lo
	s_waitcnt lgkmcnt(0)
	v_cmp_gt_i64_e32 vcc_lo, v[4:5], v[20:21]
	s_delay_alu instid0(VALU_DEP_3) | instskip(NEXT) | instid1(VALU_DEP_1)
	v_add_co_u32 v6, s0, v6, v11
	v_add_co_ci_u32_e64 v7, s0, 0, v7, s0
	v_cndmask_b32_e64 v9, 0, 1, vcc_lo
	s_delay_alu instid0(VALU_DEP_3) | instskip(NEXT) | instid1(VALU_DEP_3)
	v_add_co_u32 v6, vcc_lo, v6, v12
	v_add_co_ci_u32_e32 v7, vcc_lo, 0, v7, vcc_lo
	v_cmp_gt_i64_e32 vcc_lo, v[4:5], v[22:23]
	s_delay_alu instid0(VALU_DEP_3) | instskip(NEXT) | instid1(VALU_DEP_1)
	v_add_co_u32 v6, s0, v6, v8
	v_add_co_ci_u32_e64 v7, s0, 0, v7, s0
	v_cndmask_b32_e64 v8, 0, 1, vcc_lo
	s_delay_alu instid0(VALU_DEP_3) | instskip(NEXT) | instid1(VALU_DEP_3)
	v_add_co_u32 v6, vcc_lo, v6, v9
	v_add_co_ci_u32_e32 v7, vcc_lo, 0, v7, vcc_lo
	s_delay_alu instid0(VALU_DEP_2) | instskip(NEXT) | instid1(VALU_DEP_2)
	v_add_co_u32 v6, vcc_lo, v6, v8
	v_add_co_ci_u32_e32 v7, vcc_lo, 0, v7, vcc_lo
	s_cbranch_scc0 .LBB114_124
; %bb.125:                              ;   in Loop: Header=BB114_122 Depth=1
	s_mov_b64 s[0:1], s[2:3]
.LBB114_126:                            ;   in Loop: Header=BB114_122 Depth=1
	s_and_not1_b32 vcc_lo, exec_lo, s13
	s_cbranch_vccnz .LBB114_121
; %bb.127:                              ;   in Loop: Header=BB114_122 Depth=1
	s_lshl_b32 s0, s0, 3
	s_delay_alu instid0(SALU_CYCLE_1)
	s_add_i32 s10, s0, 0
	s_mov_b64 s[0:1], s[6:7]
.LBB114_128:                            ;   Parent Loop BB114_122 Depth=1
                                        ; =>  This Inner Loop Header: Depth=2
	v_mov_b32_e32 v8, s10
	s_add_i32 s10, s10, 8
	s_add_u32 s0, s0, -1
	s_addc_u32 s1, s1, -1
	s_delay_alu instid0(SALU_CYCLE_1) | instskip(SKIP_4) | instid1(VALU_DEP_1)
	s_cmp_lg_u64 s[0:1], 0
	ds_load_b64 v[8:9], v8
	s_waitcnt lgkmcnt(0)
	v_cmp_gt_i64_e32 vcc_lo, v[4:5], v[8:9]
	v_cndmask_b32_e64 v8, 0, 1, vcc_lo
	v_add_co_u32 v6, vcc_lo, v6, v8
	v_add_co_ci_u32_e32 v7, vcc_lo, 0, v7, vcc_lo
	s_cbranch_scc1 .LBB114_128
	s_branch .LBB114_121
.LBB114_129:
	s_nop 0
	s_sendmsg sendmsg(MSG_DEALLOC_VGPRS)
	s_endpgm
	.section	.rodata,"a",@progbits
	.p2align	6, 0x0
	.amdhsa_kernel _ZN9rocsparseL41csrgemm_numeric_fill_block_per_row_kernelILj1024ELj64ELj16384ELj137ELj32ElldEEvT5_PKS1_S3_NS_24const_host_device_scalarIT6_EEPKT4_S3_PKS5_S9_S3_SB_S6_S9_S3_SB_S9_S3_PS5_21rocsparse_index_base_SD_SD_SD_bbb
		.amdhsa_group_segment_fixed_size 0
		.amdhsa_private_segment_fixed_size 0
		.amdhsa_kernarg_size 156
		.amdhsa_user_sgpr_count 15
		.amdhsa_user_sgpr_dispatch_ptr 0
		.amdhsa_user_sgpr_queue_ptr 0
		.amdhsa_user_sgpr_kernarg_segment_ptr 1
		.amdhsa_user_sgpr_dispatch_id 0
		.amdhsa_user_sgpr_private_segment_size 0
		.amdhsa_wavefront_size32 1
		.amdhsa_uses_dynamic_stack 0
		.amdhsa_enable_private_segment 0
		.amdhsa_system_sgpr_workgroup_id_x 1
		.amdhsa_system_sgpr_workgroup_id_y 0
		.amdhsa_system_sgpr_workgroup_id_z 0
		.amdhsa_system_sgpr_workgroup_info 0
		.amdhsa_system_vgpr_workitem_id 0
		.amdhsa_next_free_vgpr 27
		.amdhsa_next_free_sgpr 76
		.amdhsa_reserve_vcc 1
		.amdhsa_float_round_mode_32 0
		.amdhsa_float_round_mode_16_64 0
		.amdhsa_float_denorm_mode_32 3
		.amdhsa_float_denorm_mode_16_64 3
		.amdhsa_dx10_clamp 1
		.amdhsa_ieee_mode 1
		.amdhsa_fp16_overflow 0
		.amdhsa_workgroup_processor_mode 1
		.amdhsa_memory_ordered 1
		.amdhsa_forward_progress 0
		.amdhsa_shared_vgpr_count 0
		.amdhsa_exception_fp_ieee_invalid_op 0
		.amdhsa_exception_fp_denorm_src 0
		.amdhsa_exception_fp_ieee_div_zero 0
		.amdhsa_exception_fp_ieee_overflow 0
		.amdhsa_exception_fp_ieee_underflow 0
		.amdhsa_exception_fp_ieee_inexact 0
		.amdhsa_exception_int_div_zero 0
	.end_amdhsa_kernel
	.section	.text._ZN9rocsparseL41csrgemm_numeric_fill_block_per_row_kernelILj1024ELj64ELj16384ELj137ELj32ElldEEvT5_PKS1_S3_NS_24const_host_device_scalarIT6_EEPKT4_S3_PKS5_S9_S3_SB_S6_S9_S3_SB_S9_S3_PS5_21rocsparse_index_base_SD_SD_SD_bbb,"axG",@progbits,_ZN9rocsparseL41csrgemm_numeric_fill_block_per_row_kernelILj1024ELj64ELj16384ELj137ELj32ElldEEvT5_PKS1_S3_NS_24const_host_device_scalarIT6_EEPKT4_S3_PKS5_S9_S3_SB_S6_S9_S3_SB_S9_S3_PS5_21rocsparse_index_base_SD_SD_SD_bbb,comdat
.Lfunc_end114:
	.size	_ZN9rocsparseL41csrgemm_numeric_fill_block_per_row_kernelILj1024ELj64ELj16384ELj137ELj32ElldEEvT5_PKS1_S3_NS_24const_host_device_scalarIT6_EEPKT4_S3_PKS5_S9_S3_SB_S6_S9_S3_SB_S9_S3_PS5_21rocsparse_index_base_SD_SD_SD_bbb, .Lfunc_end114-_ZN9rocsparseL41csrgemm_numeric_fill_block_per_row_kernelILj1024ELj64ELj16384ELj137ELj32ElldEEvT5_PKS1_S3_NS_24const_host_device_scalarIT6_EEPKT4_S3_PKS5_S9_S3_SB_S6_S9_S3_SB_S9_S3_PS5_21rocsparse_index_base_SD_SD_SD_bbb
                                        ; -- End function
	.section	.AMDGPU.csdata,"",@progbits
; Kernel info:
; codeLenInByte = 5056
; NumSgprs: 78
; NumVgprs: 27
; ScratchSize: 0
; MemoryBound: 0
; FloatMode: 240
; IeeeMode: 1
; LDSByteSize: 0 bytes/workgroup (compile time only)
; SGPRBlocks: 9
; VGPRBlocks: 3
; NumSGPRsForWavesPerEU: 78
; NumVGPRsForWavesPerEU: 27
; Occupancy: 16
; WaveLimiterHint : 1
; COMPUTE_PGM_RSRC2:SCRATCH_EN: 0
; COMPUTE_PGM_RSRC2:USER_SGPR: 15
; COMPUTE_PGM_RSRC2:TRAP_HANDLER: 0
; COMPUTE_PGM_RSRC2:TGID_X_EN: 1
; COMPUTE_PGM_RSRC2:TGID_Y_EN: 0
; COMPUTE_PGM_RSRC2:TGID_Z_EN: 0
; COMPUTE_PGM_RSRC2:TIDIG_COMP_CNT: 0
	.section	.text._ZN9rocsparseL41csrgemm_numeric_fill_block_per_row_kernelILj1024ELj64ELj16384ELj137ELj64ElldEEvT5_PKS1_S3_NS_24const_host_device_scalarIT6_EEPKT4_S3_PKS5_S9_S3_SB_S6_S9_S3_SB_S9_S3_PS5_21rocsparse_index_base_SD_SD_SD_bbb,"axG",@progbits,_ZN9rocsparseL41csrgemm_numeric_fill_block_per_row_kernelILj1024ELj64ELj16384ELj137ELj64ElldEEvT5_PKS1_S3_NS_24const_host_device_scalarIT6_EEPKT4_S3_PKS5_S9_S3_SB_S6_S9_S3_SB_S9_S3_PS5_21rocsparse_index_base_SD_SD_SD_bbb,comdat
	.globl	_ZN9rocsparseL41csrgemm_numeric_fill_block_per_row_kernelILj1024ELj64ELj16384ELj137ELj64ElldEEvT5_PKS1_S3_NS_24const_host_device_scalarIT6_EEPKT4_S3_PKS5_S9_S3_SB_S6_S9_S3_SB_S9_S3_PS5_21rocsparse_index_base_SD_SD_SD_bbb ; -- Begin function _ZN9rocsparseL41csrgemm_numeric_fill_block_per_row_kernelILj1024ELj64ELj16384ELj137ELj64ElldEEvT5_PKS1_S3_NS_24const_host_device_scalarIT6_EEPKT4_S3_PKS5_S9_S3_SB_S6_S9_S3_SB_S9_S3_PS5_21rocsparse_index_base_SD_SD_SD_bbb
	.p2align	8
	.type	_ZN9rocsparseL41csrgemm_numeric_fill_block_per_row_kernelILj1024ELj64ELj16384ELj137ELj64ElldEEvT5_PKS1_S3_NS_24const_host_device_scalarIT6_EEPKT4_S3_PKS5_S9_S3_SB_S6_S9_S3_SB_S9_S3_PS5_21rocsparse_index_base_SD_SD_SD_bbb,@function
_ZN9rocsparseL41csrgemm_numeric_fill_block_per_row_kernelILj1024ELj64ELj16384ELj137ELj64ElldEEvT5_PKS1_S3_NS_24const_host_device_scalarIT6_EEPKT4_S3_PKS5_S9_S3_SB_S6_S9_S3_SB_S9_S3_PS5_21rocsparse_index_base_SD_SD_SD_bbb: ; @_ZN9rocsparseL41csrgemm_numeric_fill_block_per_row_kernelILj1024ELj64ELj16384ELj137ELj64ElldEEvT5_PKS1_S3_NS_24const_host_device_scalarIT6_EEPKT4_S3_PKS5_S9_S3_SB_S6_S9_S3_SB_S9_S3_PS5_21rocsparse_index_base_SD_SD_SD_bbb
; %bb.0:
	s_clause 0x3
	s_load_b32 s3, s[0:1], 0x98
	s_load_b64 s[4:5], s[0:1], 0x18
	s_load_b128 s[20:23], s[0:1], 0x88
	s_load_b64 s[36:37], s[0:1], 0x50
	s_mov_b32 s2, s15
	s_waitcnt lgkmcnt(0)
	s_and_b32 s6, 1, s3
	s_bitcmp1_b32 s3, 16
	s_cselect_b32 s39, -1, 0
	s_cmp_eq_u32 s6, 1
	s_cselect_b32 s38, -1, 0
	s_delay_alu instid0(SALU_CYCLE_1)
	s_and_b32 s6, s38, exec_lo
	s_cselect_b32 s7, s5, 0
	s_cselect_b32 s6, s4, 0
	s_xor_b32 s8, s38, -1
	v_dual_mov_b32 v3, s6 :: v_dual_mov_b32 v4, s7
	s_or_b32 s8, s8, s39
	s_delay_alu instid0(SALU_CYCLE_1)
	s_and_b32 vcc_lo, exec_lo, s8
	s_cbranch_vccnz .LBB115_2
; %bb.1:
	v_dual_mov_b32 v1, s4 :: v_dual_mov_b32 v2, s5
	flat_load_b64 v[3:4], v[1:2]
.LBB115_2:
	s_clause 0x4
	s_load_b64 s[34:35], s[0:1], 0x80
	s_load_b256 s[12:19], s[0:1], 0x58
	s_load_b128 s[24:27], s[0:1], 0x40
	s_load_b128 s[28:31], s[0:1], 0x8
	s_load_b256 s[4:11], s[0:1], 0x20
	s_bitcmp1_b32 s3, 8
	s_cselect_b32 s33, -1, 0
	s_delay_alu instid0(SALU_CYCLE_1)
	s_and_b32 s3, s33, exec_lo
	s_cselect_b32 s41, s37, 0
	s_cselect_b32 s40, s36, 0
	s_xor_b32 s3, s33, -1
	v_dual_mov_b32 v1, s40 :: v_dual_mov_b32 v2, s41
	s_or_b32 s3, s3, s39
	s_delay_alu instid0(SALU_CYCLE_1)
	s_and_b32 vcc_lo, exec_lo, s3
	s_cbranch_vccnz .LBB115_4
; %bb.3:
	v_dual_mov_b32 v1, s36 :: v_dual_mov_b32 v2, s37
	flat_load_b64 v[1:2], v[1:2]
.LBB115_4:
	s_load_b64 s[36:37], s[0:1], 0x0
	v_mov_b32_e32 v5, 0
	v_lshl_add_u32 v19, v0, 3, 0
	v_or_b32_e32 v20, 0xfffffc00, v0
	s_mov_b32 s0, 0
	s_delay_alu instid0(VALU_DEP_1)
	v_dual_mov_b32 v9, v19 :: v_dual_mov_b32 v10, v20
	s_waitcnt lgkmcnt(0)
	v_dual_mov_b32 v7, s36 :: v_dual_mov_b32 v8, s37
	v_mov_b32_e32 v6, v5
.LBB115_5:                              ; =>This Inner Loop Header: Depth=1
	s_delay_alu instid0(VALU_DEP_3)
	v_add_nc_u32_e32 v10, 0x400, v10
	v_add_nc_u32_e32 v11, 0x20000, v9
	ds_store_b64 v9, v[7:8]
	v_add_nc_u32_e32 v9, 0x2000, v9
	v_cmp_lt_u32_e32 vcc_lo, 0x3bff, v10
	ds_store_b64 v11, v[5:6]
	s_or_b32 s0, vcc_lo, s0
	s_delay_alu instid0(SALU_CYCLE_1)
	s_and_not1_b32 exec_lo, exec_lo, s0
	s_cbranch_execnz .LBB115_5
; %bb.6:
	s_or_b32 exec_lo, exec_lo, s0
	s_waitcnt vmcnt(0) lgkmcnt(0)
	s_barrier
	buffer_gl0_inv
	s_load_b64 s[0:1], s[28:29], 0x0
	s_mov_b32 s3, 0
	v_lshrrev_b32_e32 v21, 6, v0
	s_waitcnt lgkmcnt(0)
	s_lshl_b64 s[0:1], s[0:1], 3
	s_delay_alu instid0(SALU_CYCLE_1) | instskip(SKIP_2) | instid1(SALU_CYCLE_1)
	s_add_u32 s28, s30, s0
	s_addc_u32 s29, s31, s1
	s_lshl_b64 s[0:1], s[2:3], 3
	s_add_u32 s0, s28, s0
	s_addc_u32 s1, s29, s1
	s_and_b32 vcc_lo, exec_lo, s38
	s_load_b64 s[28:29], s[0:1], 0x0
	s_cbranch_vccz .LBB115_30
; %bb.7:
	s_waitcnt lgkmcnt(0)
	s_lshl_b64 s[0:1], s[28:29], 3
	s_delay_alu instid0(SALU_CYCLE_1)
	s_add_u32 s0, s4, s0
	s_addc_u32 s1, s5, s1
	v_sub_co_u32 v5, s4, v21, s20
	s_load_b128 s[0:3], s[0:1], 0x0
	v_sub_co_ci_u32_e64 v6, null, 0, 0, s4
	s_waitcnt lgkmcnt(0)
	s_delay_alu instid0(VALU_DEP_2) | instskip(NEXT) | instid1(VALU_DEP_2)
	v_add_co_u32 v5, vcc_lo, s0, v5
	v_add_co_ci_u32_e32 v6, vcc_lo, s1, v6, vcc_lo
	s_sub_u32 s0, s2, s20
	s_subb_u32 s1, s3, 0
	s_mov_b32 s2, exec_lo
	s_delay_alu instid0(VALU_DEP_1)
	v_cmpx_gt_i64_e64 s[0:1], v[5:6]
	s_cbranch_execz .LBB115_29
; %bb.8:
	v_and_b32_e32 v7, 63, v0
	s_mov_b32 s4, s21
	s_delay_alu instid0(VALU_DEP_1) | instskip(NEXT) | instid1(VALU_DEP_1)
	v_sub_co_u32 v22, s3, v7, s21
	v_sub_co_ci_u32_e64 v23, null, 0, 0, s3
	s_mov_b32 s3, 0
	s_branch .LBB115_10
.LBB115_9:                              ;   in Loop: Header=BB115_10 Depth=1
	s_or_b32 exec_lo, exec_lo, s5
	v_add_co_u32 v5, vcc_lo, v5, 16
	v_add_co_ci_u32_e32 v6, vcc_lo, 0, v6, vcc_lo
	s_delay_alu instid0(VALU_DEP_1) | instskip(SKIP_1) | instid1(SALU_CYCLE_1)
	v_cmp_le_i64_e32 vcc_lo, s[0:1], v[5:6]
	s_or_b32 s3, vcc_lo, s3
	s_and_not1_b32 exec_lo, exec_lo, s3
	s_cbranch_execz .LBB115_29
.LBB115_10:                             ; =>This Loop Header: Depth=1
                                        ;     Child Loop BB115_13 Depth 2
                                        ;       Child Loop BB115_15 Depth 3
                                        ;         Child Loop BB115_21 Depth 4
                                        ;         Child Loop BB115_27 Depth 4
	v_lshlrev_b64 v[11:12], 3, v[5:6]
	s_mov_b32 s5, exec_lo
	s_delay_alu instid0(VALU_DEP_1) | instskip(NEXT) | instid1(VALU_DEP_2)
	v_add_co_u32 v7, vcc_lo, s6, v11
	v_add_co_ci_u32_e32 v8, vcc_lo, s7, v12, vcc_lo
	global_load_b64 v[7:8], v[7:8], off
	s_waitcnt vmcnt(0)
	v_sub_co_u32 v7, vcc_lo, v7, s20
	v_subrev_co_ci_u32_e32 v8, vcc_lo, 0, v8, vcc_lo
	s_delay_alu instid0(VALU_DEP_1) | instskip(NEXT) | instid1(VALU_DEP_1)
	v_lshlrev_b64 v[7:8], 3, v[7:8]
	v_add_co_u32 v7, vcc_lo, s10, v7
	s_delay_alu instid0(VALU_DEP_2)
	v_add_co_ci_u32_e32 v8, vcc_lo, s11, v8, vcc_lo
	global_load_b128 v[13:16], v[7:8], off
	s_waitcnt vmcnt(0)
	v_sub_co_u32 v7, vcc_lo, v15, s4
	v_subrev_co_ci_u32_e32 v8, vcc_lo, 0, v16, vcc_lo
	v_add_co_u32 v9, vcc_lo, v13, v22
	v_add_co_ci_u32_e32 v10, vcc_lo, v14, v23, vcc_lo
	s_delay_alu instid0(VALU_DEP_1)
	v_cmpx_lt_i64_e64 v[9:10], v[7:8]
	s_cbranch_execz .LBB115_9
; %bb.11:                               ;   in Loop: Header=BB115_10 Depth=1
	v_add_co_u32 v11, vcc_lo, s8, v11
	v_add_co_ci_u32_e32 v12, vcc_lo, s9, v12, vcc_lo
	s_mov_b32 s21, 0
	global_load_b64 v[11:12], v[11:12], off
	s_waitcnt vmcnt(0)
	v_mul_f64 v[11:12], v[3:4], v[11:12]
	s_branch .LBB115_13
.LBB115_12:                             ;   in Loop: Header=BB115_13 Depth=2
	s_or_b32 exec_lo, exec_lo, s30
	v_add_co_u32 v9, vcc_lo, v9, 64
	v_add_co_ci_u32_e32 v10, vcc_lo, 0, v10, vcc_lo
	s_delay_alu instid0(VALU_DEP_1) | instskip(SKIP_1) | instid1(SALU_CYCLE_1)
	v_cmp_ge_i64_e32 vcc_lo, v[9:10], v[7:8]
	s_or_b32 s21, vcc_lo, s21
	s_and_not1_b32 exec_lo, exec_lo, s21
	s_cbranch_execz .LBB115_9
.LBB115_13:                             ;   Parent Loop BB115_10 Depth=1
                                        ; =>  This Loop Header: Depth=2
                                        ;       Child Loop BB115_15 Depth 3
                                        ;         Child Loop BB115_21 Depth 4
                                        ;         Child Loop BB115_27 Depth 4
	v_lshlrev_b64 v[13:14], 3, v[9:10]
	s_mov_b32 s30, 0
	s_delay_alu instid0(VALU_DEP_1) | instskip(NEXT) | instid1(VALU_DEP_2)
	v_add_co_u32 v15, vcc_lo, s26, v13
	v_add_co_ci_u32_e32 v16, vcc_lo, s27, v14, vcc_lo
	v_add_co_u32 v13, vcc_lo, s24, v13
	v_add_co_ci_u32_e32 v14, vcc_lo, s25, v14, vcc_lo
	global_load_b64 v[15:16], v[15:16], off
	global_load_b64 v[17:18], v[13:14], off
	s_waitcnt vmcnt(1)
	v_mul_f64 v[13:14], v[11:12], v[15:16]
	s_waitcnt vmcnt(0)
	v_sub_co_u32 v15, vcc_lo, v17, s4
	v_subrev_co_ci_u32_e32 v16, vcc_lo, 0, v18, vcc_lo
	s_delay_alu instid0(VALU_DEP_2) | instskip(NEXT) | instid1(VALU_DEP_1)
	v_mul_lo_u32 v17, 0x89, v15
	v_and_b32_e32 v24, 0x3fff, v17
	s_branch .LBB115_15
.LBB115_14:                             ;   in Loop: Header=BB115_15 Depth=3
	s_or_b32 exec_lo, exec_lo, s31
	s_xor_b32 s31, s38, -1
	s_delay_alu instid0(SALU_CYCLE_1) | instskip(NEXT) | instid1(SALU_CYCLE_1)
	s_and_b32 s31, exec_lo, s31
	s_or_b32 s30, s31, s30
	s_delay_alu instid0(SALU_CYCLE_1)
	s_and_not1_b32 exec_lo, exec_lo, s30
	s_cbranch_execz .LBB115_12
.LBB115_15:                             ;   Parent Loop BB115_10 Depth=1
                                        ;     Parent Loop BB115_13 Depth=2
                                        ; =>    This Loop Header: Depth=3
                                        ;         Child Loop BB115_21 Depth 4
                                        ;         Child Loop BB115_27 Depth 4
	s_delay_alu instid0(VALU_DEP_1)
	v_lshl_add_u32 v25, v24, 3, 0
	s_mov_b32 s31, exec_lo
                                        ; implicit-def: $sgpr38
	ds_load_b64 v[17:18], v25
	s_waitcnt lgkmcnt(0)
	v_cmpx_ne_u64_e64 v[17:18], v[15:16]
	s_xor_b32 s31, exec_lo, s31
	s_cbranch_execz .LBB115_25
; %bb.16:                               ;   in Loop: Header=BB115_15 Depth=3
	s_mov_b32 s39, exec_lo
                                        ; implicit-def: $sgpr38
	v_cmpx_ne_u64_e64 s[36:37], v[17:18]
	s_xor_b32 s39, exec_lo, s39
; %bb.17:                               ;   in Loop: Header=BB115_15 Depth=3
	v_add_nc_u32_e32 v17, 1, v24
	s_mov_b32 s38, -1
                                        ; implicit-def: $vgpr25
	s_delay_alu instid0(VALU_DEP_1)
	v_and_b32_e32 v24, 0x3fff, v17
; %bb.18:                               ;   in Loop: Header=BB115_15 Depth=3
	s_and_not1_saveexec_b32 s39, s39
	s_cbranch_execz .LBB115_24
; %bb.19:                               ;   in Loop: Header=BB115_15 Depth=3
	v_dual_mov_b32 v17, s36 :: v_dual_mov_b32 v18, s37
	s_mov_b32 s41, -1
	s_mov_b32 s40, exec_lo
	ds_cmpstore_rtn_b64 v[17:18], v25, v[15:16], v[17:18]
	s_waitcnt lgkmcnt(0)
	v_cmpx_eq_u64_e64 s[36:37], v[17:18]
	s_cbranch_execz .LBB115_23
; %bb.20:                               ;   in Loop: Header=BB115_15 Depth=3
	v_lshlrev_b32_e32 v17, 3, v24
	s_mov_b32 s41, 0
	s_delay_alu instid0(VALU_DEP_1)
	v_add3_u32 v25, 0, v17, 0x20000
	ds_load_b64 v[17:18], v25
.LBB115_21:                             ;   Parent Loop BB115_10 Depth=1
                                        ;     Parent Loop BB115_13 Depth=2
                                        ;       Parent Loop BB115_15 Depth=3
                                        ; =>      This Inner Loop Header: Depth=4
	s_waitcnt lgkmcnt(0)
	v_add_f64 v[26:27], v[17:18], v[13:14]
	ds_cmpstore_rtn_b64 v[26:27], v25, v[26:27], v[17:18]
	s_waitcnt lgkmcnt(0)
	v_cmp_eq_u64_e32 vcc_lo, v[26:27], v[17:18]
	v_dual_mov_b32 v17, v26 :: v_dual_mov_b32 v18, v27
	s_or_b32 s41, vcc_lo, s41
	s_delay_alu instid0(SALU_CYCLE_1)
	s_and_not1_b32 exec_lo, exec_lo, s41
	s_cbranch_execnz .LBB115_21
; %bb.22:                               ;   in Loop: Header=BB115_15 Depth=3
	s_or_b32 exec_lo, exec_lo, s41
	s_delay_alu instid0(SALU_CYCLE_1)
	s_xor_b32 s41, exec_lo, -1
.LBB115_23:                             ;   in Loop: Header=BB115_15 Depth=3
	s_or_b32 exec_lo, exec_lo, s40
	s_delay_alu instid0(SALU_CYCLE_1) | instskip(SKIP_1) | instid1(SALU_CYCLE_1)
	s_and_not1_b32 s38, s38, exec_lo
	s_and_b32 s40, s41, exec_lo
	s_or_b32 s38, s38, s40
.LBB115_24:                             ;   in Loop: Header=BB115_15 Depth=3
	s_or_b32 exec_lo, exec_lo, s39
	s_delay_alu instid0(SALU_CYCLE_1)
	s_and_b32 s38, s38, exec_lo
.LBB115_25:                             ;   in Loop: Header=BB115_15 Depth=3
	s_and_not1_saveexec_b32 s31, s31
	s_cbranch_execz .LBB115_14
; %bb.26:                               ;   in Loop: Header=BB115_15 Depth=3
	v_lshlrev_b32_e32 v17, 3, v24
	s_mov_b32 s39, 0
	s_delay_alu instid0(VALU_DEP_1)
	v_add3_u32 v25, 0, v17, 0x20000
	ds_load_b64 v[17:18], v25
.LBB115_27:                             ;   Parent Loop BB115_10 Depth=1
                                        ;     Parent Loop BB115_13 Depth=2
                                        ;       Parent Loop BB115_15 Depth=3
                                        ; =>      This Inner Loop Header: Depth=4
	s_waitcnt lgkmcnt(0)
	v_add_f64 v[26:27], v[17:18], v[13:14]
	ds_cmpstore_rtn_b64 v[26:27], v25, v[26:27], v[17:18]
	s_waitcnt lgkmcnt(0)
	v_cmp_eq_u64_e32 vcc_lo, v[26:27], v[17:18]
	v_dual_mov_b32 v17, v26 :: v_dual_mov_b32 v18, v27
	s_or_b32 s39, vcc_lo, s39
	s_delay_alu instid0(SALU_CYCLE_1)
	s_and_not1_b32 exec_lo, exec_lo, s39
	s_cbranch_execnz .LBB115_27
; %bb.28:                               ;   in Loop: Header=BB115_15 Depth=3
	s_or_b32 exec_lo, exec_lo, s39
	s_delay_alu instid0(SALU_CYCLE_1)
	s_and_not1_b32 s38, s38, exec_lo
	s_branch .LBB115_14
.LBB115_29:
	s_or_b32 exec_lo, exec_lo, s2
.LBB115_30:
	s_delay_alu instid0(SALU_CYCLE_1)
	s_and_not1_b32 vcc_lo, exec_lo, s33
	s_cbranch_vccnz .LBB115_51
; %bb.31:
	s_waitcnt lgkmcnt(0)
	s_lshl_b64 s[0:1], s[28:29], 3
	v_sub_co_u32 v3, s4, v0, s23
	s_add_u32 s0, s12, s0
	s_addc_u32 s1, s13, s1
	v_sub_co_ci_u32_e64 v4, null, 0, 0, s4
	s_load_b128 s[0:3], s[0:1], 0x0
	s_waitcnt lgkmcnt(0)
	v_add_co_u32 v3, vcc_lo, s0, v3
	s_delay_alu instid0(VALU_DEP_2)
	v_add_co_ci_u32_e32 v4, vcc_lo, s1, v4, vcc_lo
	s_sub_u32 s0, s2, s23
	s_subb_u32 s1, s3, 0
	s_mov_b32 s2, 0
	s_mov_b32 s3, exec_lo
	v_cmpx_gt_i64_e64 s[0:1], v[3:4]
	s_cbranch_execz .LBB115_50
; %bb.32:
	s_mov_b32 s4, s23
	s_branch .LBB115_34
.LBB115_33:                             ;   in Loop: Header=BB115_34 Depth=1
	s_or_b32 exec_lo, exec_lo, s5
	v_add_co_u32 v3, vcc_lo, 0x400, v3
	v_add_co_ci_u32_e32 v4, vcc_lo, 0, v4, vcc_lo
	s_delay_alu instid0(VALU_DEP_1) | instskip(SKIP_1) | instid1(SALU_CYCLE_1)
	v_cmp_le_i64_e32 vcc_lo, s[0:1], v[3:4]
	s_or_b32 s2, vcc_lo, s2
	s_and_not1_b32 exec_lo, exec_lo, s2
	s_cbranch_execz .LBB115_50
.LBB115_34:                             ; =>This Loop Header: Depth=1
                                        ;     Child Loop BB115_36 Depth 2
                                        ;       Child Loop BB115_42 Depth 3
                                        ;       Child Loop BB115_48 Depth 3
	v_lshlrev_b64 v[5:6], 3, v[3:4]
	s_mov_b32 s5, 0
	s_delay_alu instid0(VALU_DEP_1) | instskip(NEXT) | instid1(VALU_DEP_2)
	v_add_co_u32 v7, vcc_lo, s16, v5
	v_add_co_ci_u32_e32 v8, vcc_lo, s17, v6, vcc_lo
	v_add_co_u32 v5, vcc_lo, s14, v5
	v_add_co_ci_u32_e32 v6, vcc_lo, s15, v6, vcc_lo
	global_load_b64 v[7:8], v[7:8], off
	global_load_b64 v[9:10], v[5:6], off
	s_waitcnt vmcnt(1)
	v_mul_f64 v[5:6], v[1:2], v[7:8]
	s_waitcnt vmcnt(0)
	v_sub_co_u32 v7, vcc_lo, v9, s4
	v_subrev_co_ci_u32_e32 v8, vcc_lo, 0, v10, vcc_lo
	s_delay_alu instid0(VALU_DEP_2) | instskip(NEXT) | instid1(VALU_DEP_1)
	v_mul_lo_u32 v9, 0x89, v7
	v_and_b32_e32 v11, 0x3fff, v9
	s_branch .LBB115_36
.LBB115_35:                             ;   in Loop: Header=BB115_36 Depth=2
	s_or_b32 exec_lo, exec_lo, s6
	s_xor_b32 s6, s7, -1
	s_delay_alu instid0(SALU_CYCLE_1) | instskip(NEXT) | instid1(SALU_CYCLE_1)
	s_and_b32 s6, exec_lo, s6
	s_or_b32 s5, s6, s5
	s_delay_alu instid0(SALU_CYCLE_1)
	s_and_not1_b32 exec_lo, exec_lo, s5
	s_cbranch_execz .LBB115_33
.LBB115_36:                             ;   Parent Loop BB115_34 Depth=1
                                        ; =>  This Loop Header: Depth=2
                                        ;       Child Loop BB115_42 Depth 3
                                        ;       Child Loop BB115_48 Depth 3
	s_delay_alu instid0(VALU_DEP_1)
	v_lshl_add_u32 v12, v11, 3, 0
	s_mov_b32 s6, exec_lo
                                        ; implicit-def: $sgpr7
	ds_load_b64 v[9:10], v12
	s_waitcnt lgkmcnt(0)
	v_cmpx_ne_u64_e64 v[9:10], v[7:8]
	s_xor_b32 s6, exec_lo, s6
	s_cbranch_execz .LBB115_46
; %bb.37:                               ;   in Loop: Header=BB115_36 Depth=2
	s_mov_b32 s8, exec_lo
                                        ; implicit-def: $sgpr7
	v_cmpx_ne_u64_e64 s[36:37], v[9:10]
	s_xor_b32 s8, exec_lo, s8
; %bb.38:                               ;   in Loop: Header=BB115_36 Depth=2
	v_add_nc_u32_e32 v9, 1, v11
	s_mov_b32 s7, -1
                                        ; implicit-def: $vgpr12
	s_delay_alu instid0(VALU_DEP_1)
	v_and_b32_e32 v11, 0x3fff, v9
; %bb.39:                               ;   in Loop: Header=BB115_36 Depth=2
	s_and_not1_saveexec_b32 s8, s8
	s_cbranch_execz .LBB115_45
; %bb.40:                               ;   in Loop: Header=BB115_36 Depth=2
	v_dual_mov_b32 v9, s36 :: v_dual_mov_b32 v10, s37
	s_mov_b32 s10, -1
	s_mov_b32 s9, exec_lo
	ds_cmpstore_rtn_b64 v[9:10], v12, v[7:8], v[9:10]
	s_waitcnt lgkmcnt(0)
	v_cmpx_eq_u64_e64 s[36:37], v[9:10]
	s_cbranch_execz .LBB115_44
; %bb.41:                               ;   in Loop: Header=BB115_36 Depth=2
	v_lshlrev_b32_e32 v9, 3, v11
	s_mov_b32 s10, 0
	s_delay_alu instid0(VALU_DEP_1)
	v_add3_u32 v12, 0, v9, 0x20000
	ds_load_b64 v[9:10], v12
.LBB115_42:                             ;   Parent Loop BB115_34 Depth=1
                                        ;     Parent Loop BB115_36 Depth=2
                                        ; =>    This Inner Loop Header: Depth=3
	s_waitcnt lgkmcnt(0)
	v_add_f64 v[13:14], v[9:10], v[5:6]
	ds_cmpstore_rtn_b64 v[13:14], v12, v[13:14], v[9:10]
	s_waitcnt lgkmcnt(0)
	v_cmp_eq_u64_e32 vcc_lo, v[13:14], v[9:10]
	v_dual_mov_b32 v9, v13 :: v_dual_mov_b32 v10, v14
	s_or_b32 s10, vcc_lo, s10
	s_delay_alu instid0(SALU_CYCLE_1)
	s_and_not1_b32 exec_lo, exec_lo, s10
	s_cbranch_execnz .LBB115_42
; %bb.43:                               ;   in Loop: Header=BB115_36 Depth=2
	s_or_b32 exec_lo, exec_lo, s10
	s_delay_alu instid0(SALU_CYCLE_1)
	s_xor_b32 s10, exec_lo, -1
.LBB115_44:                             ;   in Loop: Header=BB115_36 Depth=2
	s_or_b32 exec_lo, exec_lo, s9
	s_delay_alu instid0(SALU_CYCLE_1) | instskip(SKIP_1) | instid1(SALU_CYCLE_1)
	s_and_not1_b32 s7, s7, exec_lo
	s_and_b32 s9, s10, exec_lo
	s_or_b32 s7, s7, s9
.LBB115_45:                             ;   in Loop: Header=BB115_36 Depth=2
	s_or_b32 exec_lo, exec_lo, s8
	s_delay_alu instid0(SALU_CYCLE_1)
	s_and_b32 s7, s7, exec_lo
.LBB115_46:                             ;   in Loop: Header=BB115_36 Depth=2
	s_and_not1_saveexec_b32 s6, s6
	s_cbranch_execz .LBB115_35
; %bb.47:                               ;   in Loop: Header=BB115_36 Depth=2
	v_lshlrev_b32_e32 v9, 3, v11
	s_mov_b32 s8, 0
	s_delay_alu instid0(VALU_DEP_1)
	v_add3_u32 v12, 0, v9, 0x20000
	ds_load_b64 v[9:10], v12
.LBB115_48:                             ;   Parent Loop BB115_34 Depth=1
                                        ;     Parent Loop BB115_36 Depth=2
                                        ; =>    This Inner Loop Header: Depth=3
	s_waitcnt lgkmcnt(0)
	v_add_f64 v[13:14], v[9:10], v[5:6]
	ds_cmpstore_rtn_b64 v[13:14], v12, v[13:14], v[9:10]
	s_waitcnt lgkmcnt(0)
	v_cmp_eq_u64_e32 vcc_lo, v[13:14], v[9:10]
	v_dual_mov_b32 v9, v13 :: v_dual_mov_b32 v10, v14
	s_or_b32 s8, vcc_lo, s8
	s_delay_alu instid0(SALU_CYCLE_1)
	s_and_not1_b32 exec_lo, exec_lo, s8
	s_cbranch_execnz .LBB115_48
; %bb.49:                               ;   in Loop: Header=BB115_36 Depth=2
	s_or_b32 exec_lo, exec_lo, s8
	s_delay_alu instid0(SALU_CYCLE_1)
	s_and_not1_b32 s7, s7, exec_lo
	s_branch .LBB115_35
.LBB115_50:
	s_or_b32 exec_lo, exec_lo, s3
.LBB115_51:
	v_mbcnt_lo_u32_b32 v1, -1, 0
	v_dual_mov_b32 v5, 0 :: v_dual_lshlrev_b32 v2, 3, v21
	s_add_i32 s39, 0, 0x40078
	v_cmp_eq_u32_e32 vcc_lo, 0x3ff, v0
	s_delay_alu instid0(VALU_DEP_3) | instskip(NEXT) | instid1(VALU_DEP_3)
	v_xor_b32_e32 v1, 63, v1
	v_add3_u32 v12, 0, 0x40000, v2
	v_cmp_lt_u32_e64 s0, 63, v0
	v_cmp_lt_u32_e64 s1, 0x7f, v0
	;; [unrolled: 1-line block ×3, first 2 shown]
	v_lshrrev_b64 v[1:2], v1, -1
	v_dual_mov_b32 v2, 0 :: v_dual_mov_b32 v13, s39
	v_cmp_lt_u32_e64 s3, 0xff, v0
	v_cmp_lt_u32_e64 s4, 0x13f, v0
	;; [unrolled: 1-line block ×12, first 2 shown]
	v_mov_b32_e32 v3, 0
	s_mov_b32 s17, 0
	s_add_i32 s20, 0, 0x40000
	s_add_i32 s21, 0, 0x40008
	;; [unrolled: 1-line block ×15, first 2 shown]
	s_waitcnt lgkmcnt(0)
	s_barrier
	buffer_gl0_inv
	s_branch .LBB115_53
.LBB115_52:                             ;   in Loop: Header=BB115_53 Depth=1
	s_or_b32 exec_lo, exec_lo, s15
	s_waitcnt lgkmcnt(0)
	s_barrier
	buffer_gl0_inv
	ds_load_b64 v[6:7], v13
	v_add_nc_u32_e32 v20, 0x400, v20
	v_add_nc_u32_e32 v19, 0x2000, v19
	s_delay_alu instid0(VALU_DEP_2) | instskip(NEXT) | instid1(VALU_DEP_1)
	v_cmp_lt_u32_e64 s15, 0x3bff, v20
	s_or_b32 s17, s15, s17
	s_waitcnt lgkmcnt(0)
	v_add_co_u32 v2, s16, v6, v2
	s_delay_alu instid0(VALU_DEP_1)
	v_add_co_ci_u32_e64 v3, s16, v7, v3, s16
	s_and_not1_b32 exec_lo, exec_lo, s17
	s_cbranch_execz .LBB115_87
.LBB115_53:                             ; =>This Inner Loop Header: Depth=1
	ds_load_b64 v[6:7], v19
	v_add_nc_u32_e32 v4, 0x20000, v19
	ds_load_b64 v[8:9], v4
	s_waitcnt lgkmcnt(0)
	s_barrier
	buffer_gl0_inv
	v_cmp_gt_i64_e64 s15, s[36:37], v[6:7]
	s_delay_alu instid0(VALU_DEP_1) | instskip(SKIP_1) | instid1(SALU_CYCLE_1)
	v_and_b32_e32 v10, s15, v1
	s_bcnt1_i32_b32 s16, s15
	v_mov_b32_e32 v4, s16
	s_delay_alu instid0(VALU_DEP_2)
	v_bcnt_u32_b32 v10, v10, 0
	ds_store_b64 v12, v[4:5]
	s_waitcnt lgkmcnt(0)
	s_barrier
	buffer_gl0_inv
	s_and_saveexec_b32 s16, s0
	s_cbranch_execnz .LBB115_70
; %bb.54:                               ;   in Loop: Header=BB115_53 Depth=1
	s_or_b32 exec_lo, exec_lo, s16
	s_and_saveexec_b32 s16, s1
	s_cbranch_execnz .LBB115_71
.LBB115_55:                             ;   in Loop: Header=BB115_53 Depth=1
	s_or_b32 exec_lo, exec_lo, s16
	s_and_saveexec_b32 s16, s2
	s_cbranch_execnz .LBB115_72
.LBB115_56:                             ;   in Loop: Header=BB115_53 Depth=1
	s_or_b32 exec_lo, exec_lo, s16
	s_and_saveexec_b32 s16, s3
	s_cbranch_execnz .LBB115_73
.LBB115_57:                             ;   in Loop: Header=BB115_53 Depth=1
	s_or_b32 exec_lo, exec_lo, s16
	s_and_saveexec_b32 s16, s4
	s_cbranch_execnz .LBB115_74
.LBB115_58:                             ;   in Loop: Header=BB115_53 Depth=1
	s_or_b32 exec_lo, exec_lo, s16
	s_and_saveexec_b32 s16, s5
	s_cbranch_execnz .LBB115_75
.LBB115_59:                             ;   in Loop: Header=BB115_53 Depth=1
	s_or_b32 exec_lo, exec_lo, s16
	s_and_saveexec_b32 s16, s6
	s_cbranch_execnz .LBB115_76
.LBB115_60:                             ;   in Loop: Header=BB115_53 Depth=1
	s_or_b32 exec_lo, exec_lo, s16
	s_and_saveexec_b32 s16, s7
	s_cbranch_execnz .LBB115_77
.LBB115_61:                             ;   in Loop: Header=BB115_53 Depth=1
	s_or_b32 exec_lo, exec_lo, s16
	s_and_saveexec_b32 s16, s8
	s_cbranch_execnz .LBB115_78
.LBB115_62:                             ;   in Loop: Header=BB115_53 Depth=1
	s_or_b32 exec_lo, exec_lo, s16
	s_and_saveexec_b32 s16, s9
	s_cbranch_execnz .LBB115_79
.LBB115_63:                             ;   in Loop: Header=BB115_53 Depth=1
	s_or_b32 exec_lo, exec_lo, s16
	s_and_saveexec_b32 s16, s10
	s_cbranch_execnz .LBB115_80
.LBB115_64:                             ;   in Loop: Header=BB115_53 Depth=1
	s_or_b32 exec_lo, exec_lo, s16
	s_and_saveexec_b32 s16, s11
	s_cbranch_execnz .LBB115_81
.LBB115_65:                             ;   in Loop: Header=BB115_53 Depth=1
	s_or_b32 exec_lo, exec_lo, s16
	s_and_saveexec_b32 s16, s12
	s_cbranch_execnz .LBB115_82
.LBB115_66:                             ;   in Loop: Header=BB115_53 Depth=1
	s_or_b32 exec_lo, exec_lo, s16
	s_and_saveexec_b32 s16, s13
	s_cbranch_execnz .LBB115_83
.LBB115_67:                             ;   in Loop: Header=BB115_53 Depth=1
	s_or_b32 exec_lo, exec_lo, s16
	s_and_saveexec_b32 s16, s14
	s_cbranch_execnz .LBB115_84
.LBB115_68:                             ;   in Loop: Header=BB115_53 Depth=1
	s_or_b32 exec_lo, exec_lo, s16
	v_ashrrev_i32_e32 v11, 31, v10
	s_and_saveexec_b32 s16, s15
	s_cbranch_execnz .LBB115_85
.LBB115_69:                             ;   in Loop: Header=BB115_53 Depth=1
	s_or_b32 exec_lo, exec_lo, s16
	s_and_saveexec_b32 s15, vcc_lo
	s_cbranch_execz .LBB115_52
	s_branch .LBB115_86
.LBB115_70:                             ;   in Loop: Header=BB115_53 Depth=1
	v_mov_b32_e32 v4, s20
	ds_load_b32 v4, v4
	s_waitcnt lgkmcnt(0)
	v_add_nc_u32_e32 v10, v4, v10
	s_or_b32 exec_lo, exec_lo, s16
	s_and_saveexec_b32 s16, s1
	s_cbranch_execz .LBB115_55
.LBB115_71:                             ;   in Loop: Header=BB115_53 Depth=1
	v_mov_b32_e32 v4, s21
	ds_load_b32 v4, v4
	s_waitcnt lgkmcnt(0)
	v_add_nc_u32_e32 v10, v10, v4
	s_or_b32 exec_lo, exec_lo, s16
	s_and_saveexec_b32 s16, s2
	s_cbranch_execz .LBB115_56
.LBB115_72:                             ;   in Loop: Header=BB115_53 Depth=1
	v_mov_b32_e32 v4, s23
	ds_load_b32 v4, v4
	s_waitcnt lgkmcnt(0)
	v_add_nc_u32_e32 v10, v10, v4
	s_or_b32 exec_lo, exec_lo, s16
	s_and_saveexec_b32 s16, s3
	s_cbranch_execz .LBB115_57
.LBB115_73:                             ;   in Loop: Header=BB115_53 Depth=1
	v_mov_b32_e32 v4, s24
	ds_load_b32 v4, v4
	s_waitcnt lgkmcnt(0)
	v_add_nc_u32_e32 v10, v10, v4
	s_or_b32 exec_lo, exec_lo, s16
	s_and_saveexec_b32 s16, s4
	s_cbranch_execz .LBB115_58
.LBB115_74:                             ;   in Loop: Header=BB115_53 Depth=1
	v_mov_b32_e32 v4, s25
	ds_load_b32 v4, v4
	s_waitcnt lgkmcnt(0)
	v_add_nc_u32_e32 v10, v10, v4
	s_or_b32 exec_lo, exec_lo, s16
	s_and_saveexec_b32 s16, s5
	s_cbranch_execz .LBB115_59
.LBB115_75:                             ;   in Loop: Header=BB115_53 Depth=1
	v_mov_b32_e32 v4, s26
	ds_load_b32 v4, v4
	s_waitcnt lgkmcnt(0)
	v_add_nc_u32_e32 v10, v10, v4
	s_or_b32 exec_lo, exec_lo, s16
	s_and_saveexec_b32 s16, s6
	s_cbranch_execz .LBB115_60
.LBB115_76:                             ;   in Loop: Header=BB115_53 Depth=1
	v_mov_b32_e32 v4, s27
	ds_load_b32 v4, v4
	s_waitcnt lgkmcnt(0)
	v_add_nc_u32_e32 v10, v10, v4
	s_or_b32 exec_lo, exec_lo, s16
	s_and_saveexec_b32 s16, s7
	s_cbranch_execz .LBB115_61
.LBB115_77:                             ;   in Loop: Header=BB115_53 Depth=1
	v_mov_b32_e32 v4, s30
	ds_load_b32 v4, v4
	s_waitcnt lgkmcnt(0)
	v_add_nc_u32_e32 v10, v10, v4
	s_or_b32 exec_lo, exec_lo, s16
	s_and_saveexec_b32 s16, s8
	s_cbranch_execz .LBB115_62
.LBB115_78:                             ;   in Loop: Header=BB115_53 Depth=1
	v_mov_b32_e32 v4, s31
	ds_load_b32 v4, v4
	s_waitcnt lgkmcnt(0)
	v_add_nc_u32_e32 v10, v10, v4
	s_or_b32 exec_lo, exec_lo, s16
	s_and_saveexec_b32 s16, s9
	s_cbranch_execz .LBB115_63
.LBB115_79:                             ;   in Loop: Header=BB115_53 Depth=1
	v_mov_b32_e32 v4, s33
	ds_load_b32 v4, v4
	s_waitcnt lgkmcnt(0)
	v_add_nc_u32_e32 v10, v10, v4
	s_or_b32 exec_lo, exec_lo, s16
	s_and_saveexec_b32 s16, s10
	s_cbranch_execz .LBB115_64
.LBB115_80:                             ;   in Loop: Header=BB115_53 Depth=1
	v_mov_b32_e32 v4, s38
	ds_load_b32 v4, v4
	s_waitcnt lgkmcnt(0)
	v_add_nc_u32_e32 v10, v10, v4
	s_or_b32 exec_lo, exec_lo, s16
	s_and_saveexec_b32 s16, s11
	s_cbranch_execz .LBB115_65
.LBB115_81:                             ;   in Loop: Header=BB115_53 Depth=1
	v_mov_b32_e32 v4, s40
	ds_load_b32 v4, v4
	s_waitcnt lgkmcnt(0)
	v_add_nc_u32_e32 v10, v10, v4
	s_or_b32 exec_lo, exec_lo, s16
	s_and_saveexec_b32 s16, s12
	s_cbranch_execz .LBB115_66
.LBB115_82:                             ;   in Loop: Header=BB115_53 Depth=1
	v_mov_b32_e32 v4, s41
	ds_load_b32 v4, v4
	s_waitcnt lgkmcnt(0)
	v_add_nc_u32_e32 v10, v10, v4
	s_or_b32 exec_lo, exec_lo, s16
	s_and_saveexec_b32 s16, s13
	s_cbranch_execz .LBB115_67
.LBB115_83:                             ;   in Loop: Header=BB115_53 Depth=1
	v_mov_b32_e32 v4, s42
	ds_load_b32 v4, v4
	s_waitcnt lgkmcnt(0)
	v_add_nc_u32_e32 v10, v10, v4
	s_or_b32 exec_lo, exec_lo, s16
	s_and_saveexec_b32 s16, s14
	s_cbranch_execz .LBB115_68
.LBB115_84:                             ;   in Loop: Header=BB115_53 Depth=1
	v_mov_b32_e32 v4, s43
	ds_load_b32 v4, v4
	s_waitcnt lgkmcnt(0)
	v_add_nc_u32_e32 v10, v10, v4
	s_or_b32 exec_lo, exec_lo, s16
	s_delay_alu instid0(VALU_DEP_1)
	v_ashrrev_i32_e32 v11, 31, v10
	s_and_saveexec_b32 s16, s15
	s_cbranch_execz .LBB115_69
.LBB115_85:                             ;   in Loop: Header=BB115_53 Depth=1
	v_add3_u32 v4, v2, -1, v10
	s_delay_alu instid0(VALU_DEP_1) | instskip(NEXT) | instid1(VALU_DEP_1)
	v_lshl_add_u32 v4, v4, 3, 0
	v_add_nc_u32_e32 v14, 0x20000, v4
	ds_store_b64 v4, v[6:7]
	ds_store_b64 v14, v[8:9]
	s_or_b32 exec_lo, exec_lo, s16
	s_and_saveexec_b32 s15, vcc_lo
	s_cbranch_execz .LBB115_52
.LBB115_86:                             ;   in Loop: Header=BB115_53 Depth=1
	v_mov_b32_e32 v4, s39
	ds_store_b64 v4, v[10:11]
	s_branch .LBB115_52
.LBB115_87:
	s_or_b32 exec_lo, exec_lo, s17
	s_lshl_b64 s[0:1], s[28:29], 3
	v_mov_b32_e32 v1, 0
	s_add_u32 s0, s18, s0
	s_addc_u32 s1, s19, s1
	s_mov_b32 s6, exec_lo
	s_load_b128 s[0:3], s[0:1], 0x0
	s_waitcnt lgkmcnt(0)
	s_sub_u32 s4, s2, s0
	s_subb_u32 s5, s3, s1
	s_delay_alu instid0(SALU_CYCLE_1)
	v_cmpx_gt_i64_e64 s[4:5], v[0:1]
	s_cbranch_execz .LBB115_97
; %bb.88:
	s_sub_u32 s8, s0, s22
	s_subb_u32 s9, s1, 0
	s_and_b32 s6, s4, 7
	s_sub_u32 s0, s0, s2
	s_subb_u32 s1, s1, s3
	s_mov_b32 s7, 0
	v_cmp_lt_u64_e64 s12, s[0:1], -7
	s_and_b32 s2, s4, -8
	s_cmp_lg_u64 s[6:7], 0
	s_mov_b32 s3, s5
	s_cselect_b32 s13, -1, 0
	s_mov_b32 s14, s7
	s_branch .LBB115_90
.LBB115_89:                             ;   in Loop: Header=BB115_90 Depth=1
	v_add_co_u32 v0, vcc_lo, 0x400, v0
	v_add_co_ci_u32_e32 v1, vcc_lo, 0, v1, vcc_lo
	s_waitcnt lgkmcnt(1)
	v_lshlrev_b64 v[4:5], 3, v[6:7]
	s_delay_alu instid0(VALU_DEP_2) | instskip(NEXT) | instid1(VALU_DEP_2)
	v_cmp_le_i64_e32 vcc_lo, s[4:5], v[0:1]
	v_add_co_u32 v4, s0, s34, v4
	s_delay_alu instid0(VALU_DEP_1)
	v_add_co_ci_u32_e64 v5, s0, s35, v5, s0
	s_or_b32 s14, vcc_lo, s14
	s_waitcnt lgkmcnt(0)
	global_store_b64 v[4:5], v[2:3], off
	s_and_not1_b32 exec_lo, exec_lo, s14
	s_cbranch_execz .LBB115_97
.LBB115_90:                             ; =>This Loop Header: Depth=1
                                        ;     Child Loop BB115_92 Depth 2
                                        ;     Child Loop BB115_96 Depth 2
	v_lshl_add_u32 v2, v0, 3, 0
	s_and_not1_b32 vcc_lo, exec_lo, s12
	s_mov_b64 s[0:1], 0
	v_dual_mov_b32 v6, s8 :: v_dual_mov_b32 v7, s9
	s_delay_alu instid0(VALU_DEP_2)
	v_add_nc_u32_e32 v3, 0x20000, v2
	ds_load_b64 v[4:5], v2
	ds_load_b64 v[2:3], v3
	s_cbranch_vccnz .LBB115_94
; %bb.91:                               ;   in Loop: Header=BB115_90 Depth=1
	v_dual_mov_b32 v6, s8 :: v_dual_mov_b32 v7, s9
	s_mov_b64 s[10:11], 0
	s_mov_b32 s1, 0
.LBB115_92:                             ;   Parent Loop BB115_90 Depth=1
                                        ; =>  This Inner Loop Header: Depth=2
	s_delay_alu instid0(SALU_CYCLE_1)
	v_mov_b32_e32 v20, s1
	s_add_u32 s10, s10, 8
	s_addc_u32 s11, s11, 0
	s_add_i32 s1, s1, 64
	s_cmp_eq_u64 s[2:3], s[10:11]
	ds_load_2addr_b64 v[8:11], v20 offset1:1
	ds_load_2addr_b64 v[12:15], v20 offset0:2 offset1:3
	ds_load_2addr_b64 v[16:19], v20 offset0:4 offset1:5
	;; [unrolled: 1-line block ×3, first 2 shown]
	s_waitcnt lgkmcnt(3)
	v_cmp_gt_i64_e32 vcc_lo, v[4:5], v[8:9]
	v_cndmask_b32_e64 v8, 0, 1, vcc_lo
	v_cmp_gt_i64_e32 vcc_lo, v[4:5], v[10:11]
	v_cndmask_b32_e64 v9, 0, 1, vcc_lo
	s_waitcnt lgkmcnt(2)
	v_cmp_gt_i64_e32 vcc_lo, v[4:5], v[12:13]
	v_cndmask_b32_e64 v10, 0, 1, vcc_lo
	v_cmp_gt_i64_e32 vcc_lo, v[4:5], v[14:15]
	v_cndmask_b32_e64 v11, 0, 1, vcc_lo
	s_waitcnt lgkmcnt(1)
	v_cmp_gt_i64_e32 vcc_lo, v[4:5], v[16:17]
	v_cndmask_b32_e64 v12, 0, 1, vcc_lo
	v_add_co_u32 v6, vcc_lo, v6, v8
	v_add_co_ci_u32_e32 v7, vcc_lo, 0, v7, vcc_lo
	v_cmp_gt_i64_e32 vcc_lo, v[4:5], v[18:19]
	s_delay_alu instid0(VALU_DEP_3) | instskip(NEXT) | instid1(VALU_DEP_1)
	v_add_co_u32 v6, s0, v6, v9
	v_add_co_ci_u32_e64 v7, s0, 0, v7, s0
	v_cndmask_b32_e64 v8, 0, 1, vcc_lo
	s_delay_alu instid0(VALU_DEP_3) | instskip(NEXT) | instid1(VALU_DEP_3)
	v_add_co_u32 v6, vcc_lo, v6, v10
	v_add_co_ci_u32_e32 v7, vcc_lo, 0, v7, vcc_lo
	s_waitcnt lgkmcnt(0)
	v_cmp_gt_i64_e32 vcc_lo, v[4:5], v[20:21]
	s_delay_alu instid0(VALU_DEP_3) | instskip(NEXT) | instid1(VALU_DEP_1)
	v_add_co_u32 v6, s0, v6, v11
	v_add_co_ci_u32_e64 v7, s0, 0, v7, s0
	v_cndmask_b32_e64 v9, 0, 1, vcc_lo
	s_delay_alu instid0(VALU_DEP_3) | instskip(NEXT) | instid1(VALU_DEP_3)
	v_add_co_u32 v6, vcc_lo, v6, v12
	v_add_co_ci_u32_e32 v7, vcc_lo, 0, v7, vcc_lo
	v_cmp_gt_i64_e32 vcc_lo, v[4:5], v[22:23]
	s_delay_alu instid0(VALU_DEP_3) | instskip(NEXT) | instid1(VALU_DEP_1)
	v_add_co_u32 v6, s0, v6, v8
	v_add_co_ci_u32_e64 v7, s0, 0, v7, s0
	v_cndmask_b32_e64 v8, 0, 1, vcc_lo
	s_delay_alu instid0(VALU_DEP_3) | instskip(NEXT) | instid1(VALU_DEP_3)
	v_add_co_u32 v6, vcc_lo, v6, v9
	v_add_co_ci_u32_e32 v7, vcc_lo, 0, v7, vcc_lo
	s_delay_alu instid0(VALU_DEP_2) | instskip(NEXT) | instid1(VALU_DEP_2)
	v_add_co_u32 v6, vcc_lo, v6, v8
	v_add_co_ci_u32_e32 v7, vcc_lo, 0, v7, vcc_lo
	s_cbranch_scc0 .LBB115_92
; %bb.93:                               ;   in Loop: Header=BB115_90 Depth=1
	s_mov_b64 s[0:1], s[2:3]
.LBB115_94:                             ;   in Loop: Header=BB115_90 Depth=1
	s_and_not1_b32 vcc_lo, exec_lo, s13
	s_cbranch_vccnz .LBB115_89
; %bb.95:                               ;   in Loop: Header=BB115_90 Depth=1
	s_lshl_b32 s0, s0, 3
	s_delay_alu instid0(SALU_CYCLE_1)
	s_add_i32 s10, s0, 0
	s_mov_b64 s[0:1], s[6:7]
.LBB115_96:                             ;   Parent Loop BB115_90 Depth=1
                                        ; =>  This Inner Loop Header: Depth=2
	v_mov_b32_e32 v8, s10
	s_add_i32 s10, s10, 8
	s_add_u32 s0, s0, -1
	s_addc_u32 s1, s1, -1
	s_delay_alu instid0(SALU_CYCLE_1) | instskip(SKIP_4) | instid1(VALU_DEP_1)
	s_cmp_lg_u64 s[0:1], 0
	ds_load_b64 v[8:9], v8
	s_waitcnt lgkmcnt(0)
	v_cmp_gt_i64_e32 vcc_lo, v[4:5], v[8:9]
	v_cndmask_b32_e64 v8, 0, 1, vcc_lo
	v_add_co_u32 v6, vcc_lo, v6, v8
	v_add_co_ci_u32_e32 v7, vcc_lo, 0, v7, vcc_lo
	s_cbranch_scc1 .LBB115_96
	s_branch .LBB115_89
.LBB115_97:
	s_nop 0
	s_sendmsg sendmsg(MSG_DEALLOC_VGPRS)
	s_endpgm
	.section	.rodata,"a",@progbits
	.p2align	6, 0x0
	.amdhsa_kernel _ZN9rocsparseL41csrgemm_numeric_fill_block_per_row_kernelILj1024ELj64ELj16384ELj137ELj64ElldEEvT5_PKS1_S3_NS_24const_host_device_scalarIT6_EEPKT4_S3_PKS5_S9_S3_SB_S6_S9_S3_SB_S9_S3_PS5_21rocsparse_index_base_SD_SD_SD_bbb
		.amdhsa_group_segment_fixed_size 0
		.amdhsa_private_segment_fixed_size 0
		.amdhsa_kernarg_size 156
		.amdhsa_user_sgpr_count 15
		.amdhsa_user_sgpr_dispatch_ptr 0
		.amdhsa_user_sgpr_queue_ptr 0
		.amdhsa_user_sgpr_kernarg_segment_ptr 1
		.amdhsa_user_sgpr_dispatch_id 0
		.amdhsa_user_sgpr_private_segment_size 0
		.amdhsa_wavefront_size32 1
		.amdhsa_uses_dynamic_stack 0
		.amdhsa_enable_private_segment 0
		.amdhsa_system_sgpr_workgroup_id_x 1
		.amdhsa_system_sgpr_workgroup_id_y 0
		.amdhsa_system_sgpr_workgroup_id_z 0
		.amdhsa_system_sgpr_workgroup_info 0
		.amdhsa_system_vgpr_workitem_id 0
		.amdhsa_next_free_vgpr 28
		.amdhsa_next_free_sgpr 44
		.amdhsa_reserve_vcc 1
		.amdhsa_float_round_mode_32 0
		.amdhsa_float_round_mode_16_64 0
		.amdhsa_float_denorm_mode_32 3
		.amdhsa_float_denorm_mode_16_64 3
		.amdhsa_dx10_clamp 1
		.amdhsa_ieee_mode 1
		.amdhsa_fp16_overflow 0
		.amdhsa_workgroup_processor_mode 1
		.amdhsa_memory_ordered 1
		.amdhsa_forward_progress 0
		.amdhsa_shared_vgpr_count 0
		.amdhsa_exception_fp_ieee_invalid_op 0
		.amdhsa_exception_fp_denorm_src 0
		.amdhsa_exception_fp_ieee_div_zero 0
		.amdhsa_exception_fp_ieee_overflow 0
		.amdhsa_exception_fp_ieee_underflow 0
		.amdhsa_exception_fp_ieee_inexact 0
		.amdhsa_exception_int_div_zero 0
	.end_amdhsa_kernel
	.section	.text._ZN9rocsparseL41csrgemm_numeric_fill_block_per_row_kernelILj1024ELj64ELj16384ELj137ELj64ElldEEvT5_PKS1_S3_NS_24const_host_device_scalarIT6_EEPKT4_S3_PKS5_S9_S3_SB_S6_S9_S3_SB_S9_S3_PS5_21rocsparse_index_base_SD_SD_SD_bbb,"axG",@progbits,_ZN9rocsparseL41csrgemm_numeric_fill_block_per_row_kernelILj1024ELj64ELj16384ELj137ELj64ElldEEvT5_PKS1_S3_NS_24const_host_device_scalarIT6_EEPKT4_S3_PKS5_S9_S3_SB_S6_S9_S3_SB_S9_S3_PS5_21rocsparse_index_base_SD_SD_SD_bbb,comdat
.Lfunc_end115:
	.size	_ZN9rocsparseL41csrgemm_numeric_fill_block_per_row_kernelILj1024ELj64ELj16384ELj137ELj64ElldEEvT5_PKS1_S3_NS_24const_host_device_scalarIT6_EEPKT4_S3_PKS5_S9_S3_SB_S6_S9_S3_SB_S9_S3_PS5_21rocsparse_index_base_SD_SD_SD_bbb, .Lfunc_end115-_ZN9rocsparseL41csrgemm_numeric_fill_block_per_row_kernelILj1024ELj64ELj16384ELj137ELj64ElldEEvT5_PKS1_S3_NS_24const_host_device_scalarIT6_EEPKT4_S3_PKS5_S9_S3_SB_S6_S9_S3_SB_S9_S3_PS5_21rocsparse_index_base_SD_SD_SD_bbb
                                        ; -- End function
	.section	.AMDGPU.csdata,"",@progbits
; Kernel info:
; codeLenInByte = 4032
; NumSgprs: 46
; NumVgprs: 28
; ScratchSize: 0
; MemoryBound: 0
; FloatMode: 240
; IeeeMode: 1
; LDSByteSize: 0 bytes/workgroup (compile time only)
; SGPRBlocks: 5
; VGPRBlocks: 3
; NumSGPRsForWavesPerEU: 46
; NumVGPRsForWavesPerEU: 28
; Occupancy: 16
; WaveLimiterHint : 1
; COMPUTE_PGM_RSRC2:SCRATCH_EN: 0
; COMPUTE_PGM_RSRC2:USER_SGPR: 15
; COMPUTE_PGM_RSRC2:TRAP_HANDLER: 0
; COMPUTE_PGM_RSRC2:TGID_X_EN: 1
; COMPUTE_PGM_RSRC2:TGID_Y_EN: 0
; COMPUTE_PGM_RSRC2:TGID_Z_EN: 0
; COMPUTE_PGM_RSRC2:TIDIG_COMP_CNT: 0
	.section	.text._ZN9rocsparseL41csrgemm_numeric_fill_block_per_row_kernelILj1024ELj64ELj32768ELj137ELj32ElldEEvT5_PKS1_S3_NS_24const_host_device_scalarIT6_EEPKT4_S3_PKS5_S9_S3_SB_S6_S9_S3_SB_S9_S3_PS5_21rocsparse_index_base_SD_SD_SD_bbb,"axG",@progbits,_ZN9rocsparseL41csrgemm_numeric_fill_block_per_row_kernelILj1024ELj64ELj32768ELj137ELj32ElldEEvT5_PKS1_S3_NS_24const_host_device_scalarIT6_EEPKT4_S3_PKS5_S9_S3_SB_S6_S9_S3_SB_S9_S3_PS5_21rocsparse_index_base_SD_SD_SD_bbb,comdat
	.globl	_ZN9rocsparseL41csrgemm_numeric_fill_block_per_row_kernelILj1024ELj64ELj32768ELj137ELj32ElldEEvT5_PKS1_S3_NS_24const_host_device_scalarIT6_EEPKT4_S3_PKS5_S9_S3_SB_S6_S9_S3_SB_S9_S3_PS5_21rocsparse_index_base_SD_SD_SD_bbb ; -- Begin function _ZN9rocsparseL41csrgemm_numeric_fill_block_per_row_kernelILj1024ELj64ELj32768ELj137ELj32ElldEEvT5_PKS1_S3_NS_24const_host_device_scalarIT6_EEPKT4_S3_PKS5_S9_S3_SB_S6_S9_S3_SB_S9_S3_PS5_21rocsparse_index_base_SD_SD_SD_bbb
	.p2align	8
	.type	_ZN9rocsparseL41csrgemm_numeric_fill_block_per_row_kernelILj1024ELj64ELj32768ELj137ELj32ElldEEvT5_PKS1_S3_NS_24const_host_device_scalarIT6_EEPKT4_S3_PKS5_S9_S3_SB_S6_S9_S3_SB_S9_S3_PS5_21rocsparse_index_base_SD_SD_SD_bbb,@function
_ZN9rocsparseL41csrgemm_numeric_fill_block_per_row_kernelILj1024ELj64ELj32768ELj137ELj32ElldEEvT5_PKS1_S3_NS_24const_host_device_scalarIT6_EEPKT4_S3_PKS5_S9_S3_SB_S6_S9_S3_SB_S9_S3_PS5_21rocsparse_index_base_SD_SD_SD_bbb: ; @_ZN9rocsparseL41csrgemm_numeric_fill_block_per_row_kernelILj1024ELj64ELj32768ELj137ELj32ElldEEvT5_PKS1_S3_NS_24const_host_device_scalarIT6_EEPKT4_S3_PKS5_S9_S3_SB_S6_S9_S3_SB_S9_S3_PS5_21rocsparse_index_base_SD_SD_SD_bbb
; %bb.0:
	s_clause 0x3
	s_load_b32 s3, s[0:1], 0x98
	s_load_b64 s[4:5], s[0:1], 0x18
	s_load_b128 s[44:47], s[0:1], 0x88
	s_load_b64 s[20:21], s[0:1], 0x50
	s_mov_b32 s2, s15
	s_waitcnt lgkmcnt(0)
	s_and_b32 s6, 1, s3
	s_bitcmp1_b32 s3, 16
	s_cselect_b32 s24, -1, 0
	s_cmp_eq_u32 s6, 1
	s_cselect_b32 s23, -1, 0
	s_delay_alu instid0(SALU_CYCLE_1)
	s_and_b32 s6, s23, exec_lo
	s_cselect_b32 s7, s5, 0
	s_cselect_b32 s6, s4, 0
	s_xor_b32 s8, s23, -1
	v_dual_mov_b32 v3, s6 :: v_dual_mov_b32 v4, s7
	s_or_b32 s8, s8, s24
	s_delay_alu instid0(SALU_CYCLE_1)
	s_and_b32 vcc_lo, exec_lo, s8
	s_cbranch_vccnz .LBB116_2
; %bb.1:
	v_dual_mov_b32 v1, s4 :: v_dual_mov_b32 v2, s5
	flat_load_b64 v[3:4], v[1:2]
.LBB116_2:
	s_clause 0x4
	s_load_b64 s[34:35], s[0:1], 0x80
	s_load_b256 s[36:43], s[0:1], 0x58
	s_load_b128 s[12:15], s[0:1], 0x40
	s_load_b128 s[16:19], s[0:1], 0x8
	s_load_b256 s[4:11], s[0:1], 0x20
	s_bitcmp1_b32 s3, 8
	s_cselect_b32 s22, -1, 0
	s_delay_alu instid0(SALU_CYCLE_1)
	s_and_b32 s3, s22, exec_lo
	s_cselect_b32 s27, s21, 0
	s_cselect_b32 s26, s20, 0
	s_xor_b32 s3, s22, -1
	v_dual_mov_b32 v1, s26 :: v_dual_mov_b32 v2, s27
	s_or_b32 s3, s3, s24
	s_delay_alu instid0(SALU_CYCLE_1)
	s_and_b32 vcc_lo, exec_lo, s3
	s_cbranch_vccnz .LBB116_4
; %bb.3:
	v_dual_mov_b32 v1, s20 :: v_dual_mov_b32 v2, s21
	flat_load_b64 v[1:2], v[1:2]
.LBB116_4:
	s_load_b64 s[48:49], s[0:1], 0x0
	v_mov_b32_e32 v5, 0
	v_lshl_add_u32 v19, v0, 3, 0
	v_or_b32_e32 v20, 0xfffffc00, v0
	s_mov_b32 s0, 0
	s_delay_alu instid0(VALU_DEP_1)
	v_dual_mov_b32 v9, v19 :: v_dual_mov_b32 v10, v20
	s_waitcnt lgkmcnt(0)
	v_dual_mov_b32 v7, s48 :: v_dual_mov_b32 v8, s49
	v_mov_b32_e32 v6, v5
.LBB116_5:                              ; =>This Inner Loop Header: Depth=1
	s_delay_alu instid0(VALU_DEP_3)
	v_add_nc_u32_e32 v10, 0x400, v10
	v_add_nc_u32_e32 v11, 0x40000, v9
	ds_store_b64 v9, v[7:8]
	v_add_nc_u32_e32 v9, 0x2000, v9
	v_cmp_lt_u32_e32 vcc_lo, 0x7bff, v10
	ds_store_b64 v11, v[5:6]
	s_or_b32 s0, vcc_lo, s0
	s_delay_alu instid0(SALU_CYCLE_1)
	s_and_not1_b32 exec_lo, exec_lo, s0
	s_cbranch_execnz .LBB116_5
; %bb.6:
	s_or_b32 exec_lo, exec_lo, s0
	s_waitcnt vmcnt(0) lgkmcnt(0)
	s_barrier
	buffer_gl0_inv
	s_load_b64 s[0:1], s[16:17], 0x0
	s_mov_b32 s3, 0
	s_waitcnt lgkmcnt(0)
	s_lshl_b64 s[0:1], s[0:1], 3
	s_delay_alu instid0(SALU_CYCLE_1) | instskip(SKIP_2) | instid1(SALU_CYCLE_1)
	s_add_u32 s16, s18, s0
	s_addc_u32 s17, s19, s1
	s_lshl_b64 s[0:1], s[2:3], 3
	s_add_u32 s0, s16, s0
	s_addc_u32 s1, s17, s1
	s_and_b32 vcc_lo, exec_lo, s23
	s_load_b64 s[50:51], s[0:1], 0x0
	s_cbranch_vccz .LBB116_30
; %bb.7:
	s_waitcnt lgkmcnt(0)
	s_lshl_b64 s[0:1], s[50:51], 3
	v_lshrrev_b32_e32 v5, 6, v0
	s_add_u32 s0, s4, s0
	s_addc_u32 s1, s5, s1
	s_load_b128 s[0:3], s[0:1], 0x0
	s_delay_alu instid0(VALU_DEP_1) | instskip(NEXT) | instid1(VALU_DEP_1)
	v_sub_co_u32 v5, s4, v5, s44
	v_sub_co_ci_u32_e64 v6, null, 0, 0, s4
	s_waitcnt lgkmcnt(0)
	s_delay_alu instid0(VALU_DEP_2) | instskip(NEXT) | instid1(VALU_DEP_2)
	v_add_co_u32 v5, vcc_lo, s0, v5
	v_add_co_ci_u32_e32 v6, vcc_lo, s1, v6, vcc_lo
	s_sub_u32 s0, s2, s44
	s_subb_u32 s1, s3, 0
	s_mov_b32 s2, exec_lo
	s_delay_alu instid0(VALU_DEP_1)
	v_cmpx_gt_i64_e64 s[0:1], v[5:6]
	s_cbranch_execz .LBB116_29
; %bb.8:
	v_and_b32_e32 v7, 63, v0
	s_mov_b32 s4, s45
	s_delay_alu instid0(VALU_DEP_1) | instskip(NEXT) | instid1(VALU_DEP_1)
	v_sub_co_u32 v21, s3, v7, s45
	v_sub_co_ci_u32_e64 v22, null, 0, 0, s3
	s_mov_b32 s3, 0
	s_branch .LBB116_10
.LBB116_9:                              ;   in Loop: Header=BB116_10 Depth=1
	s_or_b32 exec_lo, exec_lo, s5
	v_add_co_u32 v5, vcc_lo, v5, 16
	v_add_co_ci_u32_e32 v6, vcc_lo, 0, v6, vcc_lo
	s_delay_alu instid0(VALU_DEP_1) | instskip(SKIP_1) | instid1(SALU_CYCLE_1)
	v_cmp_le_i64_e32 vcc_lo, s[0:1], v[5:6]
	s_or_b32 s3, vcc_lo, s3
	s_and_not1_b32 exec_lo, exec_lo, s3
	s_cbranch_execz .LBB116_29
.LBB116_10:                             ; =>This Loop Header: Depth=1
                                        ;     Child Loop BB116_13 Depth 2
                                        ;       Child Loop BB116_15 Depth 3
                                        ;         Child Loop BB116_21 Depth 4
                                        ;         Child Loop BB116_27 Depth 4
	v_lshlrev_b64 v[11:12], 3, v[5:6]
	s_mov_b32 s5, exec_lo
	s_delay_alu instid0(VALU_DEP_1) | instskip(NEXT) | instid1(VALU_DEP_2)
	v_add_co_u32 v7, vcc_lo, s6, v11
	v_add_co_ci_u32_e32 v8, vcc_lo, s7, v12, vcc_lo
	global_load_b64 v[7:8], v[7:8], off
	s_waitcnt vmcnt(0)
	v_sub_co_u32 v7, vcc_lo, v7, s44
	v_subrev_co_ci_u32_e32 v8, vcc_lo, 0, v8, vcc_lo
	s_delay_alu instid0(VALU_DEP_1) | instskip(NEXT) | instid1(VALU_DEP_1)
	v_lshlrev_b64 v[7:8], 3, v[7:8]
	v_add_co_u32 v7, vcc_lo, s10, v7
	s_delay_alu instid0(VALU_DEP_2)
	v_add_co_ci_u32_e32 v8, vcc_lo, s11, v8, vcc_lo
	global_load_b128 v[13:16], v[7:8], off
	s_waitcnt vmcnt(0)
	v_sub_co_u32 v7, vcc_lo, v15, s4
	v_subrev_co_ci_u32_e32 v8, vcc_lo, 0, v16, vcc_lo
	v_add_co_u32 v9, vcc_lo, v13, v21
	v_add_co_ci_u32_e32 v10, vcc_lo, v14, v22, vcc_lo
	s_delay_alu instid0(VALU_DEP_1)
	v_cmpx_lt_i64_e64 v[9:10], v[7:8]
	s_cbranch_execz .LBB116_9
; %bb.11:                               ;   in Loop: Header=BB116_10 Depth=1
	v_add_co_u32 v11, vcc_lo, s8, v11
	v_add_co_ci_u32_e32 v12, vcc_lo, s9, v12, vcc_lo
	s_mov_b32 s16, 0
	global_load_b64 v[11:12], v[11:12], off
	s_waitcnt vmcnt(0)
	v_mul_f64 v[11:12], v[3:4], v[11:12]
	s_branch .LBB116_13
.LBB116_12:                             ;   in Loop: Header=BB116_13 Depth=2
	s_or_b32 exec_lo, exec_lo, s17
	v_add_co_u32 v9, vcc_lo, v9, 64
	v_add_co_ci_u32_e32 v10, vcc_lo, 0, v10, vcc_lo
	s_delay_alu instid0(VALU_DEP_1) | instskip(SKIP_1) | instid1(SALU_CYCLE_1)
	v_cmp_ge_i64_e32 vcc_lo, v[9:10], v[7:8]
	s_or_b32 s16, vcc_lo, s16
	s_and_not1_b32 exec_lo, exec_lo, s16
	s_cbranch_execz .LBB116_9
.LBB116_13:                             ;   Parent Loop BB116_10 Depth=1
                                        ; =>  This Loop Header: Depth=2
                                        ;       Child Loop BB116_15 Depth 3
                                        ;         Child Loop BB116_21 Depth 4
                                        ;         Child Loop BB116_27 Depth 4
	v_lshlrev_b64 v[13:14], 3, v[9:10]
	s_mov_b32 s17, 0
	s_delay_alu instid0(VALU_DEP_1) | instskip(NEXT) | instid1(VALU_DEP_2)
	v_add_co_u32 v15, vcc_lo, s14, v13
	v_add_co_ci_u32_e32 v16, vcc_lo, s15, v14, vcc_lo
	v_add_co_u32 v13, vcc_lo, s12, v13
	v_add_co_ci_u32_e32 v14, vcc_lo, s13, v14, vcc_lo
	global_load_b64 v[15:16], v[15:16], off
	global_load_b64 v[17:18], v[13:14], off
	s_waitcnt vmcnt(1)
	v_mul_f64 v[13:14], v[11:12], v[15:16]
	s_waitcnt vmcnt(0)
	v_sub_co_u32 v15, vcc_lo, v17, s4
	v_subrev_co_ci_u32_e32 v16, vcc_lo, 0, v18, vcc_lo
	s_delay_alu instid0(VALU_DEP_2) | instskip(NEXT) | instid1(VALU_DEP_1)
	v_mul_lo_u32 v17, 0x89, v15
	v_and_b32_e32 v23, 0x7fff, v17
	s_branch .LBB116_15
.LBB116_14:                             ;   in Loop: Header=BB116_15 Depth=3
	s_or_b32 exec_lo, exec_lo, s18
	s_xor_b32 s18, s19, -1
	s_delay_alu instid0(SALU_CYCLE_1) | instskip(NEXT) | instid1(SALU_CYCLE_1)
	s_and_b32 s18, exec_lo, s18
	s_or_b32 s17, s18, s17
	s_delay_alu instid0(SALU_CYCLE_1)
	s_and_not1_b32 exec_lo, exec_lo, s17
	s_cbranch_execz .LBB116_12
.LBB116_15:                             ;   Parent Loop BB116_10 Depth=1
                                        ;     Parent Loop BB116_13 Depth=2
                                        ; =>    This Loop Header: Depth=3
                                        ;         Child Loop BB116_21 Depth 4
                                        ;         Child Loop BB116_27 Depth 4
	s_delay_alu instid0(VALU_DEP_1)
	v_lshl_add_u32 v24, v23, 3, 0
	s_mov_b32 s18, exec_lo
                                        ; implicit-def: $sgpr19
	ds_load_b64 v[17:18], v24
	s_waitcnt lgkmcnt(0)
	v_cmpx_ne_u64_e64 v[17:18], v[15:16]
	s_xor_b32 s18, exec_lo, s18
	s_cbranch_execz .LBB116_25
; %bb.16:                               ;   in Loop: Header=BB116_15 Depth=3
	s_mov_b32 s20, exec_lo
                                        ; implicit-def: $sgpr19
	v_cmpx_ne_u64_e64 s[48:49], v[17:18]
	s_xor_b32 s20, exec_lo, s20
; %bb.17:                               ;   in Loop: Header=BB116_15 Depth=3
	v_add_nc_u32_e32 v17, 1, v23
	s_mov_b32 s19, -1
                                        ; implicit-def: $vgpr24
	s_delay_alu instid0(VALU_DEP_1)
	v_and_b32_e32 v23, 0x7fff, v17
; %bb.18:                               ;   in Loop: Header=BB116_15 Depth=3
	s_and_not1_saveexec_b32 s20, s20
	s_cbranch_execz .LBB116_24
; %bb.19:                               ;   in Loop: Header=BB116_15 Depth=3
	v_dual_mov_b32 v17, s48 :: v_dual_mov_b32 v18, s49
	s_mov_b32 s23, -1
	s_mov_b32 s21, exec_lo
	ds_cmpstore_rtn_b64 v[17:18], v24, v[15:16], v[17:18]
	s_waitcnt lgkmcnt(0)
	v_cmpx_eq_u64_e64 s[48:49], v[17:18]
	s_cbranch_execz .LBB116_23
; %bb.20:                               ;   in Loop: Header=BB116_15 Depth=3
	v_lshlrev_b32_e32 v17, 3, v23
	s_mov_b32 s23, 0
	s_delay_alu instid0(VALU_DEP_1)
	v_add3_u32 v24, 0, v17, 0x40000
	ds_load_b64 v[17:18], v24
.LBB116_21:                             ;   Parent Loop BB116_10 Depth=1
                                        ;     Parent Loop BB116_13 Depth=2
                                        ;       Parent Loop BB116_15 Depth=3
                                        ; =>      This Inner Loop Header: Depth=4
	s_waitcnt lgkmcnt(0)
	v_add_f64 v[25:26], v[17:18], v[13:14]
	ds_cmpstore_rtn_b64 v[25:26], v24, v[25:26], v[17:18]
	s_waitcnt lgkmcnt(0)
	v_cmp_eq_u64_e32 vcc_lo, v[25:26], v[17:18]
	v_dual_mov_b32 v17, v25 :: v_dual_mov_b32 v18, v26
	s_or_b32 s23, vcc_lo, s23
	s_delay_alu instid0(SALU_CYCLE_1)
	s_and_not1_b32 exec_lo, exec_lo, s23
	s_cbranch_execnz .LBB116_21
; %bb.22:                               ;   in Loop: Header=BB116_15 Depth=3
	s_or_b32 exec_lo, exec_lo, s23
	s_delay_alu instid0(SALU_CYCLE_1)
	s_xor_b32 s23, exec_lo, -1
.LBB116_23:                             ;   in Loop: Header=BB116_15 Depth=3
	s_or_b32 exec_lo, exec_lo, s21
	s_delay_alu instid0(SALU_CYCLE_1) | instskip(SKIP_1) | instid1(SALU_CYCLE_1)
	s_and_not1_b32 s19, s19, exec_lo
	s_and_b32 s21, s23, exec_lo
	s_or_b32 s19, s19, s21
.LBB116_24:                             ;   in Loop: Header=BB116_15 Depth=3
	s_or_b32 exec_lo, exec_lo, s20
	s_delay_alu instid0(SALU_CYCLE_1)
	s_and_b32 s19, s19, exec_lo
.LBB116_25:                             ;   in Loop: Header=BB116_15 Depth=3
	s_and_not1_saveexec_b32 s18, s18
	s_cbranch_execz .LBB116_14
; %bb.26:                               ;   in Loop: Header=BB116_15 Depth=3
	v_lshlrev_b32_e32 v17, 3, v23
	s_mov_b32 s20, 0
	s_delay_alu instid0(VALU_DEP_1)
	v_add3_u32 v24, 0, v17, 0x40000
	ds_load_b64 v[17:18], v24
.LBB116_27:                             ;   Parent Loop BB116_10 Depth=1
                                        ;     Parent Loop BB116_13 Depth=2
                                        ;       Parent Loop BB116_15 Depth=3
                                        ; =>      This Inner Loop Header: Depth=4
	s_waitcnt lgkmcnt(0)
	v_add_f64 v[25:26], v[17:18], v[13:14]
	ds_cmpstore_rtn_b64 v[25:26], v24, v[25:26], v[17:18]
	s_waitcnt lgkmcnt(0)
	v_cmp_eq_u64_e32 vcc_lo, v[25:26], v[17:18]
	v_dual_mov_b32 v17, v25 :: v_dual_mov_b32 v18, v26
	s_or_b32 s20, vcc_lo, s20
	s_delay_alu instid0(SALU_CYCLE_1)
	s_and_not1_b32 exec_lo, exec_lo, s20
	s_cbranch_execnz .LBB116_27
; %bb.28:                               ;   in Loop: Header=BB116_15 Depth=3
	s_or_b32 exec_lo, exec_lo, s20
	s_delay_alu instid0(SALU_CYCLE_1)
	s_and_not1_b32 s19, s19, exec_lo
	s_branch .LBB116_14
.LBB116_29:
	s_or_b32 exec_lo, exec_lo, s2
.LBB116_30:
	s_delay_alu instid0(SALU_CYCLE_1)
	s_and_not1_b32 vcc_lo, exec_lo, s22
	s_cbranch_vccnz .LBB116_51
; %bb.31:
	s_waitcnt lgkmcnt(0)
	s_lshl_b64 s[0:1], s[50:51], 3
	v_sub_co_u32 v3, s4, v0, s47
	s_add_u32 s0, s36, s0
	s_addc_u32 s1, s37, s1
	v_sub_co_ci_u32_e64 v4, null, 0, 0, s4
	s_load_b128 s[0:3], s[0:1], 0x0
	s_waitcnt lgkmcnt(0)
	v_add_co_u32 v3, vcc_lo, s0, v3
	s_delay_alu instid0(VALU_DEP_2)
	v_add_co_ci_u32_e32 v4, vcc_lo, s1, v4, vcc_lo
	s_sub_u32 s0, s2, s47
	s_subb_u32 s1, s3, 0
	s_mov_b32 s2, 0
	s_mov_b32 s3, exec_lo
	v_cmpx_gt_i64_e64 s[0:1], v[3:4]
	s_cbranch_execz .LBB116_50
; %bb.32:
	s_mov_b32 s4, s47
	s_branch .LBB116_34
.LBB116_33:                             ;   in Loop: Header=BB116_34 Depth=1
	s_or_b32 exec_lo, exec_lo, s5
	v_add_co_u32 v3, vcc_lo, 0x400, v3
	v_add_co_ci_u32_e32 v4, vcc_lo, 0, v4, vcc_lo
	s_delay_alu instid0(VALU_DEP_1) | instskip(SKIP_1) | instid1(SALU_CYCLE_1)
	v_cmp_le_i64_e32 vcc_lo, s[0:1], v[3:4]
	s_or_b32 s2, vcc_lo, s2
	s_and_not1_b32 exec_lo, exec_lo, s2
	s_cbranch_execz .LBB116_50
.LBB116_34:                             ; =>This Loop Header: Depth=1
                                        ;     Child Loop BB116_36 Depth 2
                                        ;       Child Loop BB116_42 Depth 3
                                        ;       Child Loop BB116_48 Depth 3
	v_lshlrev_b64 v[5:6], 3, v[3:4]
	s_mov_b32 s5, 0
	s_delay_alu instid0(VALU_DEP_1) | instskip(NEXT) | instid1(VALU_DEP_2)
	v_add_co_u32 v7, vcc_lo, s40, v5
	v_add_co_ci_u32_e32 v8, vcc_lo, s41, v6, vcc_lo
	v_add_co_u32 v5, vcc_lo, s38, v5
	v_add_co_ci_u32_e32 v6, vcc_lo, s39, v6, vcc_lo
	global_load_b64 v[7:8], v[7:8], off
	global_load_b64 v[9:10], v[5:6], off
	s_waitcnt vmcnt(1)
	v_mul_f64 v[5:6], v[1:2], v[7:8]
	s_waitcnt vmcnt(0)
	v_sub_co_u32 v7, vcc_lo, v9, s4
	v_subrev_co_ci_u32_e32 v8, vcc_lo, 0, v10, vcc_lo
	s_delay_alu instid0(VALU_DEP_2) | instskip(NEXT) | instid1(VALU_DEP_1)
	v_mul_lo_u32 v9, 0x89, v7
	v_and_b32_e32 v11, 0x7fff, v9
	s_branch .LBB116_36
.LBB116_35:                             ;   in Loop: Header=BB116_36 Depth=2
	s_or_b32 exec_lo, exec_lo, s6
	s_xor_b32 s6, s7, -1
	s_delay_alu instid0(SALU_CYCLE_1) | instskip(NEXT) | instid1(SALU_CYCLE_1)
	s_and_b32 s6, exec_lo, s6
	s_or_b32 s5, s6, s5
	s_delay_alu instid0(SALU_CYCLE_1)
	s_and_not1_b32 exec_lo, exec_lo, s5
	s_cbranch_execz .LBB116_33
.LBB116_36:                             ;   Parent Loop BB116_34 Depth=1
                                        ; =>  This Loop Header: Depth=2
                                        ;       Child Loop BB116_42 Depth 3
                                        ;       Child Loop BB116_48 Depth 3
	s_delay_alu instid0(VALU_DEP_1)
	v_lshl_add_u32 v12, v11, 3, 0
	s_mov_b32 s6, exec_lo
                                        ; implicit-def: $sgpr7
	ds_load_b64 v[9:10], v12
	s_waitcnt lgkmcnt(0)
	v_cmpx_ne_u64_e64 v[9:10], v[7:8]
	s_xor_b32 s6, exec_lo, s6
	s_cbranch_execz .LBB116_46
; %bb.37:                               ;   in Loop: Header=BB116_36 Depth=2
	s_mov_b32 s8, exec_lo
                                        ; implicit-def: $sgpr7
	v_cmpx_ne_u64_e64 s[48:49], v[9:10]
	s_xor_b32 s8, exec_lo, s8
; %bb.38:                               ;   in Loop: Header=BB116_36 Depth=2
	v_add_nc_u32_e32 v9, 1, v11
	s_mov_b32 s7, -1
                                        ; implicit-def: $vgpr12
	s_delay_alu instid0(VALU_DEP_1)
	v_and_b32_e32 v11, 0x7fff, v9
; %bb.39:                               ;   in Loop: Header=BB116_36 Depth=2
	s_and_not1_saveexec_b32 s8, s8
	s_cbranch_execz .LBB116_45
; %bb.40:                               ;   in Loop: Header=BB116_36 Depth=2
	v_dual_mov_b32 v9, s48 :: v_dual_mov_b32 v10, s49
	s_mov_b32 s10, -1
	s_mov_b32 s9, exec_lo
	ds_cmpstore_rtn_b64 v[9:10], v12, v[7:8], v[9:10]
	s_waitcnt lgkmcnt(0)
	v_cmpx_eq_u64_e64 s[48:49], v[9:10]
	s_cbranch_execz .LBB116_44
; %bb.41:                               ;   in Loop: Header=BB116_36 Depth=2
	v_lshlrev_b32_e32 v9, 3, v11
	s_mov_b32 s10, 0
	s_delay_alu instid0(VALU_DEP_1)
	v_add3_u32 v12, 0, v9, 0x40000
	ds_load_b64 v[9:10], v12
.LBB116_42:                             ;   Parent Loop BB116_34 Depth=1
                                        ;     Parent Loop BB116_36 Depth=2
                                        ; =>    This Inner Loop Header: Depth=3
	s_waitcnt lgkmcnt(0)
	v_add_f64 v[13:14], v[9:10], v[5:6]
	ds_cmpstore_rtn_b64 v[13:14], v12, v[13:14], v[9:10]
	s_waitcnt lgkmcnt(0)
	v_cmp_eq_u64_e32 vcc_lo, v[13:14], v[9:10]
	v_dual_mov_b32 v9, v13 :: v_dual_mov_b32 v10, v14
	s_or_b32 s10, vcc_lo, s10
	s_delay_alu instid0(SALU_CYCLE_1)
	s_and_not1_b32 exec_lo, exec_lo, s10
	s_cbranch_execnz .LBB116_42
; %bb.43:                               ;   in Loop: Header=BB116_36 Depth=2
	s_or_b32 exec_lo, exec_lo, s10
	s_delay_alu instid0(SALU_CYCLE_1)
	s_xor_b32 s10, exec_lo, -1
.LBB116_44:                             ;   in Loop: Header=BB116_36 Depth=2
	s_or_b32 exec_lo, exec_lo, s9
	s_delay_alu instid0(SALU_CYCLE_1) | instskip(SKIP_1) | instid1(SALU_CYCLE_1)
	s_and_not1_b32 s7, s7, exec_lo
	s_and_b32 s9, s10, exec_lo
	s_or_b32 s7, s7, s9
.LBB116_45:                             ;   in Loop: Header=BB116_36 Depth=2
	s_or_b32 exec_lo, exec_lo, s8
	s_delay_alu instid0(SALU_CYCLE_1)
	s_and_b32 s7, s7, exec_lo
.LBB116_46:                             ;   in Loop: Header=BB116_36 Depth=2
	s_and_not1_saveexec_b32 s6, s6
	s_cbranch_execz .LBB116_35
; %bb.47:                               ;   in Loop: Header=BB116_36 Depth=2
	v_lshlrev_b32_e32 v9, 3, v11
	s_mov_b32 s8, 0
	s_delay_alu instid0(VALU_DEP_1)
	v_add3_u32 v12, 0, v9, 0x40000
	ds_load_b64 v[9:10], v12
.LBB116_48:                             ;   Parent Loop BB116_34 Depth=1
                                        ;     Parent Loop BB116_36 Depth=2
                                        ; =>    This Inner Loop Header: Depth=3
	s_waitcnt lgkmcnt(0)
	v_add_f64 v[13:14], v[9:10], v[5:6]
	ds_cmpstore_rtn_b64 v[13:14], v12, v[13:14], v[9:10]
	s_waitcnt lgkmcnt(0)
	v_cmp_eq_u64_e32 vcc_lo, v[13:14], v[9:10]
	v_dual_mov_b32 v9, v13 :: v_dual_mov_b32 v10, v14
	s_or_b32 s8, vcc_lo, s8
	s_delay_alu instid0(SALU_CYCLE_1)
	s_and_not1_b32 exec_lo, exec_lo, s8
	s_cbranch_execnz .LBB116_48
; %bb.49:                               ;   in Loop: Header=BB116_36 Depth=2
	s_or_b32 exec_lo, exec_lo, s8
	s_delay_alu instid0(SALU_CYCLE_1)
	s_and_not1_b32 s7, s7, exec_lo
	s_branch .LBB116_35
.LBB116_50:
	s_or_b32 exec_lo, exec_lo, s3
.LBB116_51:
	v_mbcnt_lo_u32_b32 v1, -1, 0
	v_lshrrev_b32_e32 v2, 2, v0
	s_add_i32 s71, 0, 0x800f8
	v_cmp_eq_u32_e32 vcc_lo, 0x3ff, v0
	v_cmp_lt_u32_e64 s0, 31, v0
	v_xor_b32_e32 v1, 63, v1
	v_and_b32_e32 v3, 0xf8, v2
	v_cmp_lt_u32_e64 s1, 63, v0
	v_cmp_lt_u32_e64 s2, 0x5f, v0
	;; [unrolled: 1-line block ×3, first 2 shown]
	v_lshrrev_b64 v[1:2], v1, -1
	v_add3_u32 v12, 0, 0x80000, v3
	v_dual_mov_b32 v2, 0 :: v_dual_mov_b32 v5, 0
	v_cmp_lt_u32_e64 s4, 0x9f, v0
	v_cmp_lt_u32_e64 s5, 0xbf, v0
	v_cmp_lt_u32_e64 s6, 0xdf, v0
	v_cmp_lt_u32_e64 s7, 0xff, v0
	v_cmp_lt_u32_e64 s8, 0x11f, v0
	v_cmp_lt_u32_e64 s9, 0x13f, v0
	v_cmp_lt_u32_e64 s10, 0x15f, v0
	v_cmp_lt_u32_e64 s11, 0x17f, v0
	v_cmp_lt_u32_e64 s12, 0x19f, v0
	v_cmp_lt_u32_e64 s13, 0x1bf, v0
	v_cmp_lt_u32_e64 s14, 0x1df, v0
	v_cmp_lt_u32_e64 s15, 0x1ff, v0
	v_cmp_lt_u32_e64 s16, 0x21f, v0
	v_cmp_lt_u32_e64 s17, 0x23f, v0
	v_cmp_lt_u32_e64 s18, 0x25f, v0
	v_cmp_lt_u32_e64 s19, 0x27f, v0
	v_cmp_lt_u32_e64 s20, 0x29f, v0
	v_cmp_lt_u32_e64 s21, 0x2bf, v0
	v_cmp_lt_u32_e64 s22, 0x2df, v0
	v_cmp_lt_u32_e64 s23, 0x2ff, v0
	v_cmp_lt_u32_e64 s24, 0x31f, v0
	v_cmp_lt_u32_e64 s25, 0x33f, v0
	v_cmp_lt_u32_e64 s26, 0x35f, v0
	v_cmp_lt_u32_e64 s27, 0x37f, v0
	v_cmp_lt_u32_e64 s28, 0x39f, v0
	v_cmp_lt_u32_e64 s29, 0x3bf, v0
	v_cmp_lt_u32_e64 s30, 0x3df, v0
	v_mov_b32_e32 v3, 0
	v_mov_b32_e32 v13, s71
	s_mov_b32 s36, 0
	s_add_i32 s37, 0, 0x80000
	s_add_i32 s38, 0, 0x80008
	;; [unrolled: 1-line block ×31, first 2 shown]
	s_waitcnt lgkmcnt(0)
	s_barrier
	buffer_gl0_inv
	s_branch .LBB116_53
.LBB116_52:                             ;   in Loop: Header=BB116_53 Depth=1
	s_or_b32 exec_lo, exec_lo, s31
	s_waitcnt lgkmcnt(0)
	s_barrier
	buffer_gl0_inv
	ds_load_b64 v[6:7], v13
	v_add_nc_u32_e32 v20, 0x400, v20
	v_add_nc_u32_e32 v19, 0x2000, v19
	s_delay_alu instid0(VALU_DEP_2) | instskip(NEXT) | instid1(VALU_DEP_1)
	v_cmp_lt_u32_e64 s31, 0x7bff, v20
	s_or_b32 s36, s31, s36
	s_waitcnt lgkmcnt(0)
	v_add_co_u32 v2, s33, v6, v2
	s_delay_alu instid0(VALU_DEP_1)
	v_add_co_ci_u32_e64 v3, s33, v7, v3, s33
	s_and_not1_b32 exec_lo, exec_lo, s36
	s_cbranch_execz .LBB116_119
.LBB116_53:                             ; =>This Inner Loop Header: Depth=1
	ds_load_b64 v[6:7], v19
	v_add_nc_u32_e32 v4, 0x40000, v19
	ds_load_b64 v[8:9], v4
	s_waitcnt lgkmcnt(0)
	s_barrier
	buffer_gl0_inv
	v_cmp_gt_i64_e64 s31, s[48:49], v[6:7]
	s_delay_alu instid0(VALU_DEP_1) | instskip(SKIP_1) | instid1(SALU_CYCLE_1)
	v_and_b32_e32 v10, s31, v1
	s_bcnt1_i32_b32 s33, s31
	v_mov_b32_e32 v4, s33
	s_delay_alu instid0(VALU_DEP_2)
	v_bcnt_u32_b32 v10, v10, 0
	ds_store_b64 v12, v[4:5]
	s_waitcnt lgkmcnt(0)
	s_barrier
	buffer_gl0_inv
	s_and_saveexec_b32 s33, s0
	s_cbranch_execnz .LBB116_86
; %bb.54:                               ;   in Loop: Header=BB116_53 Depth=1
	s_or_b32 exec_lo, exec_lo, s33
	s_and_saveexec_b32 s33, s1
	s_cbranch_execnz .LBB116_87
.LBB116_55:                             ;   in Loop: Header=BB116_53 Depth=1
	s_or_b32 exec_lo, exec_lo, s33
	s_and_saveexec_b32 s33, s2
	s_cbranch_execnz .LBB116_88
.LBB116_56:                             ;   in Loop: Header=BB116_53 Depth=1
	s_or_b32 exec_lo, exec_lo, s33
	s_and_saveexec_b32 s33, s3
	s_cbranch_execnz .LBB116_89
.LBB116_57:                             ;   in Loop: Header=BB116_53 Depth=1
	s_or_b32 exec_lo, exec_lo, s33
	s_and_saveexec_b32 s33, s4
	s_cbranch_execnz .LBB116_90
.LBB116_58:                             ;   in Loop: Header=BB116_53 Depth=1
	s_or_b32 exec_lo, exec_lo, s33
	s_and_saveexec_b32 s33, s5
	s_cbranch_execnz .LBB116_91
.LBB116_59:                             ;   in Loop: Header=BB116_53 Depth=1
	s_or_b32 exec_lo, exec_lo, s33
	s_and_saveexec_b32 s33, s6
	s_cbranch_execnz .LBB116_92
.LBB116_60:                             ;   in Loop: Header=BB116_53 Depth=1
	s_or_b32 exec_lo, exec_lo, s33
	s_and_saveexec_b32 s33, s7
	s_cbranch_execnz .LBB116_93
.LBB116_61:                             ;   in Loop: Header=BB116_53 Depth=1
	s_or_b32 exec_lo, exec_lo, s33
	s_and_saveexec_b32 s33, s8
	s_cbranch_execnz .LBB116_94
.LBB116_62:                             ;   in Loop: Header=BB116_53 Depth=1
	s_or_b32 exec_lo, exec_lo, s33
	s_and_saveexec_b32 s33, s9
	s_cbranch_execnz .LBB116_95
.LBB116_63:                             ;   in Loop: Header=BB116_53 Depth=1
	s_or_b32 exec_lo, exec_lo, s33
	s_and_saveexec_b32 s33, s10
	s_cbranch_execnz .LBB116_96
.LBB116_64:                             ;   in Loop: Header=BB116_53 Depth=1
	s_or_b32 exec_lo, exec_lo, s33
	s_and_saveexec_b32 s33, s11
	s_cbranch_execnz .LBB116_97
.LBB116_65:                             ;   in Loop: Header=BB116_53 Depth=1
	s_or_b32 exec_lo, exec_lo, s33
	s_and_saveexec_b32 s33, s12
	s_cbranch_execnz .LBB116_98
.LBB116_66:                             ;   in Loop: Header=BB116_53 Depth=1
	s_or_b32 exec_lo, exec_lo, s33
	s_and_saveexec_b32 s33, s13
	s_cbranch_execnz .LBB116_99
.LBB116_67:                             ;   in Loop: Header=BB116_53 Depth=1
	s_or_b32 exec_lo, exec_lo, s33
	s_and_saveexec_b32 s33, s14
	s_cbranch_execnz .LBB116_100
.LBB116_68:                             ;   in Loop: Header=BB116_53 Depth=1
	s_or_b32 exec_lo, exec_lo, s33
	s_and_saveexec_b32 s33, s15
	s_cbranch_execnz .LBB116_101
.LBB116_69:                             ;   in Loop: Header=BB116_53 Depth=1
	s_or_b32 exec_lo, exec_lo, s33
	s_and_saveexec_b32 s33, s16
	s_cbranch_execnz .LBB116_102
.LBB116_70:                             ;   in Loop: Header=BB116_53 Depth=1
	s_or_b32 exec_lo, exec_lo, s33
	s_and_saveexec_b32 s33, s17
	s_cbranch_execnz .LBB116_103
.LBB116_71:                             ;   in Loop: Header=BB116_53 Depth=1
	s_or_b32 exec_lo, exec_lo, s33
	s_and_saveexec_b32 s33, s18
	s_cbranch_execnz .LBB116_104
.LBB116_72:                             ;   in Loop: Header=BB116_53 Depth=1
	s_or_b32 exec_lo, exec_lo, s33
	s_and_saveexec_b32 s33, s19
	s_cbranch_execnz .LBB116_105
.LBB116_73:                             ;   in Loop: Header=BB116_53 Depth=1
	s_or_b32 exec_lo, exec_lo, s33
	s_and_saveexec_b32 s33, s20
	s_cbranch_execnz .LBB116_106
.LBB116_74:                             ;   in Loop: Header=BB116_53 Depth=1
	s_or_b32 exec_lo, exec_lo, s33
	s_and_saveexec_b32 s33, s21
	s_cbranch_execnz .LBB116_107
.LBB116_75:                             ;   in Loop: Header=BB116_53 Depth=1
	s_or_b32 exec_lo, exec_lo, s33
	s_and_saveexec_b32 s33, s22
	s_cbranch_execnz .LBB116_108
.LBB116_76:                             ;   in Loop: Header=BB116_53 Depth=1
	s_or_b32 exec_lo, exec_lo, s33
	s_and_saveexec_b32 s33, s23
	s_cbranch_execnz .LBB116_109
.LBB116_77:                             ;   in Loop: Header=BB116_53 Depth=1
	s_or_b32 exec_lo, exec_lo, s33
	s_and_saveexec_b32 s33, s24
	s_cbranch_execnz .LBB116_110
.LBB116_78:                             ;   in Loop: Header=BB116_53 Depth=1
	s_or_b32 exec_lo, exec_lo, s33
	s_and_saveexec_b32 s33, s25
	s_cbranch_execnz .LBB116_111
.LBB116_79:                             ;   in Loop: Header=BB116_53 Depth=1
	s_or_b32 exec_lo, exec_lo, s33
	s_and_saveexec_b32 s33, s26
	s_cbranch_execnz .LBB116_112
.LBB116_80:                             ;   in Loop: Header=BB116_53 Depth=1
	s_or_b32 exec_lo, exec_lo, s33
	s_and_saveexec_b32 s33, s27
	s_cbranch_execnz .LBB116_113
.LBB116_81:                             ;   in Loop: Header=BB116_53 Depth=1
	s_or_b32 exec_lo, exec_lo, s33
	s_and_saveexec_b32 s33, s28
	s_cbranch_execnz .LBB116_114
.LBB116_82:                             ;   in Loop: Header=BB116_53 Depth=1
	s_or_b32 exec_lo, exec_lo, s33
	s_and_saveexec_b32 s33, s29
	s_cbranch_execnz .LBB116_115
.LBB116_83:                             ;   in Loop: Header=BB116_53 Depth=1
	s_or_b32 exec_lo, exec_lo, s33
	s_and_saveexec_b32 s33, s30
	s_cbranch_execnz .LBB116_116
.LBB116_84:                             ;   in Loop: Header=BB116_53 Depth=1
	s_or_b32 exec_lo, exec_lo, s33
	v_ashrrev_i32_e32 v11, 31, v10
	s_and_saveexec_b32 s33, s31
	s_cbranch_execnz .LBB116_117
.LBB116_85:                             ;   in Loop: Header=BB116_53 Depth=1
	s_or_b32 exec_lo, exec_lo, s33
	s_and_saveexec_b32 s31, vcc_lo
	s_cbranch_execz .LBB116_52
	s_branch .LBB116_118
.LBB116_86:                             ;   in Loop: Header=BB116_53 Depth=1
	v_mov_b32_e32 v4, s37
	ds_load_b32 v4, v4
	s_waitcnt lgkmcnt(0)
	v_add_nc_u32_e32 v10, v4, v10
	s_or_b32 exec_lo, exec_lo, s33
	s_and_saveexec_b32 s33, s1
	s_cbranch_execz .LBB116_55
.LBB116_87:                             ;   in Loop: Header=BB116_53 Depth=1
	v_mov_b32_e32 v4, s38
	ds_load_b32 v4, v4
	s_waitcnt lgkmcnt(0)
	v_add_nc_u32_e32 v10, v10, v4
	s_or_b32 exec_lo, exec_lo, s33
	s_and_saveexec_b32 s33, s2
	s_cbranch_execz .LBB116_56
.LBB116_88:                             ;   in Loop: Header=BB116_53 Depth=1
	v_mov_b32_e32 v4, s39
	ds_load_b32 v4, v4
	s_waitcnt lgkmcnt(0)
	v_add_nc_u32_e32 v10, v10, v4
	s_or_b32 exec_lo, exec_lo, s33
	s_and_saveexec_b32 s33, s3
	s_cbranch_execz .LBB116_57
.LBB116_89:                             ;   in Loop: Header=BB116_53 Depth=1
	v_mov_b32_e32 v4, s40
	ds_load_b32 v4, v4
	s_waitcnt lgkmcnt(0)
	v_add_nc_u32_e32 v10, v10, v4
	s_or_b32 exec_lo, exec_lo, s33
	s_and_saveexec_b32 s33, s4
	s_cbranch_execz .LBB116_58
.LBB116_90:                             ;   in Loop: Header=BB116_53 Depth=1
	v_mov_b32_e32 v4, s41
	ds_load_b32 v4, v4
	s_waitcnt lgkmcnt(0)
	v_add_nc_u32_e32 v10, v10, v4
	s_or_b32 exec_lo, exec_lo, s33
	s_and_saveexec_b32 s33, s5
	s_cbranch_execz .LBB116_59
.LBB116_91:                             ;   in Loop: Header=BB116_53 Depth=1
	v_mov_b32_e32 v4, s44
	ds_load_b32 v4, v4
	s_waitcnt lgkmcnt(0)
	v_add_nc_u32_e32 v10, v10, v4
	s_or_b32 exec_lo, exec_lo, s33
	s_and_saveexec_b32 s33, s6
	s_cbranch_execz .LBB116_60
.LBB116_92:                             ;   in Loop: Header=BB116_53 Depth=1
	v_mov_b32_e32 v4, s45
	ds_load_b32 v4, v4
	s_waitcnt lgkmcnt(0)
	v_add_nc_u32_e32 v10, v10, v4
	s_or_b32 exec_lo, exec_lo, s33
	s_and_saveexec_b32 s33, s7
	s_cbranch_execz .LBB116_61
.LBB116_93:                             ;   in Loop: Header=BB116_53 Depth=1
	v_mov_b32_e32 v4, s47
	ds_load_b32 v4, v4
	s_waitcnt lgkmcnt(0)
	v_add_nc_u32_e32 v10, v10, v4
	s_or_b32 exec_lo, exec_lo, s33
	s_and_saveexec_b32 s33, s8
	s_cbranch_execz .LBB116_62
.LBB116_94:                             ;   in Loop: Header=BB116_53 Depth=1
	v_mov_b32_e32 v4, s52
	ds_load_b32 v4, v4
	s_waitcnt lgkmcnt(0)
	v_add_nc_u32_e32 v10, v10, v4
	s_or_b32 exec_lo, exec_lo, s33
	s_and_saveexec_b32 s33, s9
	s_cbranch_execz .LBB116_63
.LBB116_95:                             ;   in Loop: Header=BB116_53 Depth=1
	v_mov_b32_e32 v4, s53
	ds_load_b32 v4, v4
	s_waitcnt lgkmcnt(0)
	v_add_nc_u32_e32 v10, v10, v4
	s_or_b32 exec_lo, exec_lo, s33
	s_and_saveexec_b32 s33, s10
	s_cbranch_execz .LBB116_64
.LBB116_96:                             ;   in Loop: Header=BB116_53 Depth=1
	v_mov_b32_e32 v4, s54
	ds_load_b32 v4, v4
	s_waitcnt lgkmcnt(0)
	v_add_nc_u32_e32 v10, v10, v4
	s_or_b32 exec_lo, exec_lo, s33
	s_and_saveexec_b32 s33, s11
	s_cbranch_execz .LBB116_65
.LBB116_97:                             ;   in Loop: Header=BB116_53 Depth=1
	v_mov_b32_e32 v4, s55
	ds_load_b32 v4, v4
	s_waitcnt lgkmcnt(0)
	v_add_nc_u32_e32 v10, v10, v4
	s_or_b32 exec_lo, exec_lo, s33
	s_and_saveexec_b32 s33, s12
	s_cbranch_execz .LBB116_66
.LBB116_98:                             ;   in Loop: Header=BB116_53 Depth=1
	v_mov_b32_e32 v4, s56
	ds_load_b32 v4, v4
	s_waitcnt lgkmcnt(0)
	v_add_nc_u32_e32 v10, v10, v4
	s_or_b32 exec_lo, exec_lo, s33
	s_and_saveexec_b32 s33, s13
	s_cbranch_execz .LBB116_67
.LBB116_99:                             ;   in Loop: Header=BB116_53 Depth=1
	v_mov_b32_e32 v4, s57
	ds_load_b32 v4, v4
	s_waitcnt lgkmcnt(0)
	v_add_nc_u32_e32 v10, v10, v4
	s_or_b32 exec_lo, exec_lo, s33
	s_and_saveexec_b32 s33, s14
	s_cbranch_execz .LBB116_68
.LBB116_100:                            ;   in Loop: Header=BB116_53 Depth=1
	v_mov_b32_e32 v4, s58
	ds_load_b32 v4, v4
	s_waitcnt lgkmcnt(0)
	v_add_nc_u32_e32 v10, v10, v4
	s_or_b32 exec_lo, exec_lo, s33
	s_and_saveexec_b32 s33, s15
	s_cbranch_execz .LBB116_69
.LBB116_101:                            ;   in Loop: Header=BB116_53 Depth=1
	v_mov_b32_e32 v4, s59
	ds_load_b32 v4, v4
	s_waitcnt lgkmcnt(0)
	v_add_nc_u32_e32 v10, v10, v4
	s_or_b32 exec_lo, exec_lo, s33
	s_and_saveexec_b32 s33, s16
	s_cbranch_execz .LBB116_70
.LBB116_102:                            ;   in Loop: Header=BB116_53 Depth=1
	v_mov_b32_e32 v4, s60
	ds_load_b32 v4, v4
	s_waitcnt lgkmcnt(0)
	v_add_nc_u32_e32 v10, v10, v4
	s_or_b32 exec_lo, exec_lo, s33
	s_and_saveexec_b32 s33, s17
	s_cbranch_execz .LBB116_71
.LBB116_103:                            ;   in Loop: Header=BB116_53 Depth=1
	v_mov_b32_e32 v4, s61
	ds_load_b32 v4, v4
	s_waitcnt lgkmcnt(0)
	v_add_nc_u32_e32 v10, v10, v4
	s_or_b32 exec_lo, exec_lo, s33
	s_and_saveexec_b32 s33, s18
	s_cbranch_execz .LBB116_72
.LBB116_104:                            ;   in Loop: Header=BB116_53 Depth=1
	v_mov_b32_e32 v4, s62
	ds_load_b32 v4, v4
	s_waitcnt lgkmcnt(0)
	v_add_nc_u32_e32 v10, v10, v4
	s_or_b32 exec_lo, exec_lo, s33
	s_and_saveexec_b32 s33, s19
	s_cbranch_execz .LBB116_73
.LBB116_105:                            ;   in Loop: Header=BB116_53 Depth=1
	v_mov_b32_e32 v4, s63
	ds_load_b32 v4, v4
	s_waitcnt lgkmcnt(0)
	v_add_nc_u32_e32 v10, v10, v4
	s_or_b32 exec_lo, exec_lo, s33
	s_and_saveexec_b32 s33, s20
	s_cbranch_execz .LBB116_74
.LBB116_106:                            ;   in Loop: Header=BB116_53 Depth=1
	v_mov_b32_e32 v4, s64
	ds_load_b32 v4, v4
	s_waitcnt lgkmcnt(0)
	v_add_nc_u32_e32 v10, v10, v4
	s_or_b32 exec_lo, exec_lo, s33
	s_and_saveexec_b32 s33, s21
	s_cbranch_execz .LBB116_75
.LBB116_107:                            ;   in Loop: Header=BB116_53 Depth=1
	v_mov_b32_e32 v4, s65
	ds_load_b32 v4, v4
	s_waitcnt lgkmcnt(0)
	v_add_nc_u32_e32 v10, v10, v4
	s_or_b32 exec_lo, exec_lo, s33
	s_and_saveexec_b32 s33, s22
	s_cbranch_execz .LBB116_76
.LBB116_108:                            ;   in Loop: Header=BB116_53 Depth=1
	v_mov_b32_e32 v4, s66
	ds_load_b32 v4, v4
	s_waitcnt lgkmcnt(0)
	v_add_nc_u32_e32 v10, v10, v4
	s_or_b32 exec_lo, exec_lo, s33
	s_and_saveexec_b32 s33, s23
	s_cbranch_execz .LBB116_77
.LBB116_109:                            ;   in Loop: Header=BB116_53 Depth=1
	v_mov_b32_e32 v4, s67
	ds_load_b32 v4, v4
	s_waitcnt lgkmcnt(0)
	v_add_nc_u32_e32 v10, v10, v4
	s_or_b32 exec_lo, exec_lo, s33
	s_and_saveexec_b32 s33, s24
	s_cbranch_execz .LBB116_78
.LBB116_110:                            ;   in Loop: Header=BB116_53 Depth=1
	v_mov_b32_e32 v4, s68
	ds_load_b32 v4, v4
	s_waitcnt lgkmcnt(0)
	v_add_nc_u32_e32 v10, v10, v4
	s_or_b32 exec_lo, exec_lo, s33
	s_and_saveexec_b32 s33, s25
	s_cbranch_execz .LBB116_79
.LBB116_111:                            ;   in Loop: Header=BB116_53 Depth=1
	v_mov_b32_e32 v4, s69
	ds_load_b32 v4, v4
	s_waitcnt lgkmcnt(0)
	v_add_nc_u32_e32 v10, v10, v4
	s_or_b32 exec_lo, exec_lo, s33
	s_and_saveexec_b32 s33, s26
	s_cbranch_execz .LBB116_80
.LBB116_112:                            ;   in Loop: Header=BB116_53 Depth=1
	v_mov_b32_e32 v4, s70
	ds_load_b32 v4, v4
	s_waitcnt lgkmcnt(0)
	v_add_nc_u32_e32 v10, v10, v4
	s_or_b32 exec_lo, exec_lo, s33
	s_and_saveexec_b32 s33, s27
	s_cbranch_execz .LBB116_81
.LBB116_113:                            ;   in Loop: Header=BB116_53 Depth=1
	v_mov_b32_e32 v4, s72
	ds_load_b32 v4, v4
	s_waitcnt lgkmcnt(0)
	v_add_nc_u32_e32 v10, v10, v4
	s_or_b32 exec_lo, exec_lo, s33
	s_and_saveexec_b32 s33, s28
	s_cbranch_execz .LBB116_82
.LBB116_114:                            ;   in Loop: Header=BB116_53 Depth=1
	v_mov_b32_e32 v4, s73
	ds_load_b32 v4, v4
	s_waitcnt lgkmcnt(0)
	v_add_nc_u32_e32 v10, v10, v4
	s_or_b32 exec_lo, exec_lo, s33
	s_and_saveexec_b32 s33, s29
	s_cbranch_execz .LBB116_83
.LBB116_115:                            ;   in Loop: Header=BB116_53 Depth=1
	v_mov_b32_e32 v4, s74
	ds_load_b32 v4, v4
	s_waitcnt lgkmcnt(0)
	v_add_nc_u32_e32 v10, v10, v4
	s_or_b32 exec_lo, exec_lo, s33
	s_and_saveexec_b32 s33, s30
	s_cbranch_execz .LBB116_84
.LBB116_116:                            ;   in Loop: Header=BB116_53 Depth=1
	v_mov_b32_e32 v4, s75
	ds_load_b32 v4, v4
	s_waitcnt lgkmcnt(0)
	v_add_nc_u32_e32 v10, v10, v4
	s_or_b32 exec_lo, exec_lo, s33
	s_delay_alu instid0(VALU_DEP_1)
	v_ashrrev_i32_e32 v11, 31, v10
	s_and_saveexec_b32 s33, s31
	s_cbranch_execz .LBB116_85
.LBB116_117:                            ;   in Loop: Header=BB116_53 Depth=1
	v_add3_u32 v4, v2, -1, v10
	s_delay_alu instid0(VALU_DEP_1) | instskip(NEXT) | instid1(VALU_DEP_1)
	v_lshl_add_u32 v4, v4, 3, 0
	v_add_nc_u32_e32 v14, 0x40000, v4
	ds_store_b64 v4, v[6:7]
	ds_store_b64 v14, v[8:9]
	s_or_b32 exec_lo, exec_lo, s33
	s_and_saveexec_b32 s31, vcc_lo
	s_cbranch_execz .LBB116_52
.LBB116_118:                            ;   in Loop: Header=BB116_53 Depth=1
	v_mov_b32_e32 v4, s71
	ds_store_b64 v4, v[10:11]
	s_branch .LBB116_52
.LBB116_119:
	s_or_b32 exec_lo, exec_lo, s36
	s_lshl_b64 s[0:1], s[50:51], 3
	v_mov_b32_e32 v1, 0
	s_add_u32 s0, s42, s0
	s_addc_u32 s1, s43, s1
	s_mov_b32 s6, exec_lo
	s_load_b128 s[0:3], s[0:1], 0x0
	s_waitcnt lgkmcnt(0)
	s_sub_u32 s4, s2, s0
	s_subb_u32 s5, s3, s1
	s_delay_alu instid0(SALU_CYCLE_1)
	v_cmpx_gt_i64_e64 s[4:5], v[0:1]
	s_cbranch_execz .LBB116_129
; %bb.120:
	s_sub_u32 s8, s0, s46
	s_subb_u32 s9, s1, 0
	s_and_b32 s6, s4, 7
	s_sub_u32 s0, s0, s2
	s_subb_u32 s1, s1, s3
	s_mov_b32 s7, 0
	v_cmp_lt_u64_e64 s12, s[0:1], -7
	s_and_b32 s2, s4, -8
	s_cmp_lg_u64 s[6:7], 0
	s_mov_b32 s3, s5
	s_cselect_b32 s13, -1, 0
	s_mov_b32 s14, s7
	s_branch .LBB116_122
.LBB116_121:                            ;   in Loop: Header=BB116_122 Depth=1
	v_add_co_u32 v0, vcc_lo, 0x400, v0
	v_add_co_ci_u32_e32 v1, vcc_lo, 0, v1, vcc_lo
	s_waitcnt lgkmcnt(1)
	v_lshlrev_b64 v[4:5], 3, v[6:7]
	s_delay_alu instid0(VALU_DEP_2) | instskip(NEXT) | instid1(VALU_DEP_2)
	v_cmp_le_i64_e32 vcc_lo, s[4:5], v[0:1]
	v_add_co_u32 v4, s0, s34, v4
	s_delay_alu instid0(VALU_DEP_1)
	v_add_co_ci_u32_e64 v5, s0, s35, v5, s0
	s_or_b32 s14, vcc_lo, s14
	s_waitcnt lgkmcnt(0)
	global_store_b64 v[4:5], v[2:3], off
	s_and_not1_b32 exec_lo, exec_lo, s14
	s_cbranch_execz .LBB116_129
.LBB116_122:                            ; =>This Loop Header: Depth=1
                                        ;     Child Loop BB116_124 Depth 2
                                        ;     Child Loop BB116_128 Depth 2
	v_lshl_add_u32 v2, v0, 3, 0
	s_and_not1_b32 vcc_lo, exec_lo, s12
	s_mov_b64 s[0:1], 0
	v_dual_mov_b32 v6, s8 :: v_dual_mov_b32 v7, s9
	s_delay_alu instid0(VALU_DEP_2)
	v_add_nc_u32_e32 v3, 0x40000, v2
	ds_load_b64 v[4:5], v2
	ds_load_b64 v[2:3], v3
	s_cbranch_vccnz .LBB116_126
; %bb.123:                              ;   in Loop: Header=BB116_122 Depth=1
	v_dual_mov_b32 v6, s8 :: v_dual_mov_b32 v7, s9
	s_mov_b64 s[10:11], 0
	s_mov_b32 s1, 0
.LBB116_124:                            ;   Parent Loop BB116_122 Depth=1
                                        ; =>  This Inner Loop Header: Depth=2
	s_delay_alu instid0(SALU_CYCLE_1)
	v_mov_b32_e32 v20, s1
	s_add_u32 s10, s10, 8
	s_addc_u32 s11, s11, 0
	s_add_i32 s1, s1, 64
	s_cmp_eq_u64 s[2:3], s[10:11]
	ds_load_2addr_b64 v[8:11], v20 offset1:1
	ds_load_2addr_b64 v[12:15], v20 offset0:2 offset1:3
	ds_load_2addr_b64 v[16:19], v20 offset0:4 offset1:5
	;; [unrolled: 1-line block ×3, first 2 shown]
	s_waitcnt lgkmcnt(3)
	v_cmp_gt_i64_e32 vcc_lo, v[4:5], v[8:9]
	v_cndmask_b32_e64 v8, 0, 1, vcc_lo
	v_cmp_gt_i64_e32 vcc_lo, v[4:5], v[10:11]
	v_cndmask_b32_e64 v9, 0, 1, vcc_lo
	s_waitcnt lgkmcnt(2)
	v_cmp_gt_i64_e32 vcc_lo, v[4:5], v[12:13]
	v_cndmask_b32_e64 v10, 0, 1, vcc_lo
	v_cmp_gt_i64_e32 vcc_lo, v[4:5], v[14:15]
	v_cndmask_b32_e64 v11, 0, 1, vcc_lo
	s_waitcnt lgkmcnt(1)
	v_cmp_gt_i64_e32 vcc_lo, v[4:5], v[16:17]
	v_cndmask_b32_e64 v12, 0, 1, vcc_lo
	v_add_co_u32 v6, vcc_lo, v6, v8
	v_add_co_ci_u32_e32 v7, vcc_lo, 0, v7, vcc_lo
	v_cmp_gt_i64_e32 vcc_lo, v[4:5], v[18:19]
	s_delay_alu instid0(VALU_DEP_3) | instskip(NEXT) | instid1(VALU_DEP_1)
	v_add_co_u32 v6, s0, v6, v9
	v_add_co_ci_u32_e64 v7, s0, 0, v7, s0
	v_cndmask_b32_e64 v8, 0, 1, vcc_lo
	s_delay_alu instid0(VALU_DEP_3) | instskip(NEXT) | instid1(VALU_DEP_3)
	v_add_co_u32 v6, vcc_lo, v6, v10
	v_add_co_ci_u32_e32 v7, vcc_lo, 0, v7, vcc_lo
	s_waitcnt lgkmcnt(0)
	v_cmp_gt_i64_e32 vcc_lo, v[4:5], v[20:21]
	s_delay_alu instid0(VALU_DEP_3) | instskip(NEXT) | instid1(VALU_DEP_1)
	v_add_co_u32 v6, s0, v6, v11
	v_add_co_ci_u32_e64 v7, s0, 0, v7, s0
	v_cndmask_b32_e64 v9, 0, 1, vcc_lo
	s_delay_alu instid0(VALU_DEP_3) | instskip(NEXT) | instid1(VALU_DEP_3)
	v_add_co_u32 v6, vcc_lo, v6, v12
	v_add_co_ci_u32_e32 v7, vcc_lo, 0, v7, vcc_lo
	v_cmp_gt_i64_e32 vcc_lo, v[4:5], v[22:23]
	s_delay_alu instid0(VALU_DEP_3) | instskip(NEXT) | instid1(VALU_DEP_1)
	v_add_co_u32 v6, s0, v6, v8
	v_add_co_ci_u32_e64 v7, s0, 0, v7, s0
	v_cndmask_b32_e64 v8, 0, 1, vcc_lo
	s_delay_alu instid0(VALU_DEP_3) | instskip(NEXT) | instid1(VALU_DEP_3)
	v_add_co_u32 v6, vcc_lo, v6, v9
	v_add_co_ci_u32_e32 v7, vcc_lo, 0, v7, vcc_lo
	s_delay_alu instid0(VALU_DEP_2) | instskip(NEXT) | instid1(VALU_DEP_2)
	v_add_co_u32 v6, vcc_lo, v6, v8
	v_add_co_ci_u32_e32 v7, vcc_lo, 0, v7, vcc_lo
	s_cbranch_scc0 .LBB116_124
; %bb.125:                              ;   in Loop: Header=BB116_122 Depth=1
	s_mov_b64 s[0:1], s[2:3]
.LBB116_126:                            ;   in Loop: Header=BB116_122 Depth=1
	s_and_not1_b32 vcc_lo, exec_lo, s13
	s_cbranch_vccnz .LBB116_121
; %bb.127:                              ;   in Loop: Header=BB116_122 Depth=1
	s_lshl_b32 s0, s0, 3
	s_delay_alu instid0(SALU_CYCLE_1)
	s_add_i32 s10, s0, 0
	s_mov_b64 s[0:1], s[6:7]
.LBB116_128:                            ;   Parent Loop BB116_122 Depth=1
                                        ; =>  This Inner Loop Header: Depth=2
	v_mov_b32_e32 v8, s10
	s_add_i32 s10, s10, 8
	s_add_u32 s0, s0, -1
	s_addc_u32 s1, s1, -1
	s_delay_alu instid0(SALU_CYCLE_1) | instskip(SKIP_4) | instid1(VALU_DEP_1)
	s_cmp_lg_u64 s[0:1], 0
	ds_load_b64 v[8:9], v8
	s_waitcnt lgkmcnt(0)
	v_cmp_gt_i64_e32 vcc_lo, v[4:5], v[8:9]
	v_cndmask_b32_e64 v8, 0, 1, vcc_lo
	v_add_co_u32 v6, vcc_lo, v6, v8
	v_add_co_ci_u32_e32 v7, vcc_lo, 0, v7, vcc_lo
	s_cbranch_scc1 .LBB116_128
	s_branch .LBB116_121
.LBB116_129:
	s_nop 0
	s_sendmsg sendmsg(MSG_DEALLOC_VGPRS)
	s_endpgm
	.section	.rodata,"a",@progbits
	.p2align	6, 0x0
	.amdhsa_kernel _ZN9rocsparseL41csrgemm_numeric_fill_block_per_row_kernelILj1024ELj64ELj32768ELj137ELj32ElldEEvT5_PKS1_S3_NS_24const_host_device_scalarIT6_EEPKT4_S3_PKS5_S9_S3_SB_S6_S9_S3_SB_S9_S3_PS5_21rocsparse_index_base_SD_SD_SD_bbb
		.amdhsa_group_segment_fixed_size 0
		.amdhsa_private_segment_fixed_size 0
		.amdhsa_kernarg_size 156
		.amdhsa_user_sgpr_count 15
		.amdhsa_user_sgpr_dispatch_ptr 0
		.amdhsa_user_sgpr_queue_ptr 0
		.amdhsa_user_sgpr_kernarg_segment_ptr 1
		.amdhsa_user_sgpr_dispatch_id 0
		.amdhsa_user_sgpr_private_segment_size 0
		.amdhsa_wavefront_size32 1
		.amdhsa_uses_dynamic_stack 0
		.amdhsa_enable_private_segment 0
		.amdhsa_system_sgpr_workgroup_id_x 1
		.amdhsa_system_sgpr_workgroup_id_y 0
		.amdhsa_system_sgpr_workgroup_id_z 0
		.amdhsa_system_sgpr_workgroup_info 0
		.amdhsa_system_vgpr_workitem_id 0
		.amdhsa_next_free_vgpr 27
		.amdhsa_next_free_sgpr 76
		.amdhsa_reserve_vcc 1
		.amdhsa_float_round_mode_32 0
		.amdhsa_float_round_mode_16_64 0
		.amdhsa_float_denorm_mode_32 3
		.amdhsa_float_denorm_mode_16_64 3
		.amdhsa_dx10_clamp 1
		.amdhsa_ieee_mode 1
		.amdhsa_fp16_overflow 0
		.amdhsa_workgroup_processor_mode 1
		.amdhsa_memory_ordered 1
		.amdhsa_forward_progress 0
		.amdhsa_shared_vgpr_count 0
		.amdhsa_exception_fp_ieee_invalid_op 0
		.amdhsa_exception_fp_denorm_src 0
		.amdhsa_exception_fp_ieee_div_zero 0
		.amdhsa_exception_fp_ieee_overflow 0
		.amdhsa_exception_fp_ieee_underflow 0
		.amdhsa_exception_fp_ieee_inexact 0
		.amdhsa_exception_int_div_zero 0
	.end_amdhsa_kernel
	.section	.text._ZN9rocsparseL41csrgemm_numeric_fill_block_per_row_kernelILj1024ELj64ELj32768ELj137ELj32ElldEEvT5_PKS1_S3_NS_24const_host_device_scalarIT6_EEPKT4_S3_PKS5_S9_S3_SB_S6_S9_S3_SB_S9_S3_PS5_21rocsparse_index_base_SD_SD_SD_bbb,"axG",@progbits,_ZN9rocsparseL41csrgemm_numeric_fill_block_per_row_kernelILj1024ELj64ELj32768ELj137ELj32ElldEEvT5_PKS1_S3_NS_24const_host_device_scalarIT6_EEPKT4_S3_PKS5_S9_S3_SB_S6_S9_S3_SB_S9_S3_PS5_21rocsparse_index_base_SD_SD_SD_bbb,comdat
.Lfunc_end116:
	.size	_ZN9rocsparseL41csrgemm_numeric_fill_block_per_row_kernelILj1024ELj64ELj32768ELj137ELj32ElldEEvT5_PKS1_S3_NS_24const_host_device_scalarIT6_EEPKT4_S3_PKS5_S9_S3_SB_S6_S9_S3_SB_S9_S3_PS5_21rocsparse_index_base_SD_SD_SD_bbb, .Lfunc_end116-_ZN9rocsparseL41csrgemm_numeric_fill_block_per_row_kernelILj1024ELj64ELj32768ELj137ELj32ElldEEvT5_PKS1_S3_NS_24const_host_device_scalarIT6_EEPKT4_S3_PKS5_S9_S3_SB_S6_S9_S3_SB_S9_S3_PS5_21rocsparse_index_base_SD_SD_SD_bbb
                                        ; -- End function
	.section	.AMDGPU.csdata,"",@progbits
; Kernel info:
; codeLenInByte = 5056
; NumSgprs: 78
; NumVgprs: 27
; ScratchSize: 0
; MemoryBound: 0
; FloatMode: 240
; IeeeMode: 1
; LDSByteSize: 0 bytes/workgroup (compile time only)
; SGPRBlocks: 9
; VGPRBlocks: 3
; NumSGPRsForWavesPerEU: 78
; NumVGPRsForWavesPerEU: 27
; Occupancy: 16
; WaveLimiterHint : 1
; COMPUTE_PGM_RSRC2:SCRATCH_EN: 0
; COMPUTE_PGM_RSRC2:USER_SGPR: 15
; COMPUTE_PGM_RSRC2:TRAP_HANDLER: 0
; COMPUTE_PGM_RSRC2:TGID_X_EN: 1
; COMPUTE_PGM_RSRC2:TGID_Y_EN: 0
; COMPUTE_PGM_RSRC2:TGID_Z_EN: 0
; COMPUTE_PGM_RSRC2:TIDIG_COMP_CNT: 0
	.section	.text._ZN9rocsparseL41csrgemm_numeric_fill_block_per_row_kernelILj1024ELj64ELj32768ELj137ELj64ElldEEvT5_PKS1_S3_NS_24const_host_device_scalarIT6_EEPKT4_S3_PKS5_S9_S3_SB_S6_S9_S3_SB_S9_S3_PS5_21rocsparse_index_base_SD_SD_SD_bbb,"axG",@progbits,_ZN9rocsparseL41csrgemm_numeric_fill_block_per_row_kernelILj1024ELj64ELj32768ELj137ELj64ElldEEvT5_PKS1_S3_NS_24const_host_device_scalarIT6_EEPKT4_S3_PKS5_S9_S3_SB_S6_S9_S3_SB_S9_S3_PS5_21rocsparse_index_base_SD_SD_SD_bbb,comdat
	.globl	_ZN9rocsparseL41csrgemm_numeric_fill_block_per_row_kernelILj1024ELj64ELj32768ELj137ELj64ElldEEvT5_PKS1_S3_NS_24const_host_device_scalarIT6_EEPKT4_S3_PKS5_S9_S3_SB_S6_S9_S3_SB_S9_S3_PS5_21rocsparse_index_base_SD_SD_SD_bbb ; -- Begin function _ZN9rocsparseL41csrgemm_numeric_fill_block_per_row_kernelILj1024ELj64ELj32768ELj137ELj64ElldEEvT5_PKS1_S3_NS_24const_host_device_scalarIT6_EEPKT4_S3_PKS5_S9_S3_SB_S6_S9_S3_SB_S9_S3_PS5_21rocsparse_index_base_SD_SD_SD_bbb
	.p2align	8
	.type	_ZN9rocsparseL41csrgemm_numeric_fill_block_per_row_kernelILj1024ELj64ELj32768ELj137ELj64ElldEEvT5_PKS1_S3_NS_24const_host_device_scalarIT6_EEPKT4_S3_PKS5_S9_S3_SB_S6_S9_S3_SB_S9_S3_PS5_21rocsparse_index_base_SD_SD_SD_bbb,@function
_ZN9rocsparseL41csrgemm_numeric_fill_block_per_row_kernelILj1024ELj64ELj32768ELj137ELj64ElldEEvT5_PKS1_S3_NS_24const_host_device_scalarIT6_EEPKT4_S3_PKS5_S9_S3_SB_S6_S9_S3_SB_S9_S3_PS5_21rocsparse_index_base_SD_SD_SD_bbb: ; @_ZN9rocsparseL41csrgemm_numeric_fill_block_per_row_kernelILj1024ELj64ELj32768ELj137ELj64ElldEEvT5_PKS1_S3_NS_24const_host_device_scalarIT6_EEPKT4_S3_PKS5_S9_S3_SB_S6_S9_S3_SB_S9_S3_PS5_21rocsparse_index_base_SD_SD_SD_bbb
; %bb.0:
	s_clause 0x3
	s_load_b32 s3, s[0:1], 0x98
	s_load_b64 s[4:5], s[0:1], 0x18
	s_load_b128 s[20:23], s[0:1], 0x88
	s_load_b64 s[36:37], s[0:1], 0x50
	s_mov_b32 s2, s15
	s_waitcnt lgkmcnt(0)
	s_and_b32 s6, 1, s3
	s_bitcmp1_b32 s3, 16
	s_cselect_b32 s39, -1, 0
	s_cmp_eq_u32 s6, 1
	s_cselect_b32 s38, -1, 0
	s_delay_alu instid0(SALU_CYCLE_1)
	s_and_b32 s6, s38, exec_lo
	s_cselect_b32 s7, s5, 0
	s_cselect_b32 s6, s4, 0
	s_xor_b32 s8, s38, -1
	v_dual_mov_b32 v3, s6 :: v_dual_mov_b32 v4, s7
	s_or_b32 s8, s8, s39
	s_delay_alu instid0(SALU_CYCLE_1)
	s_and_b32 vcc_lo, exec_lo, s8
	s_cbranch_vccnz .LBB117_2
; %bb.1:
	v_dual_mov_b32 v1, s4 :: v_dual_mov_b32 v2, s5
	flat_load_b64 v[3:4], v[1:2]
.LBB117_2:
	s_clause 0x4
	s_load_b64 s[34:35], s[0:1], 0x80
	s_load_b256 s[12:19], s[0:1], 0x58
	s_load_b128 s[24:27], s[0:1], 0x40
	s_load_b128 s[28:31], s[0:1], 0x8
	s_load_b256 s[4:11], s[0:1], 0x20
	s_bitcmp1_b32 s3, 8
	s_cselect_b32 s33, -1, 0
	s_delay_alu instid0(SALU_CYCLE_1)
	s_and_b32 s3, s33, exec_lo
	s_cselect_b32 s41, s37, 0
	s_cselect_b32 s40, s36, 0
	s_xor_b32 s3, s33, -1
	v_dual_mov_b32 v1, s40 :: v_dual_mov_b32 v2, s41
	s_or_b32 s3, s3, s39
	s_delay_alu instid0(SALU_CYCLE_1)
	s_and_b32 vcc_lo, exec_lo, s3
	s_cbranch_vccnz .LBB117_4
; %bb.3:
	v_dual_mov_b32 v1, s36 :: v_dual_mov_b32 v2, s37
	flat_load_b64 v[1:2], v[1:2]
.LBB117_4:
	s_load_b64 s[36:37], s[0:1], 0x0
	v_mov_b32_e32 v5, 0
	v_lshl_add_u32 v19, v0, 3, 0
	v_or_b32_e32 v20, 0xfffffc00, v0
	s_mov_b32 s0, 0
	s_delay_alu instid0(VALU_DEP_1)
	v_dual_mov_b32 v9, v19 :: v_dual_mov_b32 v10, v20
	s_waitcnt lgkmcnt(0)
	v_dual_mov_b32 v7, s36 :: v_dual_mov_b32 v8, s37
	v_mov_b32_e32 v6, v5
.LBB117_5:                              ; =>This Inner Loop Header: Depth=1
	s_delay_alu instid0(VALU_DEP_3)
	v_add_nc_u32_e32 v10, 0x400, v10
	v_add_nc_u32_e32 v11, 0x40000, v9
	ds_store_b64 v9, v[7:8]
	v_add_nc_u32_e32 v9, 0x2000, v9
	v_cmp_lt_u32_e32 vcc_lo, 0x7bff, v10
	ds_store_b64 v11, v[5:6]
	s_or_b32 s0, vcc_lo, s0
	s_delay_alu instid0(SALU_CYCLE_1)
	s_and_not1_b32 exec_lo, exec_lo, s0
	s_cbranch_execnz .LBB117_5
; %bb.6:
	s_or_b32 exec_lo, exec_lo, s0
	s_waitcnt vmcnt(0) lgkmcnt(0)
	s_barrier
	buffer_gl0_inv
	s_load_b64 s[0:1], s[28:29], 0x0
	s_mov_b32 s3, 0
	v_lshrrev_b32_e32 v21, 6, v0
	s_waitcnt lgkmcnt(0)
	s_lshl_b64 s[0:1], s[0:1], 3
	s_delay_alu instid0(SALU_CYCLE_1) | instskip(SKIP_2) | instid1(SALU_CYCLE_1)
	s_add_u32 s28, s30, s0
	s_addc_u32 s29, s31, s1
	s_lshl_b64 s[0:1], s[2:3], 3
	s_add_u32 s0, s28, s0
	s_addc_u32 s1, s29, s1
	s_and_b32 vcc_lo, exec_lo, s38
	s_load_b64 s[28:29], s[0:1], 0x0
	s_cbranch_vccz .LBB117_30
; %bb.7:
	s_waitcnt lgkmcnt(0)
	s_lshl_b64 s[0:1], s[28:29], 3
	s_delay_alu instid0(SALU_CYCLE_1)
	s_add_u32 s0, s4, s0
	s_addc_u32 s1, s5, s1
	v_sub_co_u32 v5, s4, v21, s20
	s_load_b128 s[0:3], s[0:1], 0x0
	v_sub_co_ci_u32_e64 v6, null, 0, 0, s4
	s_waitcnt lgkmcnt(0)
	s_delay_alu instid0(VALU_DEP_2) | instskip(NEXT) | instid1(VALU_DEP_2)
	v_add_co_u32 v5, vcc_lo, s0, v5
	v_add_co_ci_u32_e32 v6, vcc_lo, s1, v6, vcc_lo
	s_sub_u32 s0, s2, s20
	s_subb_u32 s1, s3, 0
	s_mov_b32 s2, exec_lo
	s_delay_alu instid0(VALU_DEP_1)
	v_cmpx_gt_i64_e64 s[0:1], v[5:6]
	s_cbranch_execz .LBB117_29
; %bb.8:
	v_and_b32_e32 v7, 63, v0
	s_mov_b32 s4, s21
	s_delay_alu instid0(VALU_DEP_1) | instskip(NEXT) | instid1(VALU_DEP_1)
	v_sub_co_u32 v22, s3, v7, s21
	v_sub_co_ci_u32_e64 v23, null, 0, 0, s3
	s_mov_b32 s3, 0
	s_branch .LBB117_10
.LBB117_9:                              ;   in Loop: Header=BB117_10 Depth=1
	s_or_b32 exec_lo, exec_lo, s5
	v_add_co_u32 v5, vcc_lo, v5, 16
	v_add_co_ci_u32_e32 v6, vcc_lo, 0, v6, vcc_lo
	s_delay_alu instid0(VALU_DEP_1) | instskip(SKIP_1) | instid1(SALU_CYCLE_1)
	v_cmp_le_i64_e32 vcc_lo, s[0:1], v[5:6]
	s_or_b32 s3, vcc_lo, s3
	s_and_not1_b32 exec_lo, exec_lo, s3
	s_cbranch_execz .LBB117_29
.LBB117_10:                             ; =>This Loop Header: Depth=1
                                        ;     Child Loop BB117_13 Depth 2
                                        ;       Child Loop BB117_15 Depth 3
                                        ;         Child Loop BB117_21 Depth 4
                                        ;         Child Loop BB117_27 Depth 4
	v_lshlrev_b64 v[11:12], 3, v[5:6]
	s_mov_b32 s5, exec_lo
	s_delay_alu instid0(VALU_DEP_1) | instskip(NEXT) | instid1(VALU_DEP_2)
	v_add_co_u32 v7, vcc_lo, s6, v11
	v_add_co_ci_u32_e32 v8, vcc_lo, s7, v12, vcc_lo
	global_load_b64 v[7:8], v[7:8], off
	s_waitcnt vmcnt(0)
	v_sub_co_u32 v7, vcc_lo, v7, s20
	v_subrev_co_ci_u32_e32 v8, vcc_lo, 0, v8, vcc_lo
	s_delay_alu instid0(VALU_DEP_1) | instskip(NEXT) | instid1(VALU_DEP_1)
	v_lshlrev_b64 v[7:8], 3, v[7:8]
	v_add_co_u32 v7, vcc_lo, s10, v7
	s_delay_alu instid0(VALU_DEP_2)
	v_add_co_ci_u32_e32 v8, vcc_lo, s11, v8, vcc_lo
	global_load_b128 v[13:16], v[7:8], off
	s_waitcnt vmcnt(0)
	v_sub_co_u32 v7, vcc_lo, v15, s4
	v_subrev_co_ci_u32_e32 v8, vcc_lo, 0, v16, vcc_lo
	v_add_co_u32 v9, vcc_lo, v13, v22
	v_add_co_ci_u32_e32 v10, vcc_lo, v14, v23, vcc_lo
	s_delay_alu instid0(VALU_DEP_1)
	v_cmpx_lt_i64_e64 v[9:10], v[7:8]
	s_cbranch_execz .LBB117_9
; %bb.11:                               ;   in Loop: Header=BB117_10 Depth=1
	v_add_co_u32 v11, vcc_lo, s8, v11
	v_add_co_ci_u32_e32 v12, vcc_lo, s9, v12, vcc_lo
	s_mov_b32 s21, 0
	global_load_b64 v[11:12], v[11:12], off
	s_waitcnt vmcnt(0)
	v_mul_f64 v[11:12], v[3:4], v[11:12]
	s_branch .LBB117_13
.LBB117_12:                             ;   in Loop: Header=BB117_13 Depth=2
	s_or_b32 exec_lo, exec_lo, s30
	v_add_co_u32 v9, vcc_lo, v9, 64
	v_add_co_ci_u32_e32 v10, vcc_lo, 0, v10, vcc_lo
	s_delay_alu instid0(VALU_DEP_1) | instskip(SKIP_1) | instid1(SALU_CYCLE_1)
	v_cmp_ge_i64_e32 vcc_lo, v[9:10], v[7:8]
	s_or_b32 s21, vcc_lo, s21
	s_and_not1_b32 exec_lo, exec_lo, s21
	s_cbranch_execz .LBB117_9
.LBB117_13:                             ;   Parent Loop BB117_10 Depth=1
                                        ; =>  This Loop Header: Depth=2
                                        ;       Child Loop BB117_15 Depth 3
                                        ;         Child Loop BB117_21 Depth 4
                                        ;         Child Loop BB117_27 Depth 4
	v_lshlrev_b64 v[13:14], 3, v[9:10]
	s_mov_b32 s30, 0
	s_delay_alu instid0(VALU_DEP_1) | instskip(NEXT) | instid1(VALU_DEP_2)
	v_add_co_u32 v15, vcc_lo, s26, v13
	v_add_co_ci_u32_e32 v16, vcc_lo, s27, v14, vcc_lo
	v_add_co_u32 v13, vcc_lo, s24, v13
	v_add_co_ci_u32_e32 v14, vcc_lo, s25, v14, vcc_lo
	global_load_b64 v[15:16], v[15:16], off
	global_load_b64 v[17:18], v[13:14], off
	s_waitcnt vmcnt(1)
	v_mul_f64 v[13:14], v[11:12], v[15:16]
	s_waitcnt vmcnt(0)
	v_sub_co_u32 v15, vcc_lo, v17, s4
	v_subrev_co_ci_u32_e32 v16, vcc_lo, 0, v18, vcc_lo
	s_delay_alu instid0(VALU_DEP_2) | instskip(NEXT) | instid1(VALU_DEP_1)
	v_mul_lo_u32 v17, 0x89, v15
	v_and_b32_e32 v24, 0x7fff, v17
	s_branch .LBB117_15
.LBB117_14:                             ;   in Loop: Header=BB117_15 Depth=3
	s_or_b32 exec_lo, exec_lo, s31
	s_xor_b32 s31, s38, -1
	s_delay_alu instid0(SALU_CYCLE_1) | instskip(NEXT) | instid1(SALU_CYCLE_1)
	s_and_b32 s31, exec_lo, s31
	s_or_b32 s30, s31, s30
	s_delay_alu instid0(SALU_CYCLE_1)
	s_and_not1_b32 exec_lo, exec_lo, s30
	s_cbranch_execz .LBB117_12
.LBB117_15:                             ;   Parent Loop BB117_10 Depth=1
                                        ;     Parent Loop BB117_13 Depth=2
                                        ; =>    This Loop Header: Depth=3
                                        ;         Child Loop BB117_21 Depth 4
                                        ;         Child Loop BB117_27 Depth 4
	s_delay_alu instid0(VALU_DEP_1)
	v_lshl_add_u32 v25, v24, 3, 0
	s_mov_b32 s31, exec_lo
                                        ; implicit-def: $sgpr38
	ds_load_b64 v[17:18], v25
	s_waitcnt lgkmcnt(0)
	v_cmpx_ne_u64_e64 v[17:18], v[15:16]
	s_xor_b32 s31, exec_lo, s31
	s_cbranch_execz .LBB117_25
; %bb.16:                               ;   in Loop: Header=BB117_15 Depth=3
	s_mov_b32 s39, exec_lo
                                        ; implicit-def: $sgpr38
	v_cmpx_ne_u64_e64 s[36:37], v[17:18]
	s_xor_b32 s39, exec_lo, s39
; %bb.17:                               ;   in Loop: Header=BB117_15 Depth=3
	v_add_nc_u32_e32 v17, 1, v24
	s_mov_b32 s38, -1
                                        ; implicit-def: $vgpr25
	s_delay_alu instid0(VALU_DEP_1)
	v_and_b32_e32 v24, 0x7fff, v17
; %bb.18:                               ;   in Loop: Header=BB117_15 Depth=3
	s_and_not1_saveexec_b32 s39, s39
	s_cbranch_execz .LBB117_24
; %bb.19:                               ;   in Loop: Header=BB117_15 Depth=3
	v_dual_mov_b32 v17, s36 :: v_dual_mov_b32 v18, s37
	s_mov_b32 s41, -1
	s_mov_b32 s40, exec_lo
	ds_cmpstore_rtn_b64 v[17:18], v25, v[15:16], v[17:18]
	s_waitcnt lgkmcnt(0)
	v_cmpx_eq_u64_e64 s[36:37], v[17:18]
	s_cbranch_execz .LBB117_23
; %bb.20:                               ;   in Loop: Header=BB117_15 Depth=3
	v_lshlrev_b32_e32 v17, 3, v24
	s_mov_b32 s41, 0
	s_delay_alu instid0(VALU_DEP_1)
	v_add3_u32 v25, 0, v17, 0x40000
	ds_load_b64 v[17:18], v25
.LBB117_21:                             ;   Parent Loop BB117_10 Depth=1
                                        ;     Parent Loop BB117_13 Depth=2
                                        ;       Parent Loop BB117_15 Depth=3
                                        ; =>      This Inner Loop Header: Depth=4
	s_waitcnt lgkmcnt(0)
	v_add_f64 v[26:27], v[17:18], v[13:14]
	ds_cmpstore_rtn_b64 v[26:27], v25, v[26:27], v[17:18]
	s_waitcnt lgkmcnt(0)
	v_cmp_eq_u64_e32 vcc_lo, v[26:27], v[17:18]
	v_dual_mov_b32 v17, v26 :: v_dual_mov_b32 v18, v27
	s_or_b32 s41, vcc_lo, s41
	s_delay_alu instid0(SALU_CYCLE_1)
	s_and_not1_b32 exec_lo, exec_lo, s41
	s_cbranch_execnz .LBB117_21
; %bb.22:                               ;   in Loop: Header=BB117_15 Depth=3
	s_or_b32 exec_lo, exec_lo, s41
	s_delay_alu instid0(SALU_CYCLE_1)
	s_xor_b32 s41, exec_lo, -1
.LBB117_23:                             ;   in Loop: Header=BB117_15 Depth=3
	s_or_b32 exec_lo, exec_lo, s40
	s_delay_alu instid0(SALU_CYCLE_1) | instskip(SKIP_1) | instid1(SALU_CYCLE_1)
	s_and_not1_b32 s38, s38, exec_lo
	s_and_b32 s40, s41, exec_lo
	s_or_b32 s38, s38, s40
.LBB117_24:                             ;   in Loop: Header=BB117_15 Depth=3
	s_or_b32 exec_lo, exec_lo, s39
	s_delay_alu instid0(SALU_CYCLE_1)
	s_and_b32 s38, s38, exec_lo
.LBB117_25:                             ;   in Loop: Header=BB117_15 Depth=3
	s_and_not1_saveexec_b32 s31, s31
	s_cbranch_execz .LBB117_14
; %bb.26:                               ;   in Loop: Header=BB117_15 Depth=3
	v_lshlrev_b32_e32 v17, 3, v24
	s_mov_b32 s39, 0
	s_delay_alu instid0(VALU_DEP_1)
	v_add3_u32 v25, 0, v17, 0x40000
	ds_load_b64 v[17:18], v25
.LBB117_27:                             ;   Parent Loop BB117_10 Depth=1
                                        ;     Parent Loop BB117_13 Depth=2
                                        ;       Parent Loop BB117_15 Depth=3
                                        ; =>      This Inner Loop Header: Depth=4
	s_waitcnt lgkmcnt(0)
	v_add_f64 v[26:27], v[17:18], v[13:14]
	ds_cmpstore_rtn_b64 v[26:27], v25, v[26:27], v[17:18]
	s_waitcnt lgkmcnt(0)
	v_cmp_eq_u64_e32 vcc_lo, v[26:27], v[17:18]
	v_dual_mov_b32 v17, v26 :: v_dual_mov_b32 v18, v27
	s_or_b32 s39, vcc_lo, s39
	s_delay_alu instid0(SALU_CYCLE_1)
	s_and_not1_b32 exec_lo, exec_lo, s39
	s_cbranch_execnz .LBB117_27
; %bb.28:                               ;   in Loop: Header=BB117_15 Depth=3
	s_or_b32 exec_lo, exec_lo, s39
	s_delay_alu instid0(SALU_CYCLE_1)
	s_and_not1_b32 s38, s38, exec_lo
	s_branch .LBB117_14
.LBB117_29:
	s_or_b32 exec_lo, exec_lo, s2
.LBB117_30:
	s_delay_alu instid0(SALU_CYCLE_1)
	s_and_not1_b32 vcc_lo, exec_lo, s33
	s_cbranch_vccnz .LBB117_51
; %bb.31:
	s_waitcnt lgkmcnt(0)
	s_lshl_b64 s[0:1], s[28:29], 3
	v_sub_co_u32 v3, s4, v0, s23
	s_add_u32 s0, s12, s0
	s_addc_u32 s1, s13, s1
	v_sub_co_ci_u32_e64 v4, null, 0, 0, s4
	s_load_b128 s[0:3], s[0:1], 0x0
	s_waitcnt lgkmcnt(0)
	v_add_co_u32 v3, vcc_lo, s0, v3
	s_delay_alu instid0(VALU_DEP_2)
	v_add_co_ci_u32_e32 v4, vcc_lo, s1, v4, vcc_lo
	s_sub_u32 s0, s2, s23
	s_subb_u32 s1, s3, 0
	s_mov_b32 s2, 0
	s_mov_b32 s3, exec_lo
	v_cmpx_gt_i64_e64 s[0:1], v[3:4]
	s_cbranch_execz .LBB117_50
; %bb.32:
	s_mov_b32 s4, s23
	s_branch .LBB117_34
.LBB117_33:                             ;   in Loop: Header=BB117_34 Depth=1
	s_or_b32 exec_lo, exec_lo, s5
	v_add_co_u32 v3, vcc_lo, 0x400, v3
	v_add_co_ci_u32_e32 v4, vcc_lo, 0, v4, vcc_lo
	s_delay_alu instid0(VALU_DEP_1) | instskip(SKIP_1) | instid1(SALU_CYCLE_1)
	v_cmp_le_i64_e32 vcc_lo, s[0:1], v[3:4]
	s_or_b32 s2, vcc_lo, s2
	s_and_not1_b32 exec_lo, exec_lo, s2
	s_cbranch_execz .LBB117_50
.LBB117_34:                             ; =>This Loop Header: Depth=1
                                        ;     Child Loop BB117_36 Depth 2
                                        ;       Child Loop BB117_42 Depth 3
                                        ;       Child Loop BB117_48 Depth 3
	v_lshlrev_b64 v[5:6], 3, v[3:4]
	s_mov_b32 s5, 0
	s_delay_alu instid0(VALU_DEP_1) | instskip(NEXT) | instid1(VALU_DEP_2)
	v_add_co_u32 v7, vcc_lo, s16, v5
	v_add_co_ci_u32_e32 v8, vcc_lo, s17, v6, vcc_lo
	v_add_co_u32 v5, vcc_lo, s14, v5
	v_add_co_ci_u32_e32 v6, vcc_lo, s15, v6, vcc_lo
	global_load_b64 v[7:8], v[7:8], off
	global_load_b64 v[9:10], v[5:6], off
	s_waitcnt vmcnt(1)
	v_mul_f64 v[5:6], v[1:2], v[7:8]
	s_waitcnt vmcnt(0)
	v_sub_co_u32 v7, vcc_lo, v9, s4
	v_subrev_co_ci_u32_e32 v8, vcc_lo, 0, v10, vcc_lo
	s_delay_alu instid0(VALU_DEP_2) | instskip(NEXT) | instid1(VALU_DEP_1)
	v_mul_lo_u32 v9, 0x89, v7
	v_and_b32_e32 v11, 0x7fff, v9
	s_branch .LBB117_36
.LBB117_35:                             ;   in Loop: Header=BB117_36 Depth=2
	s_or_b32 exec_lo, exec_lo, s6
	s_xor_b32 s6, s7, -1
	s_delay_alu instid0(SALU_CYCLE_1) | instskip(NEXT) | instid1(SALU_CYCLE_1)
	s_and_b32 s6, exec_lo, s6
	s_or_b32 s5, s6, s5
	s_delay_alu instid0(SALU_CYCLE_1)
	s_and_not1_b32 exec_lo, exec_lo, s5
	s_cbranch_execz .LBB117_33
.LBB117_36:                             ;   Parent Loop BB117_34 Depth=1
                                        ; =>  This Loop Header: Depth=2
                                        ;       Child Loop BB117_42 Depth 3
                                        ;       Child Loop BB117_48 Depth 3
	s_delay_alu instid0(VALU_DEP_1)
	v_lshl_add_u32 v12, v11, 3, 0
	s_mov_b32 s6, exec_lo
                                        ; implicit-def: $sgpr7
	ds_load_b64 v[9:10], v12
	s_waitcnt lgkmcnt(0)
	v_cmpx_ne_u64_e64 v[9:10], v[7:8]
	s_xor_b32 s6, exec_lo, s6
	s_cbranch_execz .LBB117_46
; %bb.37:                               ;   in Loop: Header=BB117_36 Depth=2
	s_mov_b32 s8, exec_lo
                                        ; implicit-def: $sgpr7
	v_cmpx_ne_u64_e64 s[36:37], v[9:10]
	s_xor_b32 s8, exec_lo, s8
; %bb.38:                               ;   in Loop: Header=BB117_36 Depth=2
	v_add_nc_u32_e32 v9, 1, v11
	s_mov_b32 s7, -1
                                        ; implicit-def: $vgpr12
	s_delay_alu instid0(VALU_DEP_1)
	v_and_b32_e32 v11, 0x7fff, v9
; %bb.39:                               ;   in Loop: Header=BB117_36 Depth=2
	s_and_not1_saveexec_b32 s8, s8
	s_cbranch_execz .LBB117_45
; %bb.40:                               ;   in Loop: Header=BB117_36 Depth=2
	v_dual_mov_b32 v9, s36 :: v_dual_mov_b32 v10, s37
	s_mov_b32 s10, -1
	s_mov_b32 s9, exec_lo
	ds_cmpstore_rtn_b64 v[9:10], v12, v[7:8], v[9:10]
	s_waitcnt lgkmcnt(0)
	v_cmpx_eq_u64_e64 s[36:37], v[9:10]
	s_cbranch_execz .LBB117_44
; %bb.41:                               ;   in Loop: Header=BB117_36 Depth=2
	v_lshlrev_b32_e32 v9, 3, v11
	s_mov_b32 s10, 0
	s_delay_alu instid0(VALU_DEP_1)
	v_add3_u32 v12, 0, v9, 0x40000
	ds_load_b64 v[9:10], v12
.LBB117_42:                             ;   Parent Loop BB117_34 Depth=1
                                        ;     Parent Loop BB117_36 Depth=2
                                        ; =>    This Inner Loop Header: Depth=3
	s_waitcnt lgkmcnt(0)
	v_add_f64 v[13:14], v[9:10], v[5:6]
	ds_cmpstore_rtn_b64 v[13:14], v12, v[13:14], v[9:10]
	s_waitcnt lgkmcnt(0)
	v_cmp_eq_u64_e32 vcc_lo, v[13:14], v[9:10]
	v_dual_mov_b32 v9, v13 :: v_dual_mov_b32 v10, v14
	s_or_b32 s10, vcc_lo, s10
	s_delay_alu instid0(SALU_CYCLE_1)
	s_and_not1_b32 exec_lo, exec_lo, s10
	s_cbranch_execnz .LBB117_42
; %bb.43:                               ;   in Loop: Header=BB117_36 Depth=2
	s_or_b32 exec_lo, exec_lo, s10
	s_delay_alu instid0(SALU_CYCLE_1)
	s_xor_b32 s10, exec_lo, -1
.LBB117_44:                             ;   in Loop: Header=BB117_36 Depth=2
	s_or_b32 exec_lo, exec_lo, s9
	s_delay_alu instid0(SALU_CYCLE_1) | instskip(SKIP_1) | instid1(SALU_CYCLE_1)
	s_and_not1_b32 s7, s7, exec_lo
	s_and_b32 s9, s10, exec_lo
	s_or_b32 s7, s7, s9
.LBB117_45:                             ;   in Loop: Header=BB117_36 Depth=2
	s_or_b32 exec_lo, exec_lo, s8
	s_delay_alu instid0(SALU_CYCLE_1)
	s_and_b32 s7, s7, exec_lo
.LBB117_46:                             ;   in Loop: Header=BB117_36 Depth=2
	s_and_not1_saveexec_b32 s6, s6
	s_cbranch_execz .LBB117_35
; %bb.47:                               ;   in Loop: Header=BB117_36 Depth=2
	v_lshlrev_b32_e32 v9, 3, v11
	s_mov_b32 s8, 0
	s_delay_alu instid0(VALU_DEP_1)
	v_add3_u32 v12, 0, v9, 0x40000
	ds_load_b64 v[9:10], v12
.LBB117_48:                             ;   Parent Loop BB117_34 Depth=1
                                        ;     Parent Loop BB117_36 Depth=2
                                        ; =>    This Inner Loop Header: Depth=3
	s_waitcnt lgkmcnt(0)
	v_add_f64 v[13:14], v[9:10], v[5:6]
	ds_cmpstore_rtn_b64 v[13:14], v12, v[13:14], v[9:10]
	s_waitcnt lgkmcnt(0)
	v_cmp_eq_u64_e32 vcc_lo, v[13:14], v[9:10]
	v_dual_mov_b32 v9, v13 :: v_dual_mov_b32 v10, v14
	s_or_b32 s8, vcc_lo, s8
	s_delay_alu instid0(SALU_CYCLE_1)
	s_and_not1_b32 exec_lo, exec_lo, s8
	s_cbranch_execnz .LBB117_48
; %bb.49:                               ;   in Loop: Header=BB117_36 Depth=2
	s_or_b32 exec_lo, exec_lo, s8
	s_delay_alu instid0(SALU_CYCLE_1)
	s_and_not1_b32 s7, s7, exec_lo
	s_branch .LBB117_35
.LBB117_50:
	s_or_b32 exec_lo, exec_lo, s3
.LBB117_51:
	v_mbcnt_lo_u32_b32 v1, -1, 0
	v_dual_mov_b32 v5, 0 :: v_dual_lshlrev_b32 v2, 3, v21
	s_add_i32 s39, 0, 0x80078
	v_cmp_eq_u32_e32 vcc_lo, 0x3ff, v0
	s_delay_alu instid0(VALU_DEP_3) | instskip(NEXT) | instid1(VALU_DEP_3)
	v_xor_b32_e32 v1, 63, v1
	v_add3_u32 v12, 0, 0x80000, v2
	v_cmp_lt_u32_e64 s0, 63, v0
	v_cmp_lt_u32_e64 s1, 0x7f, v0
	;; [unrolled: 1-line block ×3, first 2 shown]
	v_lshrrev_b64 v[1:2], v1, -1
	v_dual_mov_b32 v2, 0 :: v_dual_mov_b32 v13, s39
	v_cmp_lt_u32_e64 s3, 0xff, v0
	v_cmp_lt_u32_e64 s4, 0x13f, v0
	;; [unrolled: 1-line block ×12, first 2 shown]
	v_mov_b32_e32 v3, 0
	s_mov_b32 s17, 0
	s_add_i32 s20, 0, 0x80000
	s_add_i32 s21, 0, 0x80008
	;; [unrolled: 1-line block ×15, first 2 shown]
	s_waitcnt lgkmcnt(0)
	s_barrier
	buffer_gl0_inv
	s_branch .LBB117_53
.LBB117_52:                             ;   in Loop: Header=BB117_53 Depth=1
	s_or_b32 exec_lo, exec_lo, s15
	s_waitcnt lgkmcnt(0)
	s_barrier
	buffer_gl0_inv
	ds_load_b64 v[6:7], v13
	v_add_nc_u32_e32 v20, 0x400, v20
	v_add_nc_u32_e32 v19, 0x2000, v19
	s_delay_alu instid0(VALU_DEP_2) | instskip(NEXT) | instid1(VALU_DEP_1)
	v_cmp_lt_u32_e64 s15, 0x7bff, v20
	s_or_b32 s17, s15, s17
	s_waitcnt lgkmcnt(0)
	v_add_co_u32 v2, s16, v6, v2
	s_delay_alu instid0(VALU_DEP_1)
	v_add_co_ci_u32_e64 v3, s16, v7, v3, s16
	s_and_not1_b32 exec_lo, exec_lo, s17
	s_cbranch_execz .LBB117_87
.LBB117_53:                             ; =>This Inner Loop Header: Depth=1
	ds_load_b64 v[6:7], v19
	v_add_nc_u32_e32 v4, 0x40000, v19
	ds_load_b64 v[8:9], v4
	s_waitcnt lgkmcnt(0)
	s_barrier
	buffer_gl0_inv
	v_cmp_gt_i64_e64 s15, s[36:37], v[6:7]
	s_delay_alu instid0(VALU_DEP_1) | instskip(SKIP_1) | instid1(SALU_CYCLE_1)
	v_and_b32_e32 v10, s15, v1
	s_bcnt1_i32_b32 s16, s15
	v_mov_b32_e32 v4, s16
	s_delay_alu instid0(VALU_DEP_2)
	v_bcnt_u32_b32 v10, v10, 0
	ds_store_b64 v12, v[4:5]
	s_waitcnt lgkmcnt(0)
	s_barrier
	buffer_gl0_inv
	s_and_saveexec_b32 s16, s0
	s_cbranch_execnz .LBB117_70
; %bb.54:                               ;   in Loop: Header=BB117_53 Depth=1
	s_or_b32 exec_lo, exec_lo, s16
	s_and_saveexec_b32 s16, s1
	s_cbranch_execnz .LBB117_71
.LBB117_55:                             ;   in Loop: Header=BB117_53 Depth=1
	s_or_b32 exec_lo, exec_lo, s16
	s_and_saveexec_b32 s16, s2
	s_cbranch_execnz .LBB117_72
.LBB117_56:                             ;   in Loop: Header=BB117_53 Depth=1
	s_or_b32 exec_lo, exec_lo, s16
	s_and_saveexec_b32 s16, s3
	s_cbranch_execnz .LBB117_73
.LBB117_57:                             ;   in Loop: Header=BB117_53 Depth=1
	s_or_b32 exec_lo, exec_lo, s16
	s_and_saveexec_b32 s16, s4
	s_cbranch_execnz .LBB117_74
.LBB117_58:                             ;   in Loop: Header=BB117_53 Depth=1
	s_or_b32 exec_lo, exec_lo, s16
	s_and_saveexec_b32 s16, s5
	s_cbranch_execnz .LBB117_75
.LBB117_59:                             ;   in Loop: Header=BB117_53 Depth=1
	s_or_b32 exec_lo, exec_lo, s16
	s_and_saveexec_b32 s16, s6
	s_cbranch_execnz .LBB117_76
.LBB117_60:                             ;   in Loop: Header=BB117_53 Depth=1
	s_or_b32 exec_lo, exec_lo, s16
	s_and_saveexec_b32 s16, s7
	s_cbranch_execnz .LBB117_77
.LBB117_61:                             ;   in Loop: Header=BB117_53 Depth=1
	s_or_b32 exec_lo, exec_lo, s16
	s_and_saveexec_b32 s16, s8
	s_cbranch_execnz .LBB117_78
.LBB117_62:                             ;   in Loop: Header=BB117_53 Depth=1
	s_or_b32 exec_lo, exec_lo, s16
	s_and_saveexec_b32 s16, s9
	s_cbranch_execnz .LBB117_79
.LBB117_63:                             ;   in Loop: Header=BB117_53 Depth=1
	s_or_b32 exec_lo, exec_lo, s16
	s_and_saveexec_b32 s16, s10
	s_cbranch_execnz .LBB117_80
.LBB117_64:                             ;   in Loop: Header=BB117_53 Depth=1
	s_or_b32 exec_lo, exec_lo, s16
	s_and_saveexec_b32 s16, s11
	s_cbranch_execnz .LBB117_81
.LBB117_65:                             ;   in Loop: Header=BB117_53 Depth=1
	s_or_b32 exec_lo, exec_lo, s16
	s_and_saveexec_b32 s16, s12
	s_cbranch_execnz .LBB117_82
.LBB117_66:                             ;   in Loop: Header=BB117_53 Depth=1
	s_or_b32 exec_lo, exec_lo, s16
	s_and_saveexec_b32 s16, s13
	s_cbranch_execnz .LBB117_83
.LBB117_67:                             ;   in Loop: Header=BB117_53 Depth=1
	s_or_b32 exec_lo, exec_lo, s16
	s_and_saveexec_b32 s16, s14
	s_cbranch_execnz .LBB117_84
.LBB117_68:                             ;   in Loop: Header=BB117_53 Depth=1
	s_or_b32 exec_lo, exec_lo, s16
	v_ashrrev_i32_e32 v11, 31, v10
	s_and_saveexec_b32 s16, s15
	s_cbranch_execnz .LBB117_85
.LBB117_69:                             ;   in Loop: Header=BB117_53 Depth=1
	s_or_b32 exec_lo, exec_lo, s16
	s_and_saveexec_b32 s15, vcc_lo
	s_cbranch_execz .LBB117_52
	s_branch .LBB117_86
.LBB117_70:                             ;   in Loop: Header=BB117_53 Depth=1
	v_mov_b32_e32 v4, s20
	ds_load_b32 v4, v4
	s_waitcnt lgkmcnt(0)
	v_add_nc_u32_e32 v10, v4, v10
	s_or_b32 exec_lo, exec_lo, s16
	s_and_saveexec_b32 s16, s1
	s_cbranch_execz .LBB117_55
.LBB117_71:                             ;   in Loop: Header=BB117_53 Depth=1
	v_mov_b32_e32 v4, s21
	ds_load_b32 v4, v4
	s_waitcnt lgkmcnt(0)
	v_add_nc_u32_e32 v10, v10, v4
	s_or_b32 exec_lo, exec_lo, s16
	s_and_saveexec_b32 s16, s2
	s_cbranch_execz .LBB117_56
.LBB117_72:                             ;   in Loop: Header=BB117_53 Depth=1
	v_mov_b32_e32 v4, s23
	ds_load_b32 v4, v4
	s_waitcnt lgkmcnt(0)
	v_add_nc_u32_e32 v10, v10, v4
	s_or_b32 exec_lo, exec_lo, s16
	s_and_saveexec_b32 s16, s3
	s_cbranch_execz .LBB117_57
.LBB117_73:                             ;   in Loop: Header=BB117_53 Depth=1
	v_mov_b32_e32 v4, s24
	ds_load_b32 v4, v4
	s_waitcnt lgkmcnt(0)
	v_add_nc_u32_e32 v10, v10, v4
	s_or_b32 exec_lo, exec_lo, s16
	s_and_saveexec_b32 s16, s4
	s_cbranch_execz .LBB117_58
.LBB117_74:                             ;   in Loop: Header=BB117_53 Depth=1
	v_mov_b32_e32 v4, s25
	ds_load_b32 v4, v4
	s_waitcnt lgkmcnt(0)
	v_add_nc_u32_e32 v10, v10, v4
	s_or_b32 exec_lo, exec_lo, s16
	s_and_saveexec_b32 s16, s5
	s_cbranch_execz .LBB117_59
.LBB117_75:                             ;   in Loop: Header=BB117_53 Depth=1
	v_mov_b32_e32 v4, s26
	ds_load_b32 v4, v4
	s_waitcnt lgkmcnt(0)
	v_add_nc_u32_e32 v10, v10, v4
	s_or_b32 exec_lo, exec_lo, s16
	s_and_saveexec_b32 s16, s6
	s_cbranch_execz .LBB117_60
.LBB117_76:                             ;   in Loop: Header=BB117_53 Depth=1
	v_mov_b32_e32 v4, s27
	ds_load_b32 v4, v4
	s_waitcnt lgkmcnt(0)
	v_add_nc_u32_e32 v10, v10, v4
	s_or_b32 exec_lo, exec_lo, s16
	s_and_saveexec_b32 s16, s7
	s_cbranch_execz .LBB117_61
.LBB117_77:                             ;   in Loop: Header=BB117_53 Depth=1
	v_mov_b32_e32 v4, s30
	ds_load_b32 v4, v4
	s_waitcnt lgkmcnt(0)
	v_add_nc_u32_e32 v10, v10, v4
	s_or_b32 exec_lo, exec_lo, s16
	s_and_saveexec_b32 s16, s8
	s_cbranch_execz .LBB117_62
.LBB117_78:                             ;   in Loop: Header=BB117_53 Depth=1
	v_mov_b32_e32 v4, s31
	ds_load_b32 v4, v4
	s_waitcnt lgkmcnt(0)
	v_add_nc_u32_e32 v10, v10, v4
	s_or_b32 exec_lo, exec_lo, s16
	s_and_saveexec_b32 s16, s9
	s_cbranch_execz .LBB117_63
.LBB117_79:                             ;   in Loop: Header=BB117_53 Depth=1
	v_mov_b32_e32 v4, s33
	ds_load_b32 v4, v4
	s_waitcnt lgkmcnt(0)
	v_add_nc_u32_e32 v10, v10, v4
	s_or_b32 exec_lo, exec_lo, s16
	s_and_saveexec_b32 s16, s10
	s_cbranch_execz .LBB117_64
.LBB117_80:                             ;   in Loop: Header=BB117_53 Depth=1
	v_mov_b32_e32 v4, s38
	ds_load_b32 v4, v4
	s_waitcnt lgkmcnt(0)
	v_add_nc_u32_e32 v10, v10, v4
	s_or_b32 exec_lo, exec_lo, s16
	s_and_saveexec_b32 s16, s11
	s_cbranch_execz .LBB117_65
.LBB117_81:                             ;   in Loop: Header=BB117_53 Depth=1
	v_mov_b32_e32 v4, s40
	ds_load_b32 v4, v4
	s_waitcnt lgkmcnt(0)
	v_add_nc_u32_e32 v10, v10, v4
	s_or_b32 exec_lo, exec_lo, s16
	s_and_saveexec_b32 s16, s12
	s_cbranch_execz .LBB117_66
.LBB117_82:                             ;   in Loop: Header=BB117_53 Depth=1
	v_mov_b32_e32 v4, s41
	ds_load_b32 v4, v4
	s_waitcnt lgkmcnt(0)
	v_add_nc_u32_e32 v10, v10, v4
	s_or_b32 exec_lo, exec_lo, s16
	s_and_saveexec_b32 s16, s13
	s_cbranch_execz .LBB117_67
.LBB117_83:                             ;   in Loop: Header=BB117_53 Depth=1
	v_mov_b32_e32 v4, s42
	ds_load_b32 v4, v4
	s_waitcnt lgkmcnt(0)
	v_add_nc_u32_e32 v10, v10, v4
	s_or_b32 exec_lo, exec_lo, s16
	s_and_saveexec_b32 s16, s14
	s_cbranch_execz .LBB117_68
.LBB117_84:                             ;   in Loop: Header=BB117_53 Depth=1
	v_mov_b32_e32 v4, s43
	ds_load_b32 v4, v4
	s_waitcnt lgkmcnt(0)
	v_add_nc_u32_e32 v10, v10, v4
	s_or_b32 exec_lo, exec_lo, s16
	s_delay_alu instid0(VALU_DEP_1)
	v_ashrrev_i32_e32 v11, 31, v10
	s_and_saveexec_b32 s16, s15
	s_cbranch_execz .LBB117_69
.LBB117_85:                             ;   in Loop: Header=BB117_53 Depth=1
	v_add3_u32 v4, v2, -1, v10
	s_delay_alu instid0(VALU_DEP_1) | instskip(NEXT) | instid1(VALU_DEP_1)
	v_lshl_add_u32 v4, v4, 3, 0
	v_add_nc_u32_e32 v14, 0x40000, v4
	ds_store_b64 v4, v[6:7]
	ds_store_b64 v14, v[8:9]
	s_or_b32 exec_lo, exec_lo, s16
	s_and_saveexec_b32 s15, vcc_lo
	s_cbranch_execz .LBB117_52
.LBB117_86:                             ;   in Loop: Header=BB117_53 Depth=1
	v_mov_b32_e32 v4, s39
	ds_store_b64 v4, v[10:11]
	s_branch .LBB117_52
.LBB117_87:
	s_or_b32 exec_lo, exec_lo, s17
	s_lshl_b64 s[0:1], s[28:29], 3
	v_mov_b32_e32 v1, 0
	s_add_u32 s0, s18, s0
	s_addc_u32 s1, s19, s1
	s_mov_b32 s6, exec_lo
	s_load_b128 s[0:3], s[0:1], 0x0
	s_waitcnt lgkmcnt(0)
	s_sub_u32 s4, s2, s0
	s_subb_u32 s5, s3, s1
	s_delay_alu instid0(SALU_CYCLE_1)
	v_cmpx_gt_i64_e64 s[4:5], v[0:1]
	s_cbranch_execz .LBB117_97
; %bb.88:
	s_sub_u32 s8, s0, s22
	s_subb_u32 s9, s1, 0
	s_and_b32 s6, s4, 7
	s_sub_u32 s0, s0, s2
	s_subb_u32 s1, s1, s3
	s_mov_b32 s7, 0
	v_cmp_lt_u64_e64 s12, s[0:1], -7
	s_and_b32 s2, s4, -8
	s_cmp_lg_u64 s[6:7], 0
	s_mov_b32 s3, s5
	s_cselect_b32 s13, -1, 0
	s_mov_b32 s14, s7
	s_branch .LBB117_90
.LBB117_89:                             ;   in Loop: Header=BB117_90 Depth=1
	v_add_co_u32 v0, vcc_lo, 0x400, v0
	v_add_co_ci_u32_e32 v1, vcc_lo, 0, v1, vcc_lo
	s_waitcnt lgkmcnt(1)
	v_lshlrev_b64 v[4:5], 3, v[6:7]
	s_delay_alu instid0(VALU_DEP_2) | instskip(NEXT) | instid1(VALU_DEP_2)
	v_cmp_le_i64_e32 vcc_lo, s[4:5], v[0:1]
	v_add_co_u32 v4, s0, s34, v4
	s_delay_alu instid0(VALU_DEP_1)
	v_add_co_ci_u32_e64 v5, s0, s35, v5, s0
	s_or_b32 s14, vcc_lo, s14
	s_waitcnt lgkmcnt(0)
	global_store_b64 v[4:5], v[2:3], off
	s_and_not1_b32 exec_lo, exec_lo, s14
	s_cbranch_execz .LBB117_97
.LBB117_90:                             ; =>This Loop Header: Depth=1
                                        ;     Child Loop BB117_92 Depth 2
                                        ;     Child Loop BB117_96 Depth 2
	v_lshl_add_u32 v2, v0, 3, 0
	s_and_not1_b32 vcc_lo, exec_lo, s12
	s_mov_b64 s[0:1], 0
	v_dual_mov_b32 v6, s8 :: v_dual_mov_b32 v7, s9
	s_delay_alu instid0(VALU_DEP_2)
	v_add_nc_u32_e32 v3, 0x40000, v2
	ds_load_b64 v[4:5], v2
	ds_load_b64 v[2:3], v3
	s_cbranch_vccnz .LBB117_94
; %bb.91:                               ;   in Loop: Header=BB117_90 Depth=1
	v_dual_mov_b32 v6, s8 :: v_dual_mov_b32 v7, s9
	s_mov_b64 s[10:11], 0
	s_mov_b32 s1, 0
.LBB117_92:                             ;   Parent Loop BB117_90 Depth=1
                                        ; =>  This Inner Loop Header: Depth=2
	s_delay_alu instid0(SALU_CYCLE_1)
	v_mov_b32_e32 v20, s1
	s_add_u32 s10, s10, 8
	s_addc_u32 s11, s11, 0
	s_add_i32 s1, s1, 64
	s_cmp_eq_u64 s[2:3], s[10:11]
	ds_load_2addr_b64 v[8:11], v20 offset1:1
	ds_load_2addr_b64 v[12:15], v20 offset0:2 offset1:3
	ds_load_2addr_b64 v[16:19], v20 offset0:4 offset1:5
	ds_load_2addr_b64 v[20:23], v20 offset0:6 offset1:7
	s_waitcnt lgkmcnt(3)
	v_cmp_gt_i64_e32 vcc_lo, v[4:5], v[8:9]
	v_cndmask_b32_e64 v8, 0, 1, vcc_lo
	v_cmp_gt_i64_e32 vcc_lo, v[4:5], v[10:11]
	v_cndmask_b32_e64 v9, 0, 1, vcc_lo
	s_waitcnt lgkmcnt(2)
	v_cmp_gt_i64_e32 vcc_lo, v[4:5], v[12:13]
	v_cndmask_b32_e64 v10, 0, 1, vcc_lo
	v_cmp_gt_i64_e32 vcc_lo, v[4:5], v[14:15]
	v_cndmask_b32_e64 v11, 0, 1, vcc_lo
	s_waitcnt lgkmcnt(1)
	v_cmp_gt_i64_e32 vcc_lo, v[4:5], v[16:17]
	v_cndmask_b32_e64 v12, 0, 1, vcc_lo
	v_add_co_u32 v6, vcc_lo, v6, v8
	v_add_co_ci_u32_e32 v7, vcc_lo, 0, v7, vcc_lo
	v_cmp_gt_i64_e32 vcc_lo, v[4:5], v[18:19]
	s_delay_alu instid0(VALU_DEP_3) | instskip(NEXT) | instid1(VALU_DEP_1)
	v_add_co_u32 v6, s0, v6, v9
	v_add_co_ci_u32_e64 v7, s0, 0, v7, s0
	v_cndmask_b32_e64 v8, 0, 1, vcc_lo
	s_delay_alu instid0(VALU_DEP_3) | instskip(NEXT) | instid1(VALU_DEP_3)
	v_add_co_u32 v6, vcc_lo, v6, v10
	v_add_co_ci_u32_e32 v7, vcc_lo, 0, v7, vcc_lo
	s_waitcnt lgkmcnt(0)
	v_cmp_gt_i64_e32 vcc_lo, v[4:5], v[20:21]
	s_delay_alu instid0(VALU_DEP_3) | instskip(NEXT) | instid1(VALU_DEP_1)
	v_add_co_u32 v6, s0, v6, v11
	v_add_co_ci_u32_e64 v7, s0, 0, v7, s0
	v_cndmask_b32_e64 v9, 0, 1, vcc_lo
	s_delay_alu instid0(VALU_DEP_3) | instskip(NEXT) | instid1(VALU_DEP_3)
	v_add_co_u32 v6, vcc_lo, v6, v12
	v_add_co_ci_u32_e32 v7, vcc_lo, 0, v7, vcc_lo
	v_cmp_gt_i64_e32 vcc_lo, v[4:5], v[22:23]
	s_delay_alu instid0(VALU_DEP_3) | instskip(NEXT) | instid1(VALU_DEP_1)
	v_add_co_u32 v6, s0, v6, v8
	v_add_co_ci_u32_e64 v7, s0, 0, v7, s0
	v_cndmask_b32_e64 v8, 0, 1, vcc_lo
	s_delay_alu instid0(VALU_DEP_3) | instskip(NEXT) | instid1(VALU_DEP_3)
	v_add_co_u32 v6, vcc_lo, v6, v9
	v_add_co_ci_u32_e32 v7, vcc_lo, 0, v7, vcc_lo
	s_delay_alu instid0(VALU_DEP_2) | instskip(NEXT) | instid1(VALU_DEP_2)
	v_add_co_u32 v6, vcc_lo, v6, v8
	v_add_co_ci_u32_e32 v7, vcc_lo, 0, v7, vcc_lo
	s_cbranch_scc0 .LBB117_92
; %bb.93:                               ;   in Loop: Header=BB117_90 Depth=1
	s_mov_b64 s[0:1], s[2:3]
.LBB117_94:                             ;   in Loop: Header=BB117_90 Depth=1
	s_and_not1_b32 vcc_lo, exec_lo, s13
	s_cbranch_vccnz .LBB117_89
; %bb.95:                               ;   in Loop: Header=BB117_90 Depth=1
	s_lshl_b32 s0, s0, 3
	s_delay_alu instid0(SALU_CYCLE_1)
	s_add_i32 s10, s0, 0
	s_mov_b64 s[0:1], s[6:7]
.LBB117_96:                             ;   Parent Loop BB117_90 Depth=1
                                        ; =>  This Inner Loop Header: Depth=2
	v_mov_b32_e32 v8, s10
	s_add_i32 s10, s10, 8
	s_add_u32 s0, s0, -1
	s_addc_u32 s1, s1, -1
	s_delay_alu instid0(SALU_CYCLE_1) | instskip(SKIP_4) | instid1(VALU_DEP_1)
	s_cmp_lg_u64 s[0:1], 0
	ds_load_b64 v[8:9], v8
	s_waitcnt lgkmcnt(0)
	v_cmp_gt_i64_e32 vcc_lo, v[4:5], v[8:9]
	v_cndmask_b32_e64 v8, 0, 1, vcc_lo
	v_add_co_u32 v6, vcc_lo, v6, v8
	v_add_co_ci_u32_e32 v7, vcc_lo, 0, v7, vcc_lo
	s_cbranch_scc1 .LBB117_96
	s_branch .LBB117_89
.LBB117_97:
	s_nop 0
	s_sendmsg sendmsg(MSG_DEALLOC_VGPRS)
	s_endpgm
	.section	.rodata,"a",@progbits
	.p2align	6, 0x0
	.amdhsa_kernel _ZN9rocsparseL41csrgemm_numeric_fill_block_per_row_kernelILj1024ELj64ELj32768ELj137ELj64ElldEEvT5_PKS1_S3_NS_24const_host_device_scalarIT6_EEPKT4_S3_PKS5_S9_S3_SB_S6_S9_S3_SB_S9_S3_PS5_21rocsparse_index_base_SD_SD_SD_bbb
		.amdhsa_group_segment_fixed_size 0
		.amdhsa_private_segment_fixed_size 0
		.amdhsa_kernarg_size 156
		.amdhsa_user_sgpr_count 15
		.amdhsa_user_sgpr_dispatch_ptr 0
		.amdhsa_user_sgpr_queue_ptr 0
		.amdhsa_user_sgpr_kernarg_segment_ptr 1
		.amdhsa_user_sgpr_dispatch_id 0
		.amdhsa_user_sgpr_private_segment_size 0
		.amdhsa_wavefront_size32 1
		.amdhsa_uses_dynamic_stack 0
		.amdhsa_enable_private_segment 0
		.amdhsa_system_sgpr_workgroup_id_x 1
		.amdhsa_system_sgpr_workgroup_id_y 0
		.amdhsa_system_sgpr_workgroup_id_z 0
		.amdhsa_system_sgpr_workgroup_info 0
		.amdhsa_system_vgpr_workitem_id 0
		.amdhsa_next_free_vgpr 28
		.amdhsa_next_free_sgpr 44
		.amdhsa_reserve_vcc 1
		.amdhsa_float_round_mode_32 0
		.amdhsa_float_round_mode_16_64 0
		.amdhsa_float_denorm_mode_32 3
		.amdhsa_float_denorm_mode_16_64 3
		.amdhsa_dx10_clamp 1
		.amdhsa_ieee_mode 1
		.amdhsa_fp16_overflow 0
		.amdhsa_workgroup_processor_mode 1
		.amdhsa_memory_ordered 1
		.amdhsa_forward_progress 0
		.amdhsa_shared_vgpr_count 0
		.amdhsa_exception_fp_ieee_invalid_op 0
		.amdhsa_exception_fp_denorm_src 0
		.amdhsa_exception_fp_ieee_div_zero 0
		.amdhsa_exception_fp_ieee_overflow 0
		.amdhsa_exception_fp_ieee_underflow 0
		.amdhsa_exception_fp_ieee_inexact 0
		.amdhsa_exception_int_div_zero 0
	.end_amdhsa_kernel
	.section	.text._ZN9rocsparseL41csrgemm_numeric_fill_block_per_row_kernelILj1024ELj64ELj32768ELj137ELj64ElldEEvT5_PKS1_S3_NS_24const_host_device_scalarIT6_EEPKT4_S3_PKS5_S9_S3_SB_S6_S9_S3_SB_S9_S3_PS5_21rocsparse_index_base_SD_SD_SD_bbb,"axG",@progbits,_ZN9rocsparseL41csrgemm_numeric_fill_block_per_row_kernelILj1024ELj64ELj32768ELj137ELj64ElldEEvT5_PKS1_S3_NS_24const_host_device_scalarIT6_EEPKT4_S3_PKS5_S9_S3_SB_S6_S9_S3_SB_S9_S3_PS5_21rocsparse_index_base_SD_SD_SD_bbb,comdat
.Lfunc_end117:
	.size	_ZN9rocsparseL41csrgemm_numeric_fill_block_per_row_kernelILj1024ELj64ELj32768ELj137ELj64ElldEEvT5_PKS1_S3_NS_24const_host_device_scalarIT6_EEPKT4_S3_PKS5_S9_S3_SB_S6_S9_S3_SB_S9_S3_PS5_21rocsparse_index_base_SD_SD_SD_bbb, .Lfunc_end117-_ZN9rocsparseL41csrgemm_numeric_fill_block_per_row_kernelILj1024ELj64ELj32768ELj137ELj64ElldEEvT5_PKS1_S3_NS_24const_host_device_scalarIT6_EEPKT4_S3_PKS5_S9_S3_SB_S6_S9_S3_SB_S9_S3_PS5_21rocsparse_index_base_SD_SD_SD_bbb
                                        ; -- End function
	.section	.AMDGPU.csdata,"",@progbits
; Kernel info:
; codeLenInByte = 4032
; NumSgprs: 46
; NumVgprs: 28
; ScratchSize: 0
; MemoryBound: 0
; FloatMode: 240
; IeeeMode: 1
; LDSByteSize: 0 bytes/workgroup (compile time only)
; SGPRBlocks: 5
; VGPRBlocks: 3
; NumSGPRsForWavesPerEU: 46
; NumVGPRsForWavesPerEU: 28
; Occupancy: 16
; WaveLimiterHint : 1
; COMPUTE_PGM_RSRC2:SCRATCH_EN: 0
; COMPUTE_PGM_RSRC2:USER_SGPR: 15
; COMPUTE_PGM_RSRC2:TRAP_HANDLER: 0
; COMPUTE_PGM_RSRC2:TGID_X_EN: 1
; COMPUTE_PGM_RSRC2:TGID_Y_EN: 0
; COMPUTE_PGM_RSRC2:TGID_Z_EN: 0
; COMPUTE_PGM_RSRC2:TIDIG_COMP_CNT: 0
	.section	.text._ZN9rocsparseL51csrgemm_numeric_fill_block_per_row_multipass_kernelILj512ELj16ELj2048ELj32ElldEEvT4_PKS1_S3_NS_24const_host_device_scalarIT5_EEPKT3_S3_PKS5_S9_S3_SB_S6_S9_S3_SB_S9_S3_PS5_PS7_21rocsparse_index_base_SE_SE_SE_bbb,"axG",@progbits,_ZN9rocsparseL51csrgemm_numeric_fill_block_per_row_multipass_kernelILj512ELj16ELj2048ELj32ElldEEvT4_PKS1_S3_NS_24const_host_device_scalarIT5_EEPKT3_S3_PKS5_S9_S3_SB_S6_S9_S3_SB_S9_S3_PS5_PS7_21rocsparse_index_base_SE_SE_SE_bbb,comdat
	.globl	_ZN9rocsparseL51csrgemm_numeric_fill_block_per_row_multipass_kernelILj512ELj16ELj2048ELj32ElldEEvT4_PKS1_S3_NS_24const_host_device_scalarIT5_EEPKT3_S3_PKS5_S9_S3_SB_S6_S9_S3_SB_S9_S3_PS5_PS7_21rocsparse_index_base_SE_SE_SE_bbb ; -- Begin function _ZN9rocsparseL51csrgemm_numeric_fill_block_per_row_multipass_kernelILj512ELj16ELj2048ELj32ElldEEvT4_PKS1_S3_NS_24const_host_device_scalarIT5_EEPKT3_S3_PKS5_S9_S3_SB_S6_S9_S3_SB_S9_S3_PS5_PS7_21rocsparse_index_base_SE_SE_SE_bbb
	.p2align	8
	.type	_ZN9rocsparseL51csrgemm_numeric_fill_block_per_row_multipass_kernelILj512ELj16ELj2048ELj32ElldEEvT4_PKS1_S3_NS_24const_host_device_scalarIT5_EEPKT3_S3_PKS5_S9_S3_SB_S6_S9_S3_SB_S9_S3_PS5_PS7_21rocsparse_index_base_SE_SE_SE_bbb,@function
_ZN9rocsparseL51csrgemm_numeric_fill_block_per_row_multipass_kernelILj512ELj16ELj2048ELj32ElldEEvT4_PKS1_S3_NS_24const_host_device_scalarIT5_EEPKT3_S3_PKS5_S9_S3_SB_S6_S9_S3_SB_S9_S3_PS5_PS7_21rocsparse_index_base_SE_SE_SE_bbb: ; @_ZN9rocsparseL51csrgemm_numeric_fill_block_per_row_multipass_kernelILj512ELj16ELj2048ELj32ElldEEvT4_PKS1_S3_NS_24const_host_device_scalarIT5_EEPKT3_S3_PKS5_S9_S3_SB_S6_S9_S3_SB_S9_S3_PS5_PS7_21rocsparse_index_base_SE_SE_SE_bbb
; %bb.0:
	s_clause 0x4
	s_load_b32 s3, s[0:1], 0xa0
	s_load_b64 s[8:9], s[0:1], 0x18
	s_load_b128 s[4:7], s[0:1], 0x8
	s_load_b128 s[28:31], s[0:1], 0x90
	s_load_b64 s[10:11], s[0:1], 0x50
	s_mov_b32 s2, s15
	s_waitcnt lgkmcnt(0)
	s_and_b32 s13, 1, s3
	s_bitcmp1_b32 s3, 16
	s_cselect_b32 s12, -1, 0
	s_cmp_eq_u32 s13, 1
	s_cselect_b32 s18, -1, 0
	s_delay_alu instid0(SALU_CYCLE_1)
	s_and_b32 s13, s18, exec_lo
	s_cselect_b32 s15, s9, 0
	s_cselect_b32 s14, s8, 0
	s_xor_b32 s13, s18, -1
	v_dual_mov_b32 v1, s14 :: v_dual_mov_b32 v2, s15
	s_or_b32 s13, s13, s12
	s_delay_alu instid0(SALU_CYCLE_1)
	s_and_b32 vcc_lo, exec_lo, s13
	s_cbranch_vccnz .LBB118_2
; %bb.1:
	v_dual_mov_b32 v1, s8 :: v_dual_mov_b32 v2, s9
	flat_load_b64 v[1:2], v[1:2]
.LBB118_2:
	s_load_b64 s[8:9], s[0:1], 0x20
	s_bitcmp1_b32 s3, 8
	s_cselect_b32 s33, -1, 0
	s_delay_alu instid0(SALU_CYCLE_1)
	s_and_b32 s3, s33, exec_lo
	s_cselect_b32 s15, s11, 0
	s_cselect_b32 s14, s10, 0
	s_xor_b32 s3, s33, -1
	v_dual_mov_b32 v3, s14 :: v_dual_mov_b32 v4, s15
	s_or_b32 s3, s3, s12
	s_delay_alu instid0(SALU_CYCLE_1)
	s_and_b32 vcc_lo, exec_lo, s3
	s_cbranch_vccnz .LBB118_4
; %bb.3:
	v_dual_mov_b32 v3, s10 :: v_dual_mov_b32 v4, s11
	flat_load_b64 v[3:4], v[3:4]
.LBB118_4:
	s_load_b64 s[4:5], s[4:5], 0x0
	s_mov_b32 s3, 0
	s_mov_b64 s[34:35], 0
	s_waitcnt lgkmcnt(0)
	s_lshl_b64 s[4:5], s[4:5], 3
	s_delay_alu instid0(SALU_CYCLE_1) | instskip(SKIP_2) | instid1(SALU_CYCLE_1)
	s_add_u32 s4, s6, s4
	s_addc_u32 s5, s7, s5
	s_lshl_b64 s[2:3], s[2:3], 3
	s_add_u32 s2, s4, s2
	s_addc_u32 s3, s5, s3
	s_and_not1_b32 vcc_lo, exec_lo, s18
	s_load_b64 s[4:5], s[2:3], 0x0
	s_mov_b64 s[2:3], 0
	s_cbranch_vccz .LBB118_7
; %bb.5:
	s_and_not1_b32 vcc_lo, exec_lo, s18
	s_cbranch_vccz .LBB118_8
.LBB118_6:
	s_load_b64 s[48:49], s[0:1], 0x0
	s_waitcnt lgkmcnt(0)
	v_cmp_lt_i64_e64 s6, s[48:49], 1
	s_delay_alu instid0(VALU_DEP_1)
	s_and_b32 vcc_lo, exec_lo, s6
	s_cbranch_vccz .LBB118_9
	s_branch .LBB118_67
.LBB118_7:
	s_waitcnt lgkmcnt(0)
	s_lshl_b64 s[2:3], s[4:5], 3
	s_delay_alu instid0(SALU_CYCLE_1)
	s_add_u32 s2, s8, s2
	s_addc_u32 s3, s9, s3
	s_load_b64 s[2:3], s[2:3], 0x0
	s_waitcnt lgkmcnt(0)
	s_sub_u32 s2, s2, s28
	s_subb_u32 s3, s3, 0
	s_and_not1_b32 vcc_lo, exec_lo, s18
	s_cbranch_vccnz .LBB118_6
.LBB118_8:
	s_waitcnt lgkmcnt(0)
	s_lshl_b64 s[6:7], s[4:5], 3
	s_delay_alu instid0(SALU_CYCLE_1)
	s_add_u32 s6, s8, s6
	s_addc_u32 s7, s9, s7
	s_load_b64 s[6:7], s[6:7], 0x8
	s_waitcnt lgkmcnt(0)
	s_sub_u32 s34, s6, s28
	s_subb_u32 s35, s7, 0
	s_load_b64 s[48:49], s[0:1], 0x0
	s_waitcnt lgkmcnt(0)
	v_cmp_lt_i64_e64 s6, s[48:49], 1
	s_delay_alu instid0(VALU_DEP_1)
	s_and_b32 vcc_lo, exec_lo, s6
	s_cbranch_vccnz .LBB118_67
.LBB118_9:
	s_clause 0x3
	s_load_b256 s[20:27], s[0:1], 0x58
	s_load_b128 s[44:47], s[0:1], 0x80
	s_load_b64 s[50:51], s[0:1], 0x48
	s_load_b256 s[36:43], s[0:1], 0x28
	v_lshrrev_b32_e32 v6, 4, v0
	v_mbcnt_lo_u32_b32 v9, -1, 0
	v_sub_co_u32 v37, s1, v0, s31
	s_delay_alu instid0(VALU_DEP_1) | instskip(NEXT) | instid1(VALU_DEP_4)
	v_sub_co_ci_u32_e64 v38, null, 0, 0, s1
	v_add_co_u32 v7, s1, s2, v6
	s_delay_alu instid0(VALU_DEP_4) | instskip(SKIP_3) | instid1(VALU_DEP_3)
	v_xor_b32_e32 v6, 8, v9
	s_lshl_b64 s[4:5], s[4:5], 3
	v_xor_b32_e32 v10, 4, v9
	v_add_co_ci_u32_e64 v8, null, s3, 0, s1
	v_cmp_gt_i32_e32 vcc_lo, 32, v6
	v_xor_b32_e32 v12, 2, v9
	v_lshrrev_b32_e32 v11, 3, v0
	s_waitcnt lgkmcnt(0)
	s_add_u32 s6, s26, s4
	s_addc_u32 s7, s27, s5
	v_cndmask_b32_e32 v6, v9, v6, vcc_lo
	s_load_b64 s[2:3], s[6:7], 0x0
	v_cmp_gt_i32_e32 vcc_lo, 32, v10
	v_xor_b32_e32 v13, 1, v9
	v_xor_b32_e32 v14, 63, v9
	v_and_b32_e32 v43, 60, v11
	v_dual_mov_b32 v5, 0 :: v_dual_and_b32 v36, 15, v0
	v_cndmask_b32_e32 v10, v9, v10, vcc_lo
	v_cmp_gt_i32_e32 vcc_lo, 32, v12
	v_cmp_eq_u32_e64 s0, 0, v0
	s_delay_alu instid0(VALU_DEP_4)
	v_cmp_eq_u32_e64 s1, 15, v36
	v_cmp_gt_u32_e64 s6, 0x80, v0
	v_lshlrev_b32_e32 v40, 2, v10
	v_cndmask_b32_e32 v12, v9, v12, vcc_lo
	v_cmp_gt_i32_e32 vcc_lo, 32, v13
	v_cmp_gt_u32_e64 s7, 0xa0, v0
	v_cmp_gt_u32_e64 s8, 0xc0, v0
	;; [unrolled: 1-line block ×3, first 2 shown]
	v_lshlrev_b32_e32 v41, 2, v12
	v_lshlrev_b32_e32 v39, 2, v6
	v_cndmask_b32_e32 v9, v9, v13, vcc_lo
	v_cmp_gt_i64_e32 vcc_lo, s[34:35], v[7:8]
	s_waitcnt lgkmcnt(0)
	s_sub_u32 s26, s2, s30
	s_subb_u32 s27, s3, 0
	s_add_u32 s20, s20, s4
	v_lshlrev_b32_e32 v42, 2, v9
	v_lshrrev_b64 v[9:10], v14, -1
	v_mov_b32_e32 v12, 0
	v_dual_mov_b32 v14, 0x800 :: v_dual_mov_b32 v45, 1
	v_mov_b32_e32 v10, s26
	s_addc_u32 s21, s21, s5
	v_cmp_eq_u32_e64 s2, 0x1ff, v0
	v_cmp_gt_u32_e64 s3, 32, v0
	v_cmp_gt_u32_e64 s4, 64, v0
	;; [unrolled: 1-line block ×11, first 2 shown]
	v_or_b32_e32 v44, 0xfffffe00, v0
	v_dual_mov_b32 v15, 0 :: v_dual_lshlrev_b32 v0, 3, v0
	v_mov_b32_e32 v13, 0
	v_dual_mov_b32 v11, s27 :: v_dual_mov_b32 v6, v5
	s_and_b32 s30, s18, vcc_lo
	s_mov_b32 s52, s31
	s_add_u32 s31, s40, 8
	s_addc_u32 s53, s41, 0
	s_branch .LBB118_11
.LBB118_10:                             ;   in Loop: Header=BB118_11 Depth=1
	s_or_b32 exec_lo, exec_lo, s19
	ds_load_b64 v[12:13], v5 offset:18432
	s_waitcnt lgkmcnt(0)
	s_barrier
	buffer_gl0_inv
	v_cmp_le_i64_e32 vcc_lo, s[48:49], v[12:13]
	v_add_co_u32 v14, s18, 0x800, v12
	s_delay_alu instid0(VALU_DEP_1)
	v_add_co_ci_u32_e64 v15, s18, 0, v13, s18
	s_cbranch_vccnz .LBB118_67
.LBB118_11:                             ; =>This Loop Header: Depth=1
                                        ;     Child Loop BB118_12 Depth 2
                                        ;     Child Loop BB118_18 Depth 2
                                        ;       Child Loop BB118_26 Depth 3
                                        ;         Child Loop BB118_30 Depth 4
                                        ;     Child Loop BB118_44 Depth 2
                                        ;       Child Loop BB118_48 Depth 3
                                        ;     Child Loop BB118_58 Depth 2
                                        ;     Child Loop BB118_63 Depth 2
	v_mov_b32_e32 v16, v0
	v_mov_b32_e32 v17, v44
	s_mov_b32 s18, 0
.LBB118_12:                             ;   Parent Loop BB118_11 Depth=1
                                        ; =>  This Inner Loop Header: Depth=2
	ds_store_b8 v17, v5 offset:16896
	v_add_nc_u32_e32 v17, 0x200, v17
	ds_store_b64 v16, v[5:6]
	v_add_nc_u32_e32 v16, 0x1000, v16
	v_cmp_lt_u32_e32 vcc_lo, 0x5ff, v17
	s_or_b32 s18, vcc_lo, s18
	s_delay_alu instid0(SALU_CYCLE_1)
	s_and_not1_b32 exec_lo, exec_lo, s18
	s_cbranch_execnz .LBB118_12
; %bb.13:                               ;   in Loop: Header=BB118_11 Depth=1
	s_or_b32 exec_lo, exec_lo, s18
	s_and_saveexec_b32 s18, s0
	s_cbranch_execz .LBB118_15
; %bb.14:                               ;   in Loop: Header=BB118_11 Depth=1
	v_dual_mov_b32 v16, s48 :: v_dual_mov_b32 v17, s49
	ds_store_b64 v5, v[16:17] offset:18432
.LBB118_15:                             ;   in Loop: Header=BB118_11 Depth=1
	s_or_b32 exec_lo, exec_lo, s18
	v_dual_mov_b32 v16, s48 :: v_dual_mov_b32 v17, s49
	s_waitcnt vmcnt(0) lgkmcnt(0)
	s_barrier
	buffer_gl0_inv
	s_and_saveexec_b32 s26, s30
	s_cbranch_execz .LBB118_40
; %bb.16:                               ;   in Loop: Header=BB118_11 Depth=1
	v_cmp_ne_u64_e64 s18, 0, v[12:13]
	v_dual_mov_b32 v16, s48 :: v_dual_mov_b32 v17, s49
	v_dual_mov_b32 v19, v8 :: v_dual_mov_b32 v18, v7
	s_mov_b32 s27, 0
	s_branch .LBB118_18
.LBB118_17:                             ;   in Loop: Header=BB118_18 Depth=2
	s_or_b32 exec_lo, exec_lo, s54
	v_add_co_u32 v18, vcc_lo, v18, 32
	v_add_co_ci_u32_e32 v19, vcc_lo, 0, v19, vcc_lo
	s_delay_alu instid0(VALU_DEP_1) | instskip(SKIP_1) | instid1(SALU_CYCLE_1)
	v_cmp_le_i64_e32 vcc_lo, s[34:35], v[18:19]
	s_or_b32 s27, vcc_lo, s27
	s_and_not1_b32 exec_lo, exec_lo, s27
	s_cbranch_execz .LBB118_39
.LBB118_18:                             ;   Parent Loop BB118_11 Depth=1
                                        ; =>  This Loop Header: Depth=2
                                        ;       Child Loop BB118_26 Depth 3
                                        ;         Child Loop BB118_30 Depth 4
	s_delay_alu instid0(VALU_DEP_1) | instskip(NEXT) | instid1(VALU_DEP_1)
	v_lshlrev_b64 v[20:21], 3, v[18:19]
	v_add_co_u32 v22, vcc_lo, s36, v20
	s_delay_alu instid0(VALU_DEP_2)
	v_add_co_ci_u32_e32 v23, vcc_lo, s37, v21, vcc_lo
	v_add_co_u32 v26, vcc_lo, s38, v20
	v_add_co_ci_u32_e32 v27, vcc_lo, s39, v21, vcc_lo
	s_and_b32 vcc_lo, exec_lo, s18
	s_waitcnt lgkmcnt(0)
	global_load_b64 v[24:25], v[22:23], off
	global_load_b64 v[26:27], v[26:27], off
	s_cbranch_vccz .LBB118_20
; %bb.19:                               ;   in Loop: Header=BB118_18 Depth=2
	v_add_co_u32 v22, vcc_lo, s46, v20
	v_add_co_ci_u32_e32 v23, vcc_lo, s47, v21, vcc_lo
	s_mov_b32 s19, 0
	global_load_b64 v[22:23], v[22:23], off
	s_branch .LBB118_21
.LBB118_20:                             ;   in Loop: Header=BB118_18 Depth=2
	s_mov_b32 s19, -1
                                        ; implicit-def: $vgpr22_vgpr23
.LBB118_21:                             ;   in Loop: Header=BB118_18 Depth=2
	s_waitcnt vmcnt(1)
	v_sub_co_u32 v24, vcc_lo, v24, s28
	v_subrev_co_ci_u32_e32 v25, vcc_lo, 0, v25, vcc_lo
	s_and_not1_b32 vcc_lo, exec_lo, s19
	s_delay_alu instid0(VALU_DEP_1)
	v_lshlrev_b64 v[24:25], 3, v[24:25]
	s_cbranch_vccnz .LBB118_23
; %bb.22:                               ;   in Loop: Header=BB118_18 Depth=2
	s_waitcnt vmcnt(0)
	s_delay_alu instid0(VALU_DEP_1) | instskip(NEXT) | instid1(VALU_DEP_2)
	v_add_co_u32 v22, vcc_lo, s40, v24
	v_add_co_ci_u32_e32 v23, vcc_lo, s41, v25, vcc_lo
	global_load_b64 v[22:23], v[22:23], off
	s_waitcnt vmcnt(0)
	v_sub_co_u32 v22, vcc_lo, v22, s29
	v_subrev_co_ci_u32_e32 v23, vcc_lo, 0, v23, vcc_lo
.LBB118_23:                             ;   in Loop: Header=BB118_18 Depth=2
	s_delay_alu instid0(VALU_DEP_1) | instskip(NEXT) | instid1(VALU_DEP_2)
	v_add_co_u32 v24, vcc_lo, s31, v24
	v_add_co_ci_u32_e32 v25, vcc_lo, s53, v25, vcc_lo
	s_mov_b32 s54, exec_lo
	global_load_b64 v[24:25], v[24:25], off
	s_waitcnt vmcnt(0)
	v_sub_co_u32 v24, vcc_lo, v24, s29
	v_subrev_co_ci_u32_e32 v25, vcc_lo, 0, v25, vcc_lo
	v_add_co_u32 v22, vcc_lo, v22, v36
	v_add_co_ci_u32_e32 v23, vcc_lo, 0, v23, vcc_lo
	s_delay_alu instid0(VALU_DEP_1)
	v_cmpx_lt_i64_e64 v[22:23], v[24:25]
	s_cbranch_execz .LBB118_37
; %bb.24:                               ;   in Loop: Header=BB118_18 Depth=2
	v_mul_f64 v[26:27], v[1:2], v[26:27]
	v_dual_mov_b32 v31, v23 :: v_dual_mov_b32 v30, v22
	s_mov_b32 s56, 0
                                        ; implicit-def: $sgpr55
                                        ; implicit-def: $sgpr57
	s_branch .LBB118_26
.LBB118_25:                             ;   in Loop: Header=BB118_26 Depth=3
	s_or_b32 exec_lo, exec_lo, s58
	s_delay_alu instid0(SALU_CYCLE_1) | instskip(SKIP_4) | instid1(SALU_CYCLE_1)
	s_and_b32 s19, exec_lo, s59
	v_dual_mov_b32 v30, v34 :: v_dual_mov_b32 v31, v35
	s_or_b32 s56, s19, s56
	s_and_not1_b32 s19, s55, exec_lo
	s_and_b32 s55, s57, exec_lo
	s_or_b32 s55, s19, s55
	s_and_not1_b32 exec_lo, exec_lo, s56
	s_cbranch_execz .LBB118_34
.LBB118_26:                             ;   Parent Loop BB118_11 Depth=1
                                        ;     Parent Loop BB118_18 Depth=2
                                        ; =>    This Loop Header: Depth=3
                                        ;         Child Loop BB118_30 Depth 4
	s_delay_alu instid0(VALU_DEP_1) | instskip(NEXT) | instid1(VALU_DEP_1)
	v_lshlrev_b64 v[32:33], 3, v[30:31]
	v_add_co_u32 v28, vcc_lo, s42, v32
	s_delay_alu instid0(VALU_DEP_2) | instskip(SKIP_4) | instid1(VALU_DEP_1)
	v_add_co_ci_u32_e32 v29, vcc_lo, s43, v33, vcc_lo
	global_load_b64 v[28:29], v[28:29], off
	s_waitcnt vmcnt(0)
	v_sub_co_u32 v28, vcc_lo, v28, s29
	v_subrev_co_ci_u32_e32 v29, vcc_lo, 0, v29, vcc_lo
	v_cmp_lt_i64_e32 vcc_lo, v[28:29], v[14:15]
	v_cmp_lt_i64_e64 s19, v[28:29], v[12:13]
	s_xor_b32 s58, vcc_lo, -1
	s_delay_alu instid0(VALU_DEP_1) | instid1(SALU_CYCLE_1)
	s_or_b32 s59, s19, s58
	s_mov_b32 s19, 0
                                        ; implicit-def: $sgpr58
	s_and_saveexec_b32 s60, s59
	s_delay_alu instid0(SALU_CYCLE_1)
	s_xor_b32 s59, exec_lo, s60
; %bb.27:                               ;   in Loop: Header=BB118_26 Depth=3
	s_mov_b32 s58, -1
	s_and_b32 s19, vcc_lo, exec_lo
                                        ; implicit-def: $vgpr32_vgpr33
; %bb.28:                               ;   in Loop: Header=BB118_26 Depth=3
	s_and_not1_saveexec_b32 s59, s59
	s_cbranch_execz .LBB118_32
; %bb.29:                               ;   in Loop: Header=BB118_26 Depth=3
	v_add_co_u32 v32, vcc_lo, s50, v32
	v_add_co_ci_u32_e32 v33, vcc_lo, s51, v33, vcc_lo
	v_sub_nc_u32_e32 v34, v28, v12
	s_mov_b32 s60, 0
	global_load_b64 v[32:33], v[32:33], off
	v_lshlrev_b32_e32 v46, 3, v34
	ds_store_b8 v34, v45 offset:16384
	ds_load_b64 v[34:35], v46
	s_waitcnt vmcnt(0)
	v_mul_f64 v[32:33], v[26:27], v[32:33]
.LBB118_30:                             ;   Parent Loop BB118_11 Depth=1
                                        ;     Parent Loop BB118_18 Depth=2
                                        ;       Parent Loop BB118_26 Depth=3
                                        ; =>      This Inner Loop Header: Depth=4
	s_waitcnt lgkmcnt(0)
	s_delay_alu instid0(VALU_DEP_1)
	v_add_f64 v[47:48], v[34:35], v[32:33]
	ds_cmpstore_rtn_b64 v[47:48], v46, v[47:48], v[34:35]
	s_waitcnt lgkmcnt(0)
	v_cmp_eq_u64_e32 vcc_lo, v[47:48], v[34:35]
	v_dual_mov_b32 v34, v47 :: v_dual_mov_b32 v35, v48
	s_or_b32 s60, vcc_lo, s60
	s_delay_alu instid0(SALU_CYCLE_1)
	s_and_not1_b32 exec_lo, exec_lo, s60
	s_cbranch_execnz .LBB118_30
; %bb.31:                               ;   in Loop: Header=BB118_26 Depth=3
	s_or_b32 exec_lo, exec_lo, s60
	s_delay_alu instid0(SALU_CYCLE_1)
	s_or_b32 s19, s19, exec_lo
.LBB118_32:                             ;   in Loop: Header=BB118_26 Depth=3
	s_or_b32 exec_lo, exec_lo, s59
	v_dual_mov_b32 v33, v31 :: v_dual_mov_b32 v32, v30
	s_and_not1_b32 s57, s57, exec_lo
	s_and_b32 s58, s58, exec_lo
	s_mov_b32 s59, -1
	s_or_b32 s57, s57, s58
                                        ; implicit-def: $vgpr34_vgpr35
	s_and_saveexec_b32 s58, s19
	s_cbranch_execz .LBB118_25
; %bb.33:                               ;   in Loop: Header=BB118_26 Depth=3
	v_add_co_u32 v34, vcc_lo, v30, 16
	v_add_co_ci_u32_e32 v35, vcc_lo, 0, v31, vcc_lo
	v_dual_mov_b32 v33, v31 :: v_dual_mov_b32 v32, v30
	s_and_not1_b32 s57, s57, exec_lo
	s_delay_alu instid0(VALU_DEP_2)
	v_cmp_ge_i64_e32 vcc_lo, v[34:35], v[24:25]
	s_or_not1_b32 s59, vcc_lo, exec_lo
	s_branch .LBB118_25
.LBB118_34:                             ;   in Loop: Header=BB118_18 Depth=2
	s_or_b32 exec_lo, exec_lo, s56
	s_and_saveexec_b32 s19, s55
	s_delay_alu instid0(SALU_CYCLE_1)
	s_xor_b32 s19, exec_lo, s19
; %bb.35:                               ;   in Loop: Header=BB118_18 Depth=2
	v_cmp_lt_i64_e32 vcc_lo, v[28:29], v[16:17]
	v_dual_mov_b32 v22, v32 :: v_dual_mov_b32 v23, v33
	v_dual_cndmask_b32 v17, v17, v29 :: v_dual_cndmask_b32 v16, v16, v28
; %bb.36:                               ;   in Loop: Header=BB118_18 Depth=2
	s_or_b32 exec_lo, exec_lo, s19
.LBB118_37:                             ;   in Loop: Header=BB118_18 Depth=2
	s_delay_alu instid0(SALU_CYCLE_1)
	s_or_b32 exec_lo, exec_lo, s54
	ds_bpermute_b32 v24, v39, v22
	ds_bpermute_b32 v25, v39, v23
	s_waitcnt lgkmcnt(0)
	v_cmp_lt_i64_e32 vcc_lo, v[24:25], v[22:23]
	v_dual_cndmask_b32 v23, v23, v25 :: v_dual_cndmask_b32 v22, v22, v24
	ds_bpermute_b32 v25, v40, v23
	ds_bpermute_b32 v24, v40, v22
	s_waitcnt lgkmcnt(0)
	v_cmp_lt_i64_e32 vcc_lo, v[24:25], v[22:23]
	v_dual_cndmask_b32 v23, v23, v25 :: v_dual_cndmask_b32 v22, v22, v24
	;; [unrolled: 5-line block ×3, first 2 shown]
	ds_bpermute_b32 v25, v42, v23
	ds_bpermute_b32 v24, v42, v22
	s_and_saveexec_b32 s54, s1
	s_cbranch_execz .LBB118_17
; %bb.38:                               ;   in Loop: Header=BB118_18 Depth=2
	s_waitcnt lgkmcnt(0)
	v_cmp_lt_i64_e32 vcc_lo, v[24:25], v[22:23]
	v_add_co_u32 v20, s19, s46, v20
	s_delay_alu instid0(VALU_DEP_1)
	v_add_co_ci_u32_e64 v21, s19, s47, v21, s19
	v_dual_cndmask_b32 v23, v23, v25 :: v_dual_cndmask_b32 v22, v22, v24
	global_store_b64 v[20:21], v[22:23], off
	s_branch .LBB118_17
.LBB118_39:                             ;   in Loop: Header=BB118_11 Depth=1
	s_or_b32 exec_lo, exec_lo, s27
.LBB118_40:                             ;   in Loop: Header=BB118_11 Depth=1
	s_delay_alu instid0(SALU_CYCLE_1) | instskip(NEXT) | instid1(SALU_CYCLE_1)
	s_or_b32 exec_lo, exec_lo, s26
	s_and_not1_b32 vcc_lo, exec_lo, s33
	s_cbranch_vccnz .LBB118_56
; %bb.41:                               ;   in Loop: Header=BB118_11 Depth=1
	s_load_b128 s[56:59], s[20:21], 0x0
	s_mov_b32 s19, exec_lo
	s_waitcnt lgkmcnt(0)
	v_add_co_u32 v18, vcc_lo, s56, v37
	v_add_co_ci_u32_e32 v19, vcc_lo, s57, v38, vcc_lo
	s_sub_u32 s26, s58, s52
	s_subb_u32 s27, s59, 0
	s_delay_alu instid0(VALU_DEP_1) | instid1(SALU_CYCLE_1)
	v_cmpx_gt_i64_e64 s[26:27], v[18:19]
	s_cbranch_execz .LBB118_55
; %bb.42:                               ;   in Loop: Header=BB118_11 Depth=1
	s_mov_b32 s54, 0
                                        ; implicit-def: $sgpr55
                                        ; implicit-def: $sgpr56
	s_branch .LBB118_44
.LBB118_43:                             ;   in Loop: Header=BB118_44 Depth=2
	s_or_b32 exec_lo, exec_lo, s58
	s_delay_alu instid0(SALU_CYCLE_1) | instskip(NEXT) | instid1(SALU_CYCLE_1)
	s_and_b32 s18, exec_lo, s57
	s_or_b32 s54, s18, s54
	s_and_not1_b32 s18, s55, exec_lo
	s_and_b32 s55, s56, exec_lo
	s_delay_alu instid0(SALU_CYCLE_1)
	s_or_b32 s55, s18, s55
	s_and_not1_b32 exec_lo, exec_lo, s54
	s_cbranch_execz .LBB118_52
.LBB118_44:                             ;   Parent Loop BB118_11 Depth=1
                                        ; =>  This Loop Header: Depth=2
                                        ;       Child Loop BB118_48 Depth 3
	v_lshlrev_b64 v[22:23], 3, v[18:19]
	s_delay_alu instid0(VALU_DEP_1) | instskip(NEXT) | instid1(VALU_DEP_2)
	v_add_co_u32 v20, vcc_lo, s22, v22
	v_add_co_ci_u32_e32 v21, vcc_lo, s23, v23, vcc_lo
	global_load_b64 v[20:21], v[20:21], off
	s_waitcnt vmcnt(0)
	v_sub_co_u32 v20, vcc_lo, v20, s52
	v_subrev_co_ci_u32_e32 v21, vcc_lo, 0, v21, vcc_lo
	s_delay_alu instid0(VALU_DEP_1)
	v_cmp_lt_i64_e32 vcc_lo, v[20:21], v[14:15]
	v_cmp_lt_i64_e64 s18, v[20:21], v[12:13]
	s_xor_b32 s57, vcc_lo, -1
	s_delay_alu instid0(VALU_DEP_1) | instid1(SALU_CYCLE_1)
	s_or_b32 s58, s18, s57
	s_mov_b32 s18, 0
                                        ; implicit-def: $sgpr57
	s_and_saveexec_b32 s59, s58
	s_delay_alu instid0(SALU_CYCLE_1)
	s_xor_b32 s58, exec_lo, s59
; %bb.45:                               ;   in Loop: Header=BB118_44 Depth=2
	s_mov_b32 s57, -1
	s_and_b32 s18, vcc_lo, exec_lo
                                        ; implicit-def: $vgpr22_vgpr23
; %bb.46:                               ;   in Loop: Header=BB118_44 Depth=2
	s_and_not1_saveexec_b32 s58, s58
	s_cbranch_execz .LBB118_50
; %bb.47:                               ;   in Loop: Header=BB118_44 Depth=2
	v_add_co_u32 v22, vcc_lo, s24, v22
	v_add_co_ci_u32_e32 v23, vcc_lo, s25, v23, vcc_lo
	v_sub_nc_u32_e32 v24, v20, v12
	s_mov_b32 s59, 0
	global_load_b64 v[22:23], v[22:23], off
	v_lshlrev_b32_e32 v26, 3, v24
	ds_store_b8 v24, v45 offset:16384
	ds_load_b64 v[24:25], v26
	s_waitcnt vmcnt(0)
	v_mul_f64 v[22:23], v[3:4], v[22:23]
.LBB118_48:                             ;   Parent Loop BB118_11 Depth=1
                                        ;     Parent Loop BB118_44 Depth=2
                                        ; =>    This Inner Loop Header: Depth=3
	s_waitcnt lgkmcnt(0)
	s_delay_alu instid0(VALU_DEP_1)
	v_add_f64 v[27:28], v[24:25], v[22:23]
	ds_cmpstore_rtn_b64 v[27:28], v26, v[27:28], v[24:25]
	s_waitcnt lgkmcnt(0)
	v_cmp_eq_u64_e32 vcc_lo, v[27:28], v[24:25]
	v_dual_mov_b32 v24, v27 :: v_dual_mov_b32 v25, v28
	s_or_b32 s59, vcc_lo, s59
	s_delay_alu instid0(SALU_CYCLE_1)
	s_and_not1_b32 exec_lo, exec_lo, s59
	s_cbranch_execnz .LBB118_48
; %bb.49:                               ;   in Loop: Header=BB118_44 Depth=2
	s_or_b32 exec_lo, exec_lo, s59
	s_delay_alu instid0(SALU_CYCLE_1)
	s_or_b32 s18, s18, exec_lo
.LBB118_50:                             ;   in Loop: Header=BB118_44 Depth=2
	s_or_b32 exec_lo, exec_lo, s58
	s_delay_alu instid0(SALU_CYCLE_1)
	s_and_not1_b32 s56, s56, exec_lo
	s_and_b32 s58, s57, exec_lo
	s_mov_b32 s57, -1
	s_or_b32 s56, s56, s58
	s_and_saveexec_b32 s58, s18
	s_cbranch_execz .LBB118_43
; %bb.51:                               ;   in Loop: Header=BB118_44 Depth=2
	v_add_co_u32 v18, vcc_lo, 0x200, v18
	v_add_co_ci_u32_e32 v19, vcc_lo, 0, v19, vcc_lo
	s_and_not1_b32 s56, s56, exec_lo
	s_delay_alu instid0(VALU_DEP_1)
	v_cmp_le_i64_e32 vcc_lo, s[26:27], v[18:19]
	s_or_not1_b32 s57, vcc_lo, exec_lo
	s_branch .LBB118_43
.LBB118_52:                             ;   in Loop: Header=BB118_11 Depth=1
	s_or_b32 exec_lo, exec_lo, s54
	s_and_saveexec_b32 s18, s55
	s_delay_alu instid0(SALU_CYCLE_1)
	s_xor_b32 s18, exec_lo, s18
; %bb.53:                               ;   in Loop: Header=BB118_11 Depth=1
	v_cmp_lt_i64_e32 vcc_lo, v[20:21], v[16:17]
	v_dual_cndmask_b32 v17, v17, v21 :: v_dual_cndmask_b32 v16, v16, v20
; %bb.54:                               ;   in Loop: Header=BB118_11 Depth=1
	s_or_b32 exec_lo, exec_lo, s18
.LBB118_55:                             ;   in Loop: Header=BB118_11 Depth=1
	s_delay_alu instid0(SALU_CYCLE_1)
	s_or_b32 exec_lo, exec_lo, s19
.LBB118_56:                             ;   in Loop: Header=BB118_11 Depth=1
	ds_bpermute_b32 v12, v39, v16
	ds_bpermute_b32 v13, v39, v17
	s_waitcnt lgkmcnt(0)
	v_cmp_lt_i64_e32 vcc_lo, v[12:13], v[16:17]
	v_dual_cndmask_b32 v13, v17, v13 :: v_dual_cndmask_b32 v12, v16, v12
	ds_bpermute_b32 v15, v40, v13
	ds_bpermute_b32 v14, v40, v12
	s_waitcnt lgkmcnt(0)
	v_cmp_lt_i64_e32 vcc_lo, v[14:15], v[12:13]
	v_dual_cndmask_b32 v13, v13, v15 :: v_dual_cndmask_b32 v12, v12, v14
	;; [unrolled: 5-line block ×3, first 2 shown]
	ds_bpermute_b32 v15, v42, v13
	ds_bpermute_b32 v14, v42, v12
	s_and_saveexec_b32 s26, s1
	s_cbranch_execz .LBB118_61
; %bb.57:                               ;   in Loop: Header=BB118_11 Depth=1
	s_waitcnt lgkmcnt(0)
	v_cmp_lt_i64_e32 vcc_lo, v[14:15], v[12:13]
	s_mov_b32 s27, exec_lo
	s_mov_b64 s[18:19], -1
	v_dual_cndmask_b32 v13, v13, v15 :: v_dual_cndmask_b32 v12, v12, v14
.LBB118_58:                             ;   Parent Loop BB118_11 Depth=1
                                        ; =>  This Inner Loop Header: Depth=2
	s_ctz_i32_b32 s56, s27
	s_delay_alu instid0(VALU_DEP_1) | instid1(SALU_CYCLE_1)
	v_readlane_b32 s55, v13, s56
	s_delay_alu instid0(VALU_DEP_2) | instskip(NEXT) | instid1(VALU_DEP_1)
	v_readlane_b32 s54, v12, s56
	v_cmp_lt_u64_e64 s57, s[18:19], s[54:55]
	s_delay_alu instid0(VALU_DEP_1) | instskip(SKIP_3) | instid1(SALU_CYCLE_1)
	s_and_b32 s57, s57, exec_lo
	s_cselect_b32 s19, s19, s55
	s_cselect_b32 s18, s18, s54
	s_lshl_b32 s54, 1, s56
	s_and_not1_b32 s27, s27, s54
	s_delay_alu instid0(SALU_CYCLE_1)
	s_cmp_lg_u32 s27, 0
	s_cbranch_scc1 .LBB118_58
; %bb.59:                               ;   in Loop: Header=BB118_11 Depth=1
	v_mbcnt_lo_u32_b32 v12, exec_lo, 0
	s_mov_b32 s27, exec_lo
	s_delay_alu instid0(VALU_DEP_1)
	v_cmpx_eq_u32_e32 0, v12
	s_xor_b32 s27, exec_lo, s27
	s_cbranch_execz .LBB118_61
; %bb.60:                               ;   in Loop: Header=BB118_11 Depth=1
	v_dual_mov_b32 v12, s18 :: v_dual_mov_b32 v13, s19
	ds_min_u64 v5, v[12:13] offset:18432
.LBB118_61:                             ;   in Loop: Header=BB118_11 Depth=1
	s_or_b32 exec_lo, exec_lo, s26
	v_mov_b32_e32 v16, v0
	v_mov_b32_e32 v17, v44
	s_mov_b32 s19, 0
	s_waitcnt lgkmcnt(0)
	s_waitcnt_vscnt null, 0x0
	s_barrier
	buffer_gl0_inv
	s_branch .LBB118_63
.LBB118_62:                             ;   in Loop: Header=BB118_63 Depth=2
	s_or_b32 exec_lo, exec_lo, s18
	s_waitcnt lgkmcnt(0)
	s_waitcnt_vscnt null, 0x0
	s_barrier
	buffer_gl0_inv
	ds_load_b32 v12, v5 offset:60
	v_add_nc_u32_e32 v17, 0x200, v17
	v_add_nc_u32_e32 v16, 0x1000, v16
	s_delay_alu instid0(VALU_DEP_2) | instskip(SKIP_4) | instid1(VALU_DEP_1)
	v_cmp_lt_u32_e32 vcc_lo, 0x5ff, v17
	s_or_b32 s19, vcc_lo, s19
	s_waitcnt lgkmcnt(0)
	v_ashrrev_i32_e32 v13, 31, v12
	v_add_co_u32 v10, s18, v10, v12
	v_add_co_ci_u32_e64 v11, s18, v11, v13, s18
	s_and_not1_b32 exec_lo, exec_lo, s19
	s_cbranch_execz .LBB118_10
.LBB118_63:                             ;   Parent Loop BB118_11 Depth=1
                                        ; =>  This Inner Loop Header: Depth=2
	ds_load_u8 v14, v17 offset:16896
	ds_load_b64 v[12:13], v16
	s_waitcnt lgkmcnt(0)
	s_barrier
	buffer_gl0_inv
	v_cmp_ne_u16_e32 vcc_lo, 0, v14
	s_bcnt1_i32_b32 s18, vcc_lo
	s_delay_alu instid0(SALU_CYCLE_1)
	v_mov_b32_e32 v15, s18
	s_mov_b32 s18, exec_lo
	ds_store_b32 v43, v15
	s_waitcnt lgkmcnt(0)
	s_barrier
	buffer_gl0_inv
	ds_load_b128 v[18:21], v5
	ds_load_b128 v[22:25], v5 offset:16
	v_and_b32_e32 v15, vcc_lo, v9
	ds_load_b128 v[26:29], v5 offset:32
	s_waitcnt lgkmcnt(2)
	v_cndmask_b32_e64 v18, v18, 0, s3
	v_cndmask_b32_e64 v30, v19, 0, s4
	;; [unrolled: 1-line block ×4, first 2 shown]
	s_waitcnt lgkmcnt(1)
	v_cndmask_b32_e64 v22, v22, 0, s7
	v_bcnt_u32_b32 v15, v15, v18
	ds_load_b96 v[18:20], v5 offset:48
	v_cndmask_b32_e64 v23, v23, 0, s8
	v_cndmask_b32_e64 v24, v24, 0, s9
	v_add3_u32 v15, v15, v30, v31
	s_delay_alu instid0(VALU_DEP_1) | instskip(SKIP_3) | instid1(VALU_DEP_3)
	v_add3_u32 v15, v15, v21, v22
	v_cndmask_b32_e64 v21, v25, 0, s10
	s_waitcnt lgkmcnt(1)
	v_cndmask_b32_e64 v22, v26, 0, s11
	v_add3_u32 v15, v15, v23, v24
	v_cndmask_b32_e64 v23, v27, 0, s12
	v_cndmask_b32_e64 v24, v28, 0, s13
	s_delay_alu instid0(VALU_DEP_3)
	v_add3_u32 v15, v15, v21, v22
	v_cndmask_b32_e64 v21, v29, 0, s14
	s_waitcnt lgkmcnt(0)
	v_cndmask_b32_e64 v18, v18, 0, s15
	v_cndmask_b32_e64 v19, v19, 0, s16
	;; [unrolled: 1-line block ×3, first 2 shown]
	v_add3_u32 v15, v15, v23, v24
	s_delay_alu instid0(VALU_DEP_1) | instskip(SKIP_1) | instid1(VALU_DEP_2)
	v_add3_u32 v15, v15, v21, v18
	v_and_b32_e32 v18, 1, v14
	v_add3_u32 v14, v15, v19, v20
	s_delay_alu instid0(VALU_DEP_2)
	v_cmpx_eq_u32_e32 1, v18
	s_cbranch_execz .LBB118_65
; %bb.64:                               ;   in Loop: Header=BB118_63 Depth=2
	s_delay_alu instid0(VALU_DEP_2) | instskip(SKIP_1) | instid1(VALU_DEP_2)
	v_ashrrev_i32_e32 v15, 31, v14
	v_lshlrev_b64 v[18:19], 3, v[10:11]
	v_lshlrev_b64 v[20:21], 3, v[14:15]
	s_delay_alu instid0(VALU_DEP_2) | instskip(NEXT) | instid1(VALU_DEP_3)
	v_add_co_u32 v15, vcc_lo, s44, v18
	v_add_co_ci_u32_e32 v19, vcc_lo, s45, v19, vcc_lo
	s_delay_alu instid0(VALU_DEP_2) | instskip(NEXT) | instid1(VALU_DEP_2)
	v_add_co_u32 v18, vcc_lo, v15, v20
	v_add_co_ci_u32_e32 v19, vcc_lo, v19, v21, vcc_lo
	global_store_b64 v[18:19], v[12:13], off offset:-8
.LBB118_65:                             ;   in Loop: Header=BB118_63 Depth=2
	s_or_b32 exec_lo, exec_lo, s18
	s_and_saveexec_b32 s18, s2
	s_cbranch_execz .LBB118_62
; %bb.66:                               ;   in Loop: Header=BB118_63 Depth=2
	ds_store_b32 v5, v14 offset:60
	s_branch .LBB118_62
.LBB118_67:
	s_endpgm
	.section	.rodata,"a",@progbits
	.p2align	6, 0x0
	.amdhsa_kernel _ZN9rocsparseL51csrgemm_numeric_fill_block_per_row_multipass_kernelILj512ELj16ELj2048ELj32ElldEEvT4_PKS1_S3_NS_24const_host_device_scalarIT5_EEPKT3_S3_PKS5_S9_S3_SB_S6_S9_S3_SB_S9_S3_PS5_PS7_21rocsparse_index_base_SE_SE_SE_bbb
		.amdhsa_group_segment_fixed_size 18440
		.amdhsa_private_segment_fixed_size 0
		.amdhsa_kernarg_size 164
		.amdhsa_user_sgpr_count 15
		.amdhsa_user_sgpr_dispatch_ptr 0
		.amdhsa_user_sgpr_queue_ptr 0
		.amdhsa_user_sgpr_kernarg_segment_ptr 1
		.amdhsa_user_sgpr_dispatch_id 0
		.amdhsa_user_sgpr_private_segment_size 0
		.amdhsa_wavefront_size32 1
		.amdhsa_uses_dynamic_stack 0
		.amdhsa_enable_private_segment 0
		.amdhsa_system_sgpr_workgroup_id_x 1
		.amdhsa_system_sgpr_workgroup_id_y 0
		.amdhsa_system_sgpr_workgroup_id_z 0
		.amdhsa_system_sgpr_workgroup_info 0
		.amdhsa_system_vgpr_workitem_id 0
		.amdhsa_next_free_vgpr 49
		.amdhsa_next_free_sgpr 61
		.amdhsa_reserve_vcc 1
		.amdhsa_float_round_mode_32 0
		.amdhsa_float_round_mode_16_64 0
		.amdhsa_float_denorm_mode_32 3
		.amdhsa_float_denorm_mode_16_64 3
		.amdhsa_dx10_clamp 1
		.amdhsa_ieee_mode 1
		.amdhsa_fp16_overflow 0
		.amdhsa_workgroup_processor_mode 1
		.amdhsa_memory_ordered 1
		.amdhsa_forward_progress 0
		.amdhsa_shared_vgpr_count 0
		.amdhsa_exception_fp_ieee_invalid_op 0
		.amdhsa_exception_fp_denorm_src 0
		.amdhsa_exception_fp_ieee_div_zero 0
		.amdhsa_exception_fp_ieee_overflow 0
		.amdhsa_exception_fp_ieee_underflow 0
		.amdhsa_exception_fp_ieee_inexact 0
		.amdhsa_exception_int_div_zero 0
	.end_amdhsa_kernel
	.section	.text._ZN9rocsparseL51csrgemm_numeric_fill_block_per_row_multipass_kernelILj512ELj16ELj2048ELj32ElldEEvT4_PKS1_S3_NS_24const_host_device_scalarIT5_EEPKT3_S3_PKS5_S9_S3_SB_S6_S9_S3_SB_S9_S3_PS5_PS7_21rocsparse_index_base_SE_SE_SE_bbb,"axG",@progbits,_ZN9rocsparseL51csrgemm_numeric_fill_block_per_row_multipass_kernelILj512ELj16ELj2048ELj32ElldEEvT4_PKS1_S3_NS_24const_host_device_scalarIT5_EEPKT3_S3_PKS5_S9_S3_SB_S6_S9_S3_SB_S9_S3_PS5_PS7_21rocsparse_index_base_SE_SE_SE_bbb,comdat
.Lfunc_end118:
	.size	_ZN9rocsparseL51csrgemm_numeric_fill_block_per_row_multipass_kernelILj512ELj16ELj2048ELj32ElldEEvT4_PKS1_S3_NS_24const_host_device_scalarIT5_EEPKT3_S3_PKS5_S9_S3_SB_S6_S9_S3_SB_S9_S3_PS5_PS7_21rocsparse_index_base_SE_SE_SE_bbb, .Lfunc_end118-_ZN9rocsparseL51csrgemm_numeric_fill_block_per_row_multipass_kernelILj512ELj16ELj2048ELj32ElldEEvT4_PKS1_S3_NS_24const_host_device_scalarIT5_EEPKT3_S3_PKS5_S9_S3_SB_S6_S9_S3_SB_S9_S3_PS5_PS7_21rocsparse_index_base_SE_SE_SE_bbb
                                        ; -- End function
	.section	.AMDGPU.csdata,"",@progbits
; Kernel info:
; codeLenInByte = 3340
; NumSgprs: 63
; NumVgprs: 49
; ScratchSize: 0
; MemoryBound: 0
; FloatMode: 240
; IeeeMode: 1
; LDSByteSize: 18440 bytes/workgroup (compile time only)
; SGPRBlocks: 7
; VGPRBlocks: 6
; NumSGPRsForWavesPerEU: 63
; NumVGPRsForWavesPerEU: 49
; Occupancy: 16
; WaveLimiterHint : 1
; COMPUTE_PGM_RSRC2:SCRATCH_EN: 0
; COMPUTE_PGM_RSRC2:USER_SGPR: 15
; COMPUTE_PGM_RSRC2:TRAP_HANDLER: 0
; COMPUTE_PGM_RSRC2:TGID_X_EN: 1
; COMPUTE_PGM_RSRC2:TGID_Y_EN: 0
; COMPUTE_PGM_RSRC2:TGID_Z_EN: 0
; COMPUTE_PGM_RSRC2:TIDIG_COMP_CNT: 0
	.section	.text._ZN9rocsparseL51csrgemm_numeric_fill_block_per_row_multipass_kernelILj512ELj16ELj2048ELj64ElldEEvT4_PKS1_S3_NS_24const_host_device_scalarIT5_EEPKT3_S3_PKS5_S9_S3_SB_S6_S9_S3_SB_S9_S3_PS5_PS7_21rocsparse_index_base_SE_SE_SE_bbb,"axG",@progbits,_ZN9rocsparseL51csrgemm_numeric_fill_block_per_row_multipass_kernelILj512ELj16ELj2048ELj64ElldEEvT4_PKS1_S3_NS_24const_host_device_scalarIT5_EEPKT3_S3_PKS5_S9_S3_SB_S6_S9_S3_SB_S9_S3_PS5_PS7_21rocsparse_index_base_SE_SE_SE_bbb,comdat
	.globl	_ZN9rocsparseL51csrgemm_numeric_fill_block_per_row_multipass_kernelILj512ELj16ELj2048ELj64ElldEEvT4_PKS1_S3_NS_24const_host_device_scalarIT5_EEPKT3_S3_PKS5_S9_S3_SB_S6_S9_S3_SB_S9_S3_PS5_PS7_21rocsparse_index_base_SE_SE_SE_bbb ; -- Begin function _ZN9rocsparseL51csrgemm_numeric_fill_block_per_row_multipass_kernelILj512ELj16ELj2048ELj64ElldEEvT4_PKS1_S3_NS_24const_host_device_scalarIT5_EEPKT3_S3_PKS5_S9_S3_SB_S6_S9_S3_SB_S9_S3_PS5_PS7_21rocsparse_index_base_SE_SE_SE_bbb
	.p2align	8
	.type	_ZN9rocsparseL51csrgemm_numeric_fill_block_per_row_multipass_kernelILj512ELj16ELj2048ELj64ElldEEvT4_PKS1_S3_NS_24const_host_device_scalarIT5_EEPKT3_S3_PKS5_S9_S3_SB_S6_S9_S3_SB_S9_S3_PS5_PS7_21rocsparse_index_base_SE_SE_SE_bbb,@function
_ZN9rocsparseL51csrgemm_numeric_fill_block_per_row_multipass_kernelILj512ELj16ELj2048ELj64ElldEEvT4_PKS1_S3_NS_24const_host_device_scalarIT5_EEPKT3_S3_PKS5_S9_S3_SB_S6_S9_S3_SB_S9_S3_PS5_PS7_21rocsparse_index_base_SE_SE_SE_bbb: ; @_ZN9rocsparseL51csrgemm_numeric_fill_block_per_row_multipass_kernelILj512ELj16ELj2048ELj64ElldEEvT4_PKS1_S3_NS_24const_host_device_scalarIT5_EEPKT3_S3_PKS5_S9_S3_SB_S6_S9_S3_SB_S9_S3_PS5_PS7_21rocsparse_index_base_SE_SE_SE_bbb
; %bb.0:
	s_clause 0x4
	s_load_b32 s3, s[0:1], 0xa0
	s_load_b64 s[8:9], s[0:1], 0x18
	s_load_b128 s[4:7], s[0:1], 0x8
	s_load_b128 s[28:31], s[0:1], 0x90
	s_load_b64 s[10:11], s[0:1], 0x50
	s_mov_b32 s2, s15
	s_waitcnt lgkmcnt(0)
	s_and_b32 s13, 1, s3
	s_bitcmp1_b32 s3, 16
	s_cselect_b32 s12, -1, 0
	s_cmp_eq_u32 s13, 1
	s_cselect_b32 s45, -1, 0
	s_delay_alu instid0(SALU_CYCLE_1)
	s_and_b32 s13, s45, exec_lo
	s_cselect_b32 s15, s9, 0
	s_cselect_b32 s14, s8, 0
	s_xor_b32 s13, s45, -1
	v_dual_mov_b32 v1, s14 :: v_dual_mov_b32 v2, s15
	s_or_b32 s13, s13, s12
	s_delay_alu instid0(SALU_CYCLE_1)
	s_and_b32 vcc_lo, exec_lo, s13
	s_cbranch_vccnz .LBB119_2
; %bb.1:
	v_dual_mov_b32 v1, s8 :: v_dual_mov_b32 v2, s9
	flat_load_b64 v[1:2], v[1:2]
.LBB119_2:
	s_load_b64 s[8:9], s[0:1], 0x20
	s_bitcmp1_b32 s3, 8
	s_cselect_b32 s33, -1, 0
	s_delay_alu instid0(SALU_CYCLE_1)
	s_and_b32 s3, s33, exec_lo
	s_cselect_b32 s15, s11, 0
	s_cselect_b32 s14, s10, 0
	s_xor_b32 s3, s33, -1
	v_dual_mov_b32 v3, s14 :: v_dual_mov_b32 v4, s15
	s_or_b32 s3, s3, s12
	s_delay_alu instid0(SALU_CYCLE_1)
	s_and_b32 vcc_lo, exec_lo, s3
	s_cbranch_vccnz .LBB119_4
; %bb.3:
	v_dual_mov_b32 v3, s10 :: v_dual_mov_b32 v4, s11
	flat_load_b64 v[3:4], v[3:4]
.LBB119_4:
	s_load_b64 s[4:5], s[4:5], 0x0
	s_mov_b32 s3, 0
	s_mov_b64 s[34:35], 0
	s_waitcnt lgkmcnt(0)
	s_lshl_b64 s[4:5], s[4:5], 3
	s_delay_alu instid0(SALU_CYCLE_1) | instskip(SKIP_2) | instid1(SALU_CYCLE_1)
	s_add_u32 s4, s6, s4
	s_addc_u32 s5, s7, s5
	s_lshl_b64 s[2:3], s[2:3], 3
	s_add_u32 s2, s4, s2
	s_addc_u32 s3, s5, s3
	s_and_not1_b32 vcc_lo, exec_lo, s45
	s_load_b64 s[4:5], s[2:3], 0x0
	s_mov_b64 s[2:3], 0
	s_cbranch_vccz .LBB119_7
; %bb.5:
	s_and_not1_b32 vcc_lo, exec_lo, s45
	s_cbranch_vccz .LBB119_8
.LBB119_6:
	s_load_b64 s[40:41], s[0:1], 0x0
	s_waitcnt lgkmcnt(0)
	v_cmp_lt_i64_e64 s6, s[40:41], 1
	s_delay_alu instid0(VALU_DEP_1)
	s_and_b32 vcc_lo, exec_lo, s6
	s_cbranch_vccz .LBB119_9
	s_branch .LBB119_67
.LBB119_7:
	s_waitcnt lgkmcnt(0)
	s_lshl_b64 s[2:3], s[4:5], 3
	s_delay_alu instid0(SALU_CYCLE_1)
	s_add_u32 s2, s8, s2
	s_addc_u32 s3, s9, s3
	s_load_b64 s[2:3], s[2:3], 0x0
	s_waitcnt lgkmcnt(0)
	s_sub_u32 s2, s2, s28
	s_subb_u32 s3, s3, 0
	s_and_not1_b32 vcc_lo, exec_lo, s45
	s_cbranch_vccnz .LBB119_6
.LBB119_8:
	s_waitcnt lgkmcnt(0)
	s_lshl_b64 s[6:7], s[4:5], 3
	s_delay_alu instid0(SALU_CYCLE_1)
	s_add_u32 s6, s8, s6
	s_addc_u32 s7, s9, s7
	s_load_b64 s[6:7], s[6:7], 0x8
	s_waitcnt lgkmcnt(0)
	s_sub_u32 s34, s6, s28
	s_subb_u32 s35, s7, 0
	s_load_b64 s[40:41], s[0:1], 0x0
	s_waitcnt lgkmcnt(0)
	v_cmp_lt_i64_e64 s6, s[40:41], 1
	s_delay_alu instid0(VALU_DEP_1)
	s_and_b32 vcc_lo, exec_lo, s6
	s_cbranch_vccnz .LBB119_67
.LBB119_9:
	s_clause 0x3
	s_load_b256 s[12:19], s[0:1], 0x58
	s_load_b128 s[36:39], s[0:1], 0x80
	s_load_b64 s[42:43], s[0:1], 0x48
	s_load_b256 s[20:27], s[0:1], 0x28
	v_mbcnt_lo_u32_b32 v9, -1, 0
	v_lshrrev_b32_e32 v6, 4, v0
	v_sub_co_u32 v37, s1, v0, s31
	s_lshl_b64 s[4:5], s[4:5], 3
	s_delay_alu instid0(VALU_DEP_3) | instskip(SKIP_2) | instid1(VALU_DEP_1)
	v_xor_b32_e32 v10, 8, v9
	v_sub_co_ci_u32_e64 v38, null, 0, 0, s1
	v_add_co_u32 v7, s1, s2, v6
	v_add_co_ci_u32_e64 v8, null, s3, 0, s1
	v_xor_b32_e32 v11, 4, v9
	v_xor_b32_e32 v12, 2, v9
	;; [unrolled: 1-line block ×4, first 2 shown]
	s_waitcnt lgkmcnt(0)
	s_add_u32 s2, s18, s4
	s_addc_u32 s3, s19, s5
	v_dual_mov_b32 v5, 0 :: v_dual_and_b32 v36, 15, v0
	s_load_b64 s[6:7], s[2:3], 0x0
	v_cmp_gt_i32_e64 s2, 32, v10
	v_cmp_gt_i64_e32 vcc_lo, s[34:35], v[7:8]
	v_cmp_eq_u32_e64 s0, 0, v0
	v_cmp_eq_u32_e64 s1, 15, v36
	v_cmp_gt_u32_e64 s3, 64, v0
	v_cndmask_b32_e64 v15, v9, v10, s2
	v_cmp_gt_i32_e64 s2, 32, v11
	v_cmp_gt_u32_e64 s8, 0x180, v0
	v_cmp_gt_u32_e64 s9, 0x1c0, v0
	v_or_b32_e32 v44, 0xfffffe00, v0
	v_lshlrev_b32_e32 v39, 2, v15
	v_cndmask_b32_e64 v11, v9, v11, s2
	v_cmp_gt_i32_e64 s2, 32, v12
	s_mov_b32 s44, s31
	s_delay_alu instid0(VALU_DEP_2) | instskip(NEXT) | instid1(VALU_DEP_2)
	v_dual_mov_b32 v45, 1 :: v_dual_lshlrev_b32 v40, 2, v11
	v_cndmask_b32_e64 v12, v9, v12, s2
	v_cmp_gt_i32_e64 s2, 32, v13
	s_waitcnt lgkmcnt(0)
	s_sub_u32 s10, s6, s30
	s_subb_u32 s11, s7, 0
	s_add_u32 s12, s12, s4
	v_lshlrev_b32_e32 v41, 2, v12
	v_cndmask_b32_e64 v13, v9, v13, s2
	v_lshrrev_b64 v[9:10], v14, -1
	v_dual_mov_b32 v14, 0x800 :: v_dual_and_b32 v43, 28, v6
	v_mov_b32_e32 v10, s10
	s_delay_alu instid0(VALU_DEP_4)
	v_dual_mov_b32 v15, 0 :: v_dual_lshlrev_b32 v42, 2, v13
	v_mov_b32_e32 v12, 0
	s_addc_u32 s13, s13, s5
	v_cmp_eq_u32_e64 s2, 0x1ff, v0
	v_cmp_gt_u32_e64 s4, 0x80, v0
	v_cmp_gt_u32_e64 s5, 0xc0, v0
	;; [unrolled: 1-line block ×4, first 2 shown]
	v_dual_mov_b32 v11, s11 :: v_dual_lshlrev_b32 v0, 3, v0
	v_dual_mov_b32 v13, 0 :: v_dual_mov_b32 v6, v5
	s_and_b32 s30, s45, vcc_lo
	s_add_u32 s31, s24, 8
	s_addc_u32 s45, s25, 0
	s_branch .LBB119_11
.LBB119_10:                             ;   in Loop: Header=BB119_11 Depth=1
	s_or_b32 exec_lo, exec_lo, s11
	ds_load_b64 v[12:13], v5 offset:18432
	s_waitcnt lgkmcnt(0)
	s_barrier
	buffer_gl0_inv
	v_cmp_le_i64_e32 vcc_lo, s[40:41], v[12:13]
	v_add_co_u32 v14, s10, 0x800, v12
	s_delay_alu instid0(VALU_DEP_1)
	v_add_co_ci_u32_e64 v15, s10, 0, v13, s10
	s_cbranch_vccnz .LBB119_67
.LBB119_11:                             ; =>This Loop Header: Depth=1
                                        ;     Child Loop BB119_12 Depth 2
                                        ;     Child Loop BB119_18 Depth 2
                                        ;       Child Loop BB119_26 Depth 3
                                        ;         Child Loop BB119_30 Depth 4
                                        ;     Child Loop BB119_44 Depth 2
                                        ;       Child Loop BB119_48 Depth 3
                                        ;     Child Loop BB119_58 Depth 2
                                        ;     Child Loop BB119_63 Depth 2
	v_mov_b32_e32 v16, v0
	v_mov_b32_e32 v17, v44
	s_mov_b32 s10, 0
.LBB119_12:                             ;   Parent Loop BB119_11 Depth=1
                                        ; =>  This Inner Loop Header: Depth=2
	ds_store_b8 v17, v5 offset:16896
	v_add_nc_u32_e32 v17, 0x200, v17
	ds_store_b64 v16, v[5:6]
	v_add_nc_u32_e32 v16, 0x1000, v16
	v_cmp_lt_u32_e32 vcc_lo, 0x5ff, v17
	s_or_b32 s10, vcc_lo, s10
	s_delay_alu instid0(SALU_CYCLE_1)
	s_and_not1_b32 exec_lo, exec_lo, s10
	s_cbranch_execnz .LBB119_12
; %bb.13:                               ;   in Loop: Header=BB119_11 Depth=1
	s_or_b32 exec_lo, exec_lo, s10
	s_and_saveexec_b32 s10, s0
	s_cbranch_execz .LBB119_15
; %bb.14:                               ;   in Loop: Header=BB119_11 Depth=1
	v_dual_mov_b32 v16, s40 :: v_dual_mov_b32 v17, s41
	ds_store_b64 v5, v[16:17] offset:18432
.LBB119_15:                             ;   in Loop: Header=BB119_11 Depth=1
	s_or_b32 exec_lo, exec_lo, s10
	v_dual_mov_b32 v16, s40 :: v_dual_mov_b32 v17, s41
	s_waitcnt vmcnt(0) lgkmcnt(0)
	s_barrier
	buffer_gl0_inv
	s_and_saveexec_b32 s18, s30
	s_cbranch_execz .LBB119_40
; %bb.16:                               ;   in Loop: Header=BB119_11 Depth=1
	v_cmp_ne_u64_e64 s10, 0, v[12:13]
	v_dual_mov_b32 v16, s40 :: v_dual_mov_b32 v17, s41
	v_dual_mov_b32 v19, v8 :: v_dual_mov_b32 v18, v7
	s_mov_b32 s19, 0
	s_branch .LBB119_18
.LBB119_17:                             ;   in Loop: Header=BB119_18 Depth=2
	s_or_b32 exec_lo, exec_lo, s46
	v_add_co_u32 v18, vcc_lo, v18, 32
	v_add_co_ci_u32_e32 v19, vcc_lo, 0, v19, vcc_lo
	s_delay_alu instid0(VALU_DEP_1) | instskip(SKIP_1) | instid1(SALU_CYCLE_1)
	v_cmp_le_i64_e32 vcc_lo, s[34:35], v[18:19]
	s_or_b32 s19, vcc_lo, s19
	s_and_not1_b32 exec_lo, exec_lo, s19
	s_cbranch_execz .LBB119_39
.LBB119_18:                             ;   Parent Loop BB119_11 Depth=1
                                        ; =>  This Loop Header: Depth=2
                                        ;       Child Loop BB119_26 Depth 3
                                        ;         Child Loop BB119_30 Depth 4
	s_delay_alu instid0(VALU_DEP_1) | instskip(NEXT) | instid1(VALU_DEP_1)
	v_lshlrev_b64 v[20:21], 3, v[18:19]
	v_add_co_u32 v22, vcc_lo, s20, v20
	s_delay_alu instid0(VALU_DEP_2)
	v_add_co_ci_u32_e32 v23, vcc_lo, s21, v21, vcc_lo
	v_add_co_u32 v26, vcc_lo, s22, v20
	v_add_co_ci_u32_e32 v27, vcc_lo, s23, v21, vcc_lo
	s_and_b32 vcc_lo, exec_lo, s10
	s_waitcnt lgkmcnt(0)
	global_load_b64 v[24:25], v[22:23], off
	global_load_b64 v[26:27], v[26:27], off
	s_cbranch_vccz .LBB119_20
; %bb.19:                               ;   in Loop: Header=BB119_18 Depth=2
	v_add_co_u32 v22, vcc_lo, s38, v20
	v_add_co_ci_u32_e32 v23, vcc_lo, s39, v21, vcc_lo
	s_mov_b32 s11, 0
	global_load_b64 v[22:23], v[22:23], off
	s_branch .LBB119_21
.LBB119_20:                             ;   in Loop: Header=BB119_18 Depth=2
	s_mov_b32 s11, -1
                                        ; implicit-def: $vgpr22_vgpr23
.LBB119_21:                             ;   in Loop: Header=BB119_18 Depth=2
	s_waitcnt vmcnt(1)
	v_sub_co_u32 v24, vcc_lo, v24, s28
	v_subrev_co_ci_u32_e32 v25, vcc_lo, 0, v25, vcc_lo
	s_and_not1_b32 vcc_lo, exec_lo, s11
	s_delay_alu instid0(VALU_DEP_1)
	v_lshlrev_b64 v[24:25], 3, v[24:25]
	s_cbranch_vccnz .LBB119_23
; %bb.22:                               ;   in Loop: Header=BB119_18 Depth=2
	s_waitcnt vmcnt(0)
	s_delay_alu instid0(VALU_DEP_1) | instskip(NEXT) | instid1(VALU_DEP_2)
	v_add_co_u32 v22, vcc_lo, s24, v24
	v_add_co_ci_u32_e32 v23, vcc_lo, s25, v25, vcc_lo
	global_load_b64 v[22:23], v[22:23], off
	s_waitcnt vmcnt(0)
	v_sub_co_u32 v22, vcc_lo, v22, s29
	v_subrev_co_ci_u32_e32 v23, vcc_lo, 0, v23, vcc_lo
.LBB119_23:                             ;   in Loop: Header=BB119_18 Depth=2
	s_delay_alu instid0(VALU_DEP_1) | instskip(NEXT) | instid1(VALU_DEP_2)
	v_add_co_u32 v24, vcc_lo, s31, v24
	v_add_co_ci_u32_e32 v25, vcc_lo, s45, v25, vcc_lo
	s_mov_b32 s46, exec_lo
	global_load_b64 v[24:25], v[24:25], off
	s_waitcnt vmcnt(0)
	v_sub_co_u32 v24, vcc_lo, v24, s29
	v_subrev_co_ci_u32_e32 v25, vcc_lo, 0, v25, vcc_lo
	v_add_co_u32 v22, vcc_lo, v22, v36
	v_add_co_ci_u32_e32 v23, vcc_lo, 0, v23, vcc_lo
	s_delay_alu instid0(VALU_DEP_1)
	v_cmpx_lt_i64_e64 v[22:23], v[24:25]
	s_cbranch_execz .LBB119_37
; %bb.24:                               ;   in Loop: Header=BB119_18 Depth=2
	v_mul_f64 v[26:27], v[1:2], v[26:27]
	v_dual_mov_b32 v31, v23 :: v_dual_mov_b32 v30, v22
	s_mov_b32 s48, 0
                                        ; implicit-def: $sgpr47
                                        ; implicit-def: $sgpr49
	s_branch .LBB119_26
.LBB119_25:                             ;   in Loop: Header=BB119_26 Depth=3
	s_or_b32 exec_lo, exec_lo, s50
	s_delay_alu instid0(SALU_CYCLE_1) | instskip(SKIP_4) | instid1(SALU_CYCLE_1)
	s_and_b32 s11, exec_lo, s51
	v_dual_mov_b32 v30, v34 :: v_dual_mov_b32 v31, v35
	s_or_b32 s48, s11, s48
	s_and_not1_b32 s11, s47, exec_lo
	s_and_b32 s47, s49, exec_lo
	s_or_b32 s47, s11, s47
	s_and_not1_b32 exec_lo, exec_lo, s48
	s_cbranch_execz .LBB119_34
.LBB119_26:                             ;   Parent Loop BB119_11 Depth=1
                                        ;     Parent Loop BB119_18 Depth=2
                                        ; =>    This Loop Header: Depth=3
                                        ;         Child Loop BB119_30 Depth 4
	s_delay_alu instid0(VALU_DEP_1) | instskip(NEXT) | instid1(VALU_DEP_1)
	v_lshlrev_b64 v[32:33], 3, v[30:31]
	v_add_co_u32 v28, vcc_lo, s26, v32
	s_delay_alu instid0(VALU_DEP_2) | instskip(SKIP_4) | instid1(VALU_DEP_1)
	v_add_co_ci_u32_e32 v29, vcc_lo, s27, v33, vcc_lo
	global_load_b64 v[28:29], v[28:29], off
	s_waitcnt vmcnt(0)
	v_sub_co_u32 v28, vcc_lo, v28, s29
	v_subrev_co_ci_u32_e32 v29, vcc_lo, 0, v29, vcc_lo
	v_cmp_lt_i64_e32 vcc_lo, v[28:29], v[14:15]
	v_cmp_lt_i64_e64 s11, v[28:29], v[12:13]
	s_xor_b32 s50, vcc_lo, -1
	s_delay_alu instid0(VALU_DEP_1) | instid1(SALU_CYCLE_1)
	s_or_b32 s51, s11, s50
	s_mov_b32 s11, 0
                                        ; implicit-def: $sgpr50
	s_and_saveexec_b32 s52, s51
	s_delay_alu instid0(SALU_CYCLE_1)
	s_xor_b32 s51, exec_lo, s52
; %bb.27:                               ;   in Loop: Header=BB119_26 Depth=3
	s_mov_b32 s50, -1
	s_and_b32 s11, vcc_lo, exec_lo
                                        ; implicit-def: $vgpr32_vgpr33
; %bb.28:                               ;   in Loop: Header=BB119_26 Depth=3
	s_and_not1_saveexec_b32 s51, s51
	s_cbranch_execz .LBB119_32
; %bb.29:                               ;   in Loop: Header=BB119_26 Depth=3
	v_add_co_u32 v32, vcc_lo, s42, v32
	v_add_co_ci_u32_e32 v33, vcc_lo, s43, v33, vcc_lo
	v_sub_nc_u32_e32 v34, v28, v12
	s_mov_b32 s52, 0
	global_load_b64 v[32:33], v[32:33], off
	v_lshlrev_b32_e32 v46, 3, v34
	ds_store_b8 v34, v45 offset:16384
	ds_load_b64 v[34:35], v46
	s_waitcnt vmcnt(0)
	v_mul_f64 v[32:33], v[26:27], v[32:33]
.LBB119_30:                             ;   Parent Loop BB119_11 Depth=1
                                        ;     Parent Loop BB119_18 Depth=2
                                        ;       Parent Loop BB119_26 Depth=3
                                        ; =>      This Inner Loop Header: Depth=4
	s_waitcnt lgkmcnt(0)
	s_delay_alu instid0(VALU_DEP_1)
	v_add_f64 v[47:48], v[34:35], v[32:33]
	ds_cmpstore_rtn_b64 v[47:48], v46, v[47:48], v[34:35]
	s_waitcnt lgkmcnt(0)
	v_cmp_eq_u64_e32 vcc_lo, v[47:48], v[34:35]
	v_dual_mov_b32 v34, v47 :: v_dual_mov_b32 v35, v48
	s_or_b32 s52, vcc_lo, s52
	s_delay_alu instid0(SALU_CYCLE_1)
	s_and_not1_b32 exec_lo, exec_lo, s52
	s_cbranch_execnz .LBB119_30
; %bb.31:                               ;   in Loop: Header=BB119_26 Depth=3
	s_or_b32 exec_lo, exec_lo, s52
	s_delay_alu instid0(SALU_CYCLE_1)
	s_or_b32 s11, s11, exec_lo
.LBB119_32:                             ;   in Loop: Header=BB119_26 Depth=3
	s_or_b32 exec_lo, exec_lo, s51
	v_dual_mov_b32 v33, v31 :: v_dual_mov_b32 v32, v30
	s_and_not1_b32 s49, s49, exec_lo
	s_and_b32 s50, s50, exec_lo
	s_mov_b32 s51, -1
	s_or_b32 s49, s49, s50
                                        ; implicit-def: $vgpr34_vgpr35
	s_and_saveexec_b32 s50, s11
	s_cbranch_execz .LBB119_25
; %bb.33:                               ;   in Loop: Header=BB119_26 Depth=3
	v_add_co_u32 v34, vcc_lo, v30, 16
	v_add_co_ci_u32_e32 v35, vcc_lo, 0, v31, vcc_lo
	v_dual_mov_b32 v33, v31 :: v_dual_mov_b32 v32, v30
	s_and_not1_b32 s49, s49, exec_lo
	s_delay_alu instid0(VALU_DEP_2)
	v_cmp_ge_i64_e32 vcc_lo, v[34:35], v[24:25]
	s_or_not1_b32 s51, vcc_lo, exec_lo
	s_branch .LBB119_25
.LBB119_34:                             ;   in Loop: Header=BB119_18 Depth=2
	s_or_b32 exec_lo, exec_lo, s48
	s_and_saveexec_b32 s11, s47
	s_delay_alu instid0(SALU_CYCLE_1)
	s_xor_b32 s11, exec_lo, s11
; %bb.35:                               ;   in Loop: Header=BB119_18 Depth=2
	v_cmp_lt_i64_e32 vcc_lo, v[28:29], v[16:17]
	v_dual_mov_b32 v22, v32 :: v_dual_mov_b32 v23, v33
	v_dual_cndmask_b32 v17, v17, v29 :: v_dual_cndmask_b32 v16, v16, v28
; %bb.36:                               ;   in Loop: Header=BB119_18 Depth=2
	s_or_b32 exec_lo, exec_lo, s11
.LBB119_37:                             ;   in Loop: Header=BB119_18 Depth=2
	s_delay_alu instid0(SALU_CYCLE_1)
	s_or_b32 exec_lo, exec_lo, s46
	ds_bpermute_b32 v24, v39, v22
	ds_bpermute_b32 v25, v39, v23
	s_waitcnt lgkmcnt(0)
	v_cmp_lt_i64_e32 vcc_lo, v[24:25], v[22:23]
	v_dual_cndmask_b32 v23, v23, v25 :: v_dual_cndmask_b32 v22, v22, v24
	ds_bpermute_b32 v25, v40, v23
	ds_bpermute_b32 v24, v40, v22
	s_waitcnt lgkmcnt(0)
	v_cmp_lt_i64_e32 vcc_lo, v[24:25], v[22:23]
	v_dual_cndmask_b32 v23, v23, v25 :: v_dual_cndmask_b32 v22, v22, v24
	;; [unrolled: 5-line block ×3, first 2 shown]
	ds_bpermute_b32 v25, v42, v23
	ds_bpermute_b32 v24, v42, v22
	s_and_saveexec_b32 s46, s1
	s_cbranch_execz .LBB119_17
; %bb.38:                               ;   in Loop: Header=BB119_18 Depth=2
	s_waitcnt lgkmcnt(0)
	v_cmp_lt_i64_e32 vcc_lo, v[24:25], v[22:23]
	v_add_co_u32 v20, s11, s38, v20
	s_delay_alu instid0(VALU_DEP_1)
	v_add_co_ci_u32_e64 v21, s11, s39, v21, s11
	v_dual_cndmask_b32 v23, v23, v25 :: v_dual_cndmask_b32 v22, v22, v24
	global_store_b64 v[20:21], v[22:23], off
	s_branch .LBB119_17
.LBB119_39:                             ;   in Loop: Header=BB119_11 Depth=1
	s_or_b32 exec_lo, exec_lo, s19
.LBB119_40:                             ;   in Loop: Header=BB119_11 Depth=1
	s_delay_alu instid0(SALU_CYCLE_1) | instskip(NEXT) | instid1(SALU_CYCLE_1)
	s_or_b32 exec_lo, exec_lo, s18
	s_and_not1_b32 vcc_lo, exec_lo, s33
	s_cbranch_vccnz .LBB119_56
; %bb.41:                               ;   in Loop: Header=BB119_11 Depth=1
	s_load_b128 s[48:51], s[12:13], 0x0
	s_mov_b32 s11, exec_lo
	s_waitcnt lgkmcnt(0)
	v_add_co_u32 v18, vcc_lo, s48, v37
	v_add_co_ci_u32_e32 v19, vcc_lo, s49, v38, vcc_lo
	s_sub_u32 s18, s50, s44
	s_subb_u32 s19, s51, 0
	s_delay_alu instid0(VALU_DEP_1) | instid1(SALU_CYCLE_1)
	v_cmpx_gt_i64_e64 s[18:19], v[18:19]
	s_cbranch_execz .LBB119_55
; %bb.42:                               ;   in Loop: Header=BB119_11 Depth=1
	s_mov_b32 s46, 0
                                        ; implicit-def: $sgpr47
                                        ; implicit-def: $sgpr48
	s_branch .LBB119_44
.LBB119_43:                             ;   in Loop: Header=BB119_44 Depth=2
	s_or_b32 exec_lo, exec_lo, s50
	s_delay_alu instid0(SALU_CYCLE_1) | instskip(NEXT) | instid1(SALU_CYCLE_1)
	s_and_b32 s10, exec_lo, s49
	s_or_b32 s46, s10, s46
	s_and_not1_b32 s10, s47, exec_lo
	s_and_b32 s47, s48, exec_lo
	s_delay_alu instid0(SALU_CYCLE_1)
	s_or_b32 s47, s10, s47
	s_and_not1_b32 exec_lo, exec_lo, s46
	s_cbranch_execz .LBB119_52
.LBB119_44:                             ;   Parent Loop BB119_11 Depth=1
                                        ; =>  This Loop Header: Depth=2
                                        ;       Child Loop BB119_48 Depth 3
	v_lshlrev_b64 v[22:23], 3, v[18:19]
	s_delay_alu instid0(VALU_DEP_1) | instskip(NEXT) | instid1(VALU_DEP_2)
	v_add_co_u32 v20, vcc_lo, s14, v22
	v_add_co_ci_u32_e32 v21, vcc_lo, s15, v23, vcc_lo
	global_load_b64 v[20:21], v[20:21], off
	s_waitcnt vmcnt(0)
	v_sub_co_u32 v20, vcc_lo, v20, s44
	v_subrev_co_ci_u32_e32 v21, vcc_lo, 0, v21, vcc_lo
	s_delay_alu instid0(VALU_DEP_1)
	v_cmp_lt_i64_e32 vcc_lo, v[20:21], v[14:15]
	v_cmp_lt_i64_e64 s10, v[20:21], v[12:13]
	s_xor_b32 s49, vcc_lo, -1
	s_delay_alu instid0(VALU_DEP_1) | instid1(SALU_CYCLE_1)
	s_or_b32 s50, s10, s49
	s_mov_b32 s10, 0
                                        ; implicit-def: $sgpr49
	s_and_saveexec_b32 s51, s50
	s_delay_alu instid0(SALU_CYCLE_1)
	s_xor_b32 s50, exec_lo, s51
; %bb.45:                               ;   in Loop: Header=BB119_44 Depth=2
	s_mov_b32 s49, -1
	s_and_b32 s10, vcc_lo, exec_lo
                                        ; implicit-def: $vgpr22_vgpr23
; %bb.46:                               ;   in Loop: Header=BB119_44 Depth=2
	s_and_not1_saveexec_b32 s50, s50
	s_cbranch_execz .LBB119_50
; %bb.47:                               ;   in Loop: Header=BB119_44 Depth=2
	v_add_co_u32 v22, vcc_lo, s16, v22
	v_add_co_ci_u32_e32 v23, vcc_lo, s17, v23, vcc_lo
	v_sub_nc_u32_e32 v24, v20, v12
	s_mov_b32 s51, 0
	global_load_b64 v[22:23], v[22:23], off
	v_lshlrev_b32_e32 v26, 3, v24
	ds_store_b8 v24, v45 offset:16384
	ds_load_b64 v[24:25], v26
	s_waitcnt vmcnt(0)
	v_mul_f64 v[22:23], v[3:4], v[22:23]
.LBB119_48:                             ;   Parent Loop BB119_11 Depth=1
                                        ;     Parent Loop BB119_44 Depth=2
                                        ; =>    This Inner Loop Header: Depth=3
	s_waitcnt lgkmcnt(0)
	s_delay_alu instid0(VALU_DEP_1)
	v_add_f64 v[27:28], v[24:25], v[22:23]
	ds_cmpstore_rtn_b64 v[27:28], v26, v[27:28], v[24:25]
	s_waitcnt lgkmcnt(0)
	v_cmp_eq_u64_e32 vcc_lo, v[27:28], v[24:25]
	v_dual_mov_b32 v24, v27 :: v_dual_mov_b32 v25, v28
	s_or_b32 s51, vcc_lo, s51
	s_delay_alu instid0(SALU_CYCLE_1)
	s_and_not1_b32 exec_lo, exec_lo, s51
	s_cbranch_execnz .LBB119_48
; %bb.49:                               ;   in Loop: Header=BB119_44 Depth=2
	s_or_b32 exec_lo, exec_lo, s51
	s_delay_alu instid0(SALU_CYCLE_1)
	s_or_b32 s10, s10, exec_lo
.LBB119_50:                             ;   in Loop: Header=BB119_44 Depth=2
	s_or_b32 exec_lo, exec_lo, s50
	s_delay_alu instid0(SALU_CYCLE_1)
	s_and_not1_b32 s48, s48, exec_lo
	s_and_b32 s50, s49, exec_lo
	s_mov_b32 s49, -1
	s_or_b32 s48, s48, s50
	s_and_saveexec_b32 s50, s10
	s_cbranch_execz .LBB119_43
; %bb.51:                               ;   in Loop: Header=BB119_44 Depth=2
	v_add_co_u32 v18, vcc_lo, 0x200, v18
	v_add_co_ci_u32_e32 v19, vcc_lo, 0, v19, vcc_lo
	s_and_not1_b32 s48, s48, exec_lo
	s_delay_alu instid0(VALU_DEP_1)
	v_cmp_le_i64_e32 vcc_lo, s[18:19], v[18:19]
	s_or_not1_b32 s49, vcc_lo, exec_lo
	s_branch .LBB119_43
.LBB119_52:                             ;   in Loop: Header=BB119_11 Depth=1
	s_or_b32 exec_lo, exec_lo, s46
	s_and_saveexec_b32 s10, s47
	s_delay_alu instid0(SALU_CYCLE_1)
	s_xor_b32 s10, exec_lo, s10
; %bb.53:                               ;   in Loop: Header=BB119_11 Depth=1
	v_cmp_lt_i64_e32 vcc_lo, v[20:21], v[16:17]
	v_dual_cndmask_b32 v17, v17, v21 :: v_dual_cndmask_b32 v16, v16, v20
; %bb.54:                               ;   in Loop: Header=BB119_11 Depth=1
	s_or_b32 exec_lo, exec_lo, s10
.LBB119_55:                             ;   in Loop: Header=BB119_11 Depth=1
	s_delay_alu instid0(SALU_CYCLE_1)
	s_or_b32 exec_lo, exec_lo, s11
.LBB119_56:                             ;   in Loop: Header=BB119_11 Depth=1
	ds_bpermute_b32 v12, v39, v16
	ds_bpermute_b32 v13, v39, v17
	s_waitcnt lgkmcnt(0)
	v_cmp_lt_i64_e32 vcc_lo, v[12:13], v[16:17]
	v_dual_cndmask_b32 v13, v17, v13 :: v_dual_cndmask_b32 v12, v16, v12
	ds_bpermute_b32 v15, v40, v13
	ds_bpermute_b32 v14, v40, v12
	s_waitcnt lgkmcnt(0)
	v_cmp_lt_i64_e32 vcc_lo, v[14:15], v[12:13]
	v_dual_cndmask_b32 v13, v13, v15 :: v_dual_cndmask_b32 v12, v12, v14
	;; [unrolled: 5-line block ×3, first 2 shown]
	ds_bpermute_b32 v15, v42, v13
	ds_bpermute_b32 v14, v42, v12
	s_and_saveexec_b32 s18, s1
	s_cbranch_execz .LBB119_61
; %bb.57:                               ;   in Loop: Header=BB119_11 Depth=1
	s_waitcnt lgkmcnt(0)
	v_cmp_lt_i64_e32 vcc_lo, v[14:15], v[12:13]
	s_mov_b32 s19, exec_lo
	s_mov_b64 s[10:11], -1
	v_dual_cndmask_b32 v13, v13, v15 :: v_dual_cndmask_b32 v12, v12, v14
.LBB119_58:                             ;   Parent Loop BB119_11 Depth=1
                                        ; =>  This Inner Loop Header: Depth=2
	s_ctz_i32_b32 s48, s19
	s_delay_alu instid0(VALU_DEP_1) | instid1(SALU_CYCLE_1)
	v_readlane_b32 s47, v13, s48
	s_delay_alu instid0(VALU_DEP_2) | instskip(NEXT) | instid1(VALU_DEP_1)
	v_readlane_b32 s46, v12, s48
	v_cmp_lt_u64_e64 s49, s[10:11], s[46:47]
	s_delay_alu instid0(VALU_DEP_1) | instskip(SKIP_3) | instid1(SALU_CYCLE_1)
	s_and_b32 s49, s49, exec_lo
	s_cselect_b32 s11, s11, s47
	s_cselect_b32 s10, s10, s46
	s_lshl_b32 s46, 1, s48
	s_and_not1_b32 s19, s19, s46
	s_delay_alu instid0(SALU_CYCLE_1)
	s_cmp_lg_u32 s19, 0
	s_cbranch_scc1 .LBB119_58
; %bb.59:                               ;   in Loop: Header=BB119_11 Depth=1
	v_mbcnt_lo_u32_b32 v12, exec_lo, 0
	s_mov_b32 s19, exec_lo
	s_delay_alu instid0(VALU_DEP_1)
	v_cmpx_eq_u32_e32 0, v12
	s_xor_b32 s19, exec_lo, s19
	s_cbranch_execz .LBB119_61
; %bb.60:                               ;   in Loop: Header=BB119_11 Depth=1
	v_dual_mov_b32 v13, s11 :: v_dual_mov_b32 v12, s10
	ds_min_u64 v5, v[12:13] offset:18432
.LBB119_61:                             ;   in Loop: Header=BB119_11 Depth=1
	s_or_b32 exec_lo, exec_lo, s18
	v_mov_b32_e32 v16, v0
	v_mov_b32_e32 v17, v44
	s_mov_b32 s11, 0
	s_waitcnt lgkmcnt(0)
	s_waitcnt_vscnt null, 0x0
	s_barrier
	buffer_gl0_inv
	s_branch .LBB119_63
.LBB119_62:                             ;   in Loop: Header=BB119_63 Depth=2
	s_or_b32 exec_lo, exec_lo, s10
	s_waitcnt lgkmcnt(0)
	s_waitcnt_vscnt null, 0x0
	s_barrier
	buffer_gl0_inv
	ds_load_b32 v12, v5 offset:28
	v_add_nc_u32_e32 v17, 0x200, v17
	v_add_nc_u32_e32 v16, 0x1000, v16
	s_delay_alu instid0(VALU_DEP_2) | instskip(SKIP_4) | instid1(VALU_DEP_1)
	v_cmp_lt_u32_e32 vcc_lo, 0x5ff, v17
	s_or_b32 s11, vcc_lo, s11
	s_waitcnt lgkmcnt(0)
	v_ashrrev_i32_e32 v13, 31, v12
	v_add_co_u32 v10, s10, v10, v12
	v_add_co_ci_u32_e64 v11, s10, v11, v13, s10
	s_and_not1_b32 exec_lo, exec_lo, s11
	s_cbranch_execz .LBB119_10
.LBB119_63:                             ;   Parent Loop BB119_11 Depth=1
                                        ; =>  This Inner Loop Header: Depth=2
	ds_load_u8 v14, v17 offset:16896
	ds_load_b64 v[12:13], v16
	s_waitcnt lgkmcnt(0)
	s_barrier
	buffer_gl0_inv
	v_cmp_ne_u16_e32 vcc_lo, 0, v14
	s_bcnt1_i32_b32 s10, vcc_lo
	s_delay_alu instid0(SALU_CYCLE_1)
	v_mov_b32_e32 v15, s10
	s_mov_b32 s10, exec_lo
	ds_store_b32 v43, v15
	s_waitcnt lgkmcnt(0)
	s_barrier
	buffer_gl0_inv
	ds_load_b128 v[18:21], v5
	ds_load_b96 v[22:24], v5 offset:16
	v_and_b32_e32 v15, vcc_lo, v9
	s_waitcnt lgkmcnt(1)
	v_cndmask_b32_e64 v18, v18, 0, s3
	v_cndmask_b32_e64 v19, v19, 0, s4
	;; [unrolled: 1-line block ×3, first 2 shown]
	s_delay_alu instid0(VALU_DEP_3) | instskip(SKIP_3) | instid1(VALU_DEP_3)
	v_bcnt_u32_b32 v15, v15, v18
	v_cndmask_b32_e64 v18, v21, 0, s6
	s_waitcnt lgkmcnt(0)
	v_cndmask_b32_e64 v21, v22, 0, s7
	v_add3_u32 v15, v15, v19, v20
	v_cndmask_b32_e64 v19, v23, 0, s8
	v_cndmask_b32_e64 v20, v24, 0, s9
	s_delay_alu instid0(VALU_DEP_3) | instskip(SKIP_1) | instid1(VALU_DEP_2)
	v_add3_u32 v15, v15, v18, v21
	v_and_b32_e32 v18, 1, v14
	v_add3_u32 v14, v15, v19, v20
	s_delay_alu instid0(VALU_DEP_2)
	v_cmpx_eq_u32_e32 1, v18
	s_cbranch_execz .LBB119_65
; %bb.64:                               ;   in Loop: Header=BB119_63 Depth=2
	s_delay_alu instid0(VALU_DEP_2) | instskip(SKIP_1) | instid1(VALU_DEP_2)
	v_ashrrev_i32_e32 v15, 31, v14
	v_lshlrev_b64 v[18:19], 3, v[10:11]
	v_lshlrev_b64 v[20:21], 3, v[14:15]
	s_delay_alu instid0(VALU_DEP_2) | instskip(NEXT) | instid1(VALU_DEP_3)
	v_add_co_u32 v15, vcc_lo, s36, v18
	v_add_co_ci_u32_e32 v19, vcc_lo, s37, v19, vcc_lo
	s_delay_alu instid0(VALU_DEP_2) | instskip(NEXT) | instid1(VALU_DEP_2)
	v_add_co_u32 v18, vcc_lo, v15, v20
	v_add_co_ci_u32_e32 v19, vcc_lo, v19, v21, vcc_lo
	global_store_b64 v[18:19], v[12:13], off offset:-8
.LBB119_65:                             ;   in Loop: Header=BB119_63 Depth=2
	s_or_b32 exec_lo, exec_lo, s10
	s_and_saveexec_b32 s10, s2
	s_cbranch_execz .LBB119_62
; %bb.66:                               ;   in Loop: Header=BB119_63 Depth=2
	ds_store_b32 v5, v14 offset:28
	s_branch .LBB119_62
.LBB119_67:
	s_endpgm
	.section	.rodata,"a",@progbits
	.p2align	6, 0x0
	.amdhsa_kernel _ZN9rocsparseL51csrgemm_numeric_fill_block_per_row_multipass_kernelILj512ELj16ELj2048ELj64ElldEEvT4_PKS1_S3_NS_24const_host_device_scalarIT5_EEPKT3_S3_PKS5_S9_S3_SB_S6_S9_S3_SB_S9_S3_PS5_PS7_21rocsparse_index_base_SE_SE_SE_bbb
		.amdhsa_group_segment_fixed_size 18440
		.amdhsa_private_segment_fixed_size 0
		.amdhsa_kernarg_size 164
		.amdhsa_user_sgpr_count 15
		.amdhsa_user_sgpr_dispatch_ptr 0
		.amdhsa_user_sgpr_queue_ptr 0
		.amdhsa_user_sgpr_kernarg_segment_ptr 1
		.amdhsa_user_sgpr_dispatch_id 0
		.amdhsa_user_sgpr_private_segment_size 0
		.amdhsa_wavefront_size32 1
		.amdhsa_uses_dynamic_stack 0
		.amdhsa_enable_private_segment 0
		.amdhsa_system_sgpr_workgroup_id_x 1
		.amdhsa_system_sgpr_workgroup_id_y 0
		.amdhsa_system_sgpr_workgroup_id_z 0
		.amdhsa_system_sgpr_workgroup_info 0
		.amdhsa_system_vgpr_workitem_id 0
		.amdhsa_next_free_vgpr 49
		.amdhsa_next_free_sgpr 53
		.amdhsa_reserve_vcc 1
		.amdhsa_float_round_mode_32 0
		.amdhsa_float_round_mode_16_64 0
		.amdhsa_float_denorm_mode_32 3
		.amdhsa_float_denorm_mode_16_64 3
		.amdhsa_dx10_clamp 1
		.amdhsa_ieee_mode 1
		.amdhsa_fp16_overflow 0
		.amdhsa_workgroup_processor_mode 1
		.amdhsa_memory_ordered 1
		.amdhsa_forward_progress 0
		.amdhsa_shared_vgpr_count 0
		.amdhsa_exception_fp_ieee_invalid_op 0
		.amdhsa_exception_fp_denorm_src 0
		.amdhsa_exception_fp_ieee_div_zero 0
		.amdhsa_exception_fp_ieee_overflow 0
		.amdhsa_exception_fp_ieee_underflow 0
		.amdhsa_exception_fp_ieee_inexact 0
		.amdhsa_exception_int_div_zero 0
	.end_amdhsa_kernel
	.section	.text._ZN9rocsparseL51csrgemm_numeric_fill_block_per_row_multipass_kernelILj512ELj16ELj2048ELj64ElldEEvT4_PKS1_S3_NS_24const_host_device_scalarIT5_EEPKT3_S3_PKS5_S9_S3_SB_S6_S9_S3_SB_S9_S3_PS5_PS7_21rocsparse_index_base_SE_SE_SE_bbb,"axG",@progbits,_ZN9rocsparseL51csrgemm_numeric_fill_block_per_row_multipass_kernelILj512ELj16ELj2048ELj64ElldEEvT4_PKS1_S3_NS_24const_host_device_scalarIT5_EEPKT3_S3_PKS5_S9_S3_SB_S6_S9_S3_SB_S9_S3_PS5_PS7_21rocsparse_index_base_SE_SE_SE_bbb,comdat
.Lfunc_end119:
	.size	_ZN9rocsparseL51csrgemm_numeric_fill_block_per_row_multipass_kernelILj512ELj16ELj2048ELj64ElldEEvT4_PKS1_S3_NS_24const_host_device_scalarIT5_EEPKT3_S3_PKS5_S9_S3_SB_S6_S9_S3_SB_S9_S3_PS5_PS7_21rocsparse_index_base_SE_SE_SE_bbb, .Lfunc_end119-_ZN9rocsparseL51csrgemm_numeric_fill_block_per_row_multipass_kernelILj512ELj16ELj2048ELj64ElldEEvT4_PKS1_S3_NS_24const_host_device_scalarIT5_EEPKT3_S3_PKS5_S9_S3_SB_S6_S9_S3_SB_S9_S3_PS5_PS7_21rocsparse_index_base_SE_SE_SE_bbb
                                        ; -- End function
	.section	.AMDGPU.csdata,"",@progbits
; Kernel info:
; codeLenInByte = 3152
; NumSgprs: 55
; NumVgprs: 49
; ScratchSize: 0
; MemoryBound: 0
; FloatMode: 240
; IeeeMode: 1
; LDSByteSize: 18440 bytes/workgroup (compile time only)
; SGPRBlocks: 6
; VGPRBlocks: 6
; NumSGPRsForWavesPerEU: 55
; NumVGPRsForWavesPerEU: 49
; Occupancy: 16
; WaveLimiterHint : 1
; COMPUTE_PGM_RSRC2:SCRATCH_EN: 0
; COMPUTE_PGM_RSRC2:USER_SGPR: 15
; COMPUTE_PGM_RSRC2:TRAP_HANDLER: 0
; COMPUTE_PGM_RSRC2:TGID_X_EN: 1
; COMPUTE_PGM_RSRC2:TGID_Y_EN: 0
; COMPUTE_PGM_RSRC2:TGID_Z_EN: 0
; COMPUTE_PGM_RSRC2:TIDIG_COMP_CNT: 0
	.section	.text._ZN9rocsparseL38csrgemm_numeric_fill_wf_per_row_kernelILj256ELj8ELj16ELj137Ell21rocsparse_complex_numIfEEEvT4_S3_PKS3_S5_NS_24const_host_device_scalarIT5_EEPKT3_S5_PKS7_SB_S5_SD_S8_SB_S5_SD_SB_S5_PS7_21rocsparse_index_base_SF_SF_SF_bbb,"axG",@progbits,_ZN9rocsparseL38csrgemm_numeric_fill_wf_per_row_kernelILj256ELj8ELj16ELj137Ell21rocsparse_complex_numIfEEEvT4_S3_PKS3_S5_NS_24const_host_device_scalarIT5_EEPKT3_S5_PKS7_SB_S5_SD_S8_SB_S5_SD_SB_S5_PS7_21rocsparse_index_base_SF_SF_SF_bbb,comdat
	.globl	_ZN9rocsparseL38csrgemm_numeric_fill_wf_per_row_kernelILj256ELj8ELj16ELj137Ell21rocsparse_complex_numIfEEEvT4_S3_PKS3_S5_NS_24const_host_device_scalarIT5_EEPKT3_S5_PKS7_SB_S5_SD_S8_SB_S5_SD_SB_S5_PS7_21rocsparse_index_base_SF_SF_SF_bbb ; -- Begin function _ZN9rocsparseL38csrgemm_numeric_fill_wf_per_row_kernelILj256ELj8ELj16ELj137Ell21rocsparse_complex_numIfEEEvT4_S3_PKS3_S5_NS_24const_host_device_scalarIT5_EEPKT3_S5_PKS7_SB_S5_SD_S8_SB_S5_SD_SB_S5_PS7_21rocsparse_index_base_SF_SF_SF_bbb
	.p2align	8
	.type	_ZN9rocsparseL38csrgemm_numeric_fill_wf_per_row_kernelILj256ELj8ELj16ELj137Ell21rocsparse_complex_numIfEEEvT4_S3_PKS3_S5_NS_24const_host_device_scalarIT5_EEPKT3_S5_PKS7_SB_S5_SD_S8_SB_S5_SD_SB_S5_PS7_21rocsparse_index_base_SF_SF_SF_bbb,@function
_ZN9rocsparseL38csrgemm_numeric_fill_wf_per_row_kernelILj256ELj8ELj16ELj137Ell21rocsparse_complex_numIfEEEvT4_S3_PKS3_S5_NS_24const_host_device_scalarIT5_EEPKT3_S5_PKS7_SB_S5_SD_S8_SB_S5_SD_SB_S5_PS7_21rocsparse_index_base_SF_SF_SF_bbb: ; @_ZN9rocsparseL38csrgemm_numeric_fill_wf_per_row_kernelILj256ELj8ELj16ELj137Ell21rocsparse_complex_numIfEEEvT4_S3_PKS3_S5_NS_24const_host_device_scalarIT5_EEPKT3_S5_PKS7_SB_S5_SD_S8_SB_S5_SD_SB_S5_PS7_21rocsparse_index_base_SF_SF_SF_bbb
; %bb.0:
	s_clause 0x7
	s_load_b32 s2, s[0:1], 0xa0
	s_load_b64 s[34:35], s[0:1], 0x78
	s_load_b128 s[28:31], s[0:1], 0x68
	s_load_b256 s[4:11], s[0:1], 0x48
	s_load_b128 s[36:39], s[0:1], 0x10
	s_load_b256 s[16:23], s[0:1], 0x28
	s_load_b64 s[12:13], s[0:1], 0x88
	s_load_b128 s[24:27], s[0:1], 0x90
	s_mov_b32 s41, 0
	s_mov_b32 s42, 0
	s_waitcnt lgkmcnt(0)
	s_bitcmp1_b32 s2, 0
	s_cselect_b32 s43, -1, 0
	s_bitcmp1_b32 s2, 16
	s_cselect_b32 s3, -1, 0
	s_delay_alu instid0(SALU_CYCLE_1) | instskip(SKIP_2) | instid1(VALU_DEP_1)
	s_xor_b32 s3, s3, -1
	s_bitcmp0_b32 s2, 0
	v_cndmask_b32_e64 v1, 0, 1, s3
	v_cmp_ne_u32_e32 vcc_lo, 1, v1
	s_cbranch_scc1 .LBB120_5
; %bb.1:
	s_load_b64 s[40:41], s[0:1], 0x20
	s_and_b32 vcc_lo, exec_lo, vcc_lo
	s_waitcnt lgkmcnt(0)
	s_mov_b32 s42, s40
	s_cbranch_vccnz .LBB120_3
; %bb.2:
	s_load_b32 s42, s[40:41], 0x0
.LBB120_3:
	s_and_not1_b32 vcc_lo, exec_lo, s3
	s_cbranch_vccnz .LBB120_5
; %bb.4:
	s_load_b32 s41, s[40:41], 0x4
.LBB120_5:
	s_bitcmp1_b32 s2, 8
	s_mov_b32 s33, 0
	s_cselect_b32 s40, -1, 0
	s_bfe_u32 s2, s2, 0x10008
	s_mov_b32 s14, 0
	s_cmp_eq_u32 s2, 0
	s_cbranch_scc1 .LBB120_11
; %bb.6:
	v_cmp_ne_u32_e32 vcc_lo, 1, v1
	s_mov_b32 s14, s8
	s_cbranch_vccnz .LBB120_8
; %bb.7:
	s_load_b32 s14, s[8:9], 0x0
.LBB120_8:
	v_cmp_ne_u32_e32 vcc_lo, 1, v1
	s_cbranch_vccnz .LBB120_10
; %bb.9:
	s_load_b32 s9, s[8:9], 0x4
.LBB120_10:
	s_waitcnt lgkmcnt(0)
	s_mov_b32 s33, s9
.LBB120_11:
	s_load_b128 s[0:3], s[0:1], 0x0
	v_and_b32_e32 v18, 7, v0
	v_lshrrev_b32_e32 v4, 3, v0
	s_mov_b32 s8, 0
	s_delay_alu instid0(VALU_DEP_2) | instskip(NEXT) | instid1(VALU_DEP_1)
	v_dual_mov_b32 v0, 0 :: v_dual_lshlrev_b32 v1, 3, v18
	v_lshl_or_b32 v14, v4, 7, v1
	s_delay_alu instid0(VALU_DEP_2) | instskip(SKIP_1) | instid1(VALU_DEP_1)
	v_mov_b32_e32 v1, v0
	v_or_b32_e32 v15, -8, v18
	v_dual_mov_b32 v5, v14 :: v_dual_mov_b32 v6, v15
	s_waitcnt lgkmcnt(0)
	v_dual_mov_b32 v2, s2 :: v_dual_mov_b32 v3, s3
.LBB120_12:                             ; =>This Inner Loop Header: Depth=1
	s_delay_alu instid0(VALU_DEP_2) | instskip(NEXT) | instid1(VALU_DEP_1)
	v_add_co_u32 v6, s9, v6, 8
	s_xor_b32 s9, s9, -1
	ds_store_2addr_stride64_b64 v5, v[0:1], v[2:3] offset1:8
	v_add_nc_u32_e32 v5, 64, v5
	s_and_b32 s9, exec_lo, s9
	s_delay_alu instid0(SALU_CYCLE_1) | instskip(NEXT) | instid1(SALU_CYCLE_1)
	s_or_b32 s8, s9, s8
	s_and_not1_b32 exec_lo, exec_lo, s8
	s_cbranch_execnz .LBB120_12
; %bb.13:
	s_or_b32 exec_lo, exec_lo, s8
	s_lshl_b32 s8, s15, 5
	v_mov_b32_e32 v1, 0
	v_and_or_b32 v0, 0x1fffffe0, s8, v4
	s_waitcnt lgkmcnt(0)
	buffer_gl0_inv
	v_cmp_gt_i64_e32 vcc_lo, s[0:1], v[0:1]
	s_and_saveexec_b32 s0, vcc_lo
	s_cbranch_execz .LBB120_57
; %bb.14:
	s_cmp_eq_u64 s[38:39], 0
	s_cbranch_scc1 .LBB120_16
; %bb.15:
	s_load_b64 s[0:1], s[36:37], 0x0
	v_lshlrev_b32_e32 v0, 3, v0
	s_waitcnt lgkmcnt(0)
	s_lshl_b64 s[0:1], s[0:1], 3
	s_delay_alu instid0(SALU_CYCLE_1)
	s_add_u32 s0, s38, s0
	s_addc_u32 s1, s39, s1
	global_load_b64 v[0:1], v0, s[0:1]
.LBB120_16:
	v_lshlrev_b32_e32 v17, 7, v4
	s_waitcnt vmcnt(0)
	v_lshlrev_b64 v[4:5], 3, v[0:1]
	s_and_not1_b32 vcc_lo, exec_lo, s43
	s_delay_alu instid0(VALU_DEP_2)
	v_or_b32_e32 v16, 0x1000, v17
	s_cbranch_vccnz .LBB120_36
; %bb.17:
	s_delay_alu instid0(VALU_DEP_2) | instskip(NEXT) | instid1(VALU_DEP_3)
	v_add_co_u32 v0, vcc_lo, s16, v4
	v_add_co_ci_u32_e32 v1, vcc_lo, s17, v5, vcc_lo
	v_sub_co_u32 v8, s0, v18, s24
	s_delay_alu instid0(VALU_DEP_1)
	v_sub_co_ci_u32_e64 v9, null, 0, 0, s0
	global_load_b128 v[0:3], v[0:1], off
	s_mov_b32 s1, 0
	s_mov_b32 s0, exec_lo
	s_waitcnt vmcnt(0)
	v_sub_co_u32 v6, vcc_lo, v2, s24
	v_subrev_co_ci_u32_e32 v7, vcc_lo, 0, v3, vcc_lo
	v_add_co_u32 v8, vcc_lo, v0, v8
	v_add_co_ci_u32_e32 v9, vcc_lo, v1, v9, vcc_lo
	s_delay_alu instid0(VALU_DEP_1)
	v_cmpx_lt_i64_e64 v[8:9], v[6:7]
	s_cbranch_execz .LBB120_35
; %bb.18:
	s_mov_b32 s8, s25
	s_branch .LBB120_20
.LBB120_19:                             ;   in Loop: Header=BB120_20 Depth=1
	s_or_b32 exec_lo, exec_lo, s9
	v_add_co_u32 v8, vcc_lo, v8, 8
	v_add_co_ci_u32_e32 v9, vcc_lo, 0, v9, vcc_lo
	s_delay_alu instid0(VALU_DEP_1) | instskip(SKIP_1) | instid1(SALU_CYCLE_1)
	v_cmp_ge_i64_e32 vcc_lo, v[8:9], v[6:7]
	s_or_b32 s1, vcc_lo, s1
	s_and_not1_b32 exec_lo, exec_lo, s1
	s_cbranch_execz .LBB120_35
.LBB120_20:                             ; =>This Loop Header: Depth=1
                                        ;     Child Loop BB120_23 Depth 2
                                        ;       Child Loop BB120_25 Depth 3
	v_lshlrev_b64 v[10:11], 3, v[8:9]
	s_mov_b32 s9, exec_lo
	s_delay_alu instid0(VALU_DEP_1) | instskip(NEXT) | instid1(VALU_DEP_2)
	v_add_co_u32 v0, vcc_lo, s18, v10
	v_add_co_ci_u32_e32 v1, vcc_lo, s19, v11, vcc_lo
	global_load_b64 v[0:1], v[0:1], off
	s_waitcnt vmcnt(0)
	v_sub_co_u32 v0, vcc_lo, v0, s24
	v_subrev_co_ci_u32_e32 v1, vcc_lo, 0, v1, vcc_lo
	s_delay_alu instid0(VALU_DEP_1) | instskip(NEXT) | instid1(VALU_DEP_1)
	v_lshlrev_b64 v[0:1], 3, v[0:1]
	v_add_co_u32 v0, vcc_lo, s22, v0
	s_delay_alu instid0(VALU_DEP_2)
	v_add_co_ci_u32_e32 v1, vcc_lo, s23, v1, vcc_lo
	global_load_b128 v[0:3], v[0:1], off
	s_waitcnt vmcnt(0)
	v_cmpx_lt_i64_e64 v[0:1], v[2:3]
	s_cbranch_execz .LBB120_19
; %bb.21:                               ;   in Loop: Header=BB120_20 Depth=1
	v_add_co_u32 v10, vcc_lo, s20, v10
	v_add_co_ci_u32_e32 v11, vcc_lo, s21, v11, vcc_lo
	v_sub_co_u32 v2, vcc_lo, v2, s8
	v_subrev_co_ci_u32_e32 v3, vcc_lo, 0, v3, vcc_lo
	global_load_b64 v[10:11], v[10:11], off
	v_sub_co_u32 v0, vcc_lo, v0, s8
	v_subrev_co_ci_u32_e32 v1, vcc_lo, 0, v1, vcc_lo
	s_mov_b32 s15, 0
	s_waitcnt vmcnt(0)
	v_mul_f32_e64 v19, v11, -s41
	s_delay_alu instid0(VALU_DEP_1) | instskip(NEXT) | instid1(VALU_DEP_1)
	v_dual_mul_f32 v20, s42, v11 :: v_dual_fmac_f32 v19, s42, v10
	v_fmac_f32_e32 v20, s41, v10
	s_branch .LBB120_23
.LBB120_22:                             ;   in Loop: Header=BB120_23 Depth=2
	s_or_b32 exec_lo, exec_lo, s16
	v_add_co_u32 v0, vcc_lo, v0, 1
	v_add_co_ci_u32_e32 v1, vcc_lo, 0, v1, vcc_lo
	s_delay_alu instid0(VALU_DEP_1) | instskip(SKIP_1) | instid1(SALU_CYCLE_1)
	v_cmp_ge_i64_e32 vcc_lo, v[0:1], v[2:3]
	s_or_b32 s15, vcc_lo, s15
	s_and_not1_b32 exec_lo, exec_lo, s15
	s_cbranch_execz .LBB120_19
.LBB120_23:                             ;   Parent Loop BB120_20 Depth=1
                                        ; =>  This Loop Header: Depth=2
                                        ;       Child Loop BB120_25 Depth 3
	v_lshlrev_b64 v[10:11], 3, v[0:1]
	s_mov_b32 s16, 0
	s_delay_alu instid0(VALU_DEP_1) | instskip(NEXT) | instid1(VALU_DEP_2)
	v_add_co_u32 v12, vcc_lo, s4, v10
	v_add_co_ci_u32_e32 v13, vcc_lo, s5, v11, vcc_lo
	v_add_co_u32 v10, vcc_lo, s6, v10
	v_add_co_ci_u32_e32 v11, vcc_lo, s7, v11, vcc_lo
	global_load_b64 v[12:13], v[12:13], off
	global_load_b64 v[23:24], v[10:11], off
	s_waitcnt vmcnt(1)
	v_sub_co_u32 v10, vcc_lo, v12, s8
	s_waitcnt vmcnt(0)
	v_mul_f32_e64 v21, v24, -v20
	v_mul_f32_e32 v22, v19, v24
	v_subrev_co_ci_u32_e32 v11, vcc_lo, 0, v13, vcc_lo
	v_lshl_add_u32 v12, v10, 3, v10
	s_delay_alu instid0(VALU_DEP_4) | instskip(NEXT) | instid1(VALU_DEP_2)
	v_fmac_f32_e32 v21, v19, v23
	v_dual_fmac_f32 v22, v20, v23 :: v_dual_and_b32 v23, 15, v12
	s_branch .LBB120_25
.LBB120_24:                             ;   in Loop: Header=BB120_25 Depth=3
	s_or_b32 exec_lo, exec_lo, s17
	s_xor_b32 s17, s25, -1
	s_delay_alu instid0(SALU_CYCLE_1) | instskip(NEXT) | instid1(SALU_CYCLE_1)
	s_and_b32 s17, exec_lo, s17
	s_or_b32 s16, s17, s16
	s_delay_alu instid0(SALU_CYCLE_1)
	s_and_not1_b32 exec_lo, exec_lo, s16
	s_cbranch_execz .LBB120_22
.LBB120_25:                             ;   Parent Loop BB120_20 Depth=1
                                        ;     Parent Loop BB120_23 Depth=2
                                        ; =>    This Inner Loop Header: Depth=3
	s_delay_alu instid0(VALU_DEP_1)
	v_lshl_add_u32 v24, v23, 3, v16
	s_mov_b32 s17, exec_lo
                                        ; implicit-def: $sgpr25
	ds_load_b64 v[12:13], v24
	s_waitcnt lgkmcnt(0)
	v_cmpx_ne_u64_e64 v[12:13], v[10:11]
	s_xor_b32 s17, exec_lo, s17
	s_cbranch_execz .LBB120_33
; %bb.26:                               ;   in Loop: Header=BB120_25 Depth=3
	s_mov_b32 s36, exec_lo
                                        ; implicit-def: $sgpr25
	v_cmpx_ne_u64_e64 s[2:3], v[12:13]
	s_xor_b32 s36, exec_lo, s36
; %bb.27:                               ;   in Loop: Header=BB120_25 Depth=3
	v_add_nc_u32_e32 v12, 1, v23
	s_mov_b32 s25, -1
                                        ; implicit-def: $vgpr24
	s_delay_alu instid0(VALU_DEP_1)
	v_and_b32_e32 v23, 15, v12
; %bb.28:                               ;   in Loop: Header=BB120_25 Depth=3
	s_and_not1_saveexec_b32 s36, s36
	s_cbranch_execz .LBB120_32
; %bb.29:                               ;   in Loop: Header=BB120_25 Depth=3
	v_dual_mov_b32 v13, s3 :: v_dual_mov_b32 v12, s2
	s_mov_b32 s37, -1
	s_mov_b32 s38, exec_lo
	ds_cmpstore_rtn_b64 v[12:13], v24, v[10:11], v[12:13]
	s_waitcnt lgkmcnt(0)
	v_cmpx_eq_u64_e64 s[2:3], v[12:13]
	s_cbranch_execz .LBB120_31
; %bb.30:                               ;   in Loop: Header=BB120_25 Depth=3
	v_lshl_add_u32 v12, v23, 3, v17
	s_xor_b32 s37, exec_lo, -1
	ds_add_f32 v12, v21
	ds_add_f32 v12, v22 offset:4
.LBB120_31:                             ;   in Loop: Header=BB120_25 Depth=3
	s_or_b32 exec_lo, exec_lo, s38
	s_delay_alu instid0(SALU_CYCLE_1) | instskip(SKIP_1) | instid1(SALU_CYCLE_1)
	s_and_not1_b32 s25, s25, exec_lo
	s_and_b32 s37, s37, exec_lo
	s_or_b32 s25, s25, s37
.LBB120_32:                             ;   in Loop: Header=BB120_25 Depth=3
	s_or_b32 exec_lo, exec_lo, s36
	s_delay_alu instid0(SALU_CYCLE_1)
	s_and_b32 s25, s25, exec_lo
.LBB120_33:                             ;   in Loop: Header=BB120_25 Depth=3
	s_and_not1_saveexec_b32 s17, s17
	s_cbranch_execz .LBB120_24
; %bb.34:                               ;   in Loop: Header=BB120_25 Depth=3
	v_lshl_add_u32 v12, v23, 3, v17
	s_and_not1_b32 s25, s25, exec_lo
	ds_add_f32 v12, v21
	ds_add_f32 v12, v22 offset:4
	s_branch .LBB120_24
.LBB120_35:
	s_or_b32 exec_lo, exec_lo, s0
.LBB120_36:
	s_delay_alu instid0(SALU_CYCLE_1)
	s_and_not1_b32 vcc_lo, exec_lo, s40
	s_cbranch_vccnz .LBB120_53
; %bb.37:
	v_add_co_u32 v0, vcc_lo, s10, v4
	v_add_co_ci_u32_e32 v1, vcc_lo, s11, v5, vcc_lo
	v_sub_co_u32 v2, s0, v18, s27
	s_delay_alu instid0(VALU_DEP_1)
	v_sub_co_ci_u32_e64 v3, null, 0, 0, s0
	global_load_b128 v[6:9], v[0:1], off
	s_mov_b32 s0, 0
	s_mov_b32 s1, exec_lo
	s_waitcnt vmcnt(0)
	v_sub_co_u32 v0, vcc_lo, v8, s27
	v_subrev_co_ci_u32_e32 v1, vcc_lo, 0, v9, vcc_lo
	v_add_co_u32 v2, vcc_lo, v6, v2
	v_add_co_ci_u32_e32 v3, vcc_lo, v7, v3, vcc_lo
	s_delay_alu instid0(VALU_DEP_1)
	v_cmpx_lt_i64_e64 v[2:3], v[0:1]
	s_cbranch_execz .LBB120_52
; %bb.38:
	s_mov_b32 s4, s27
	s_branch .LBB120_40
.LBB120_39:                             ;   in Loop: Header=BB120_40 Depth=1
	s_or_b32 exec_lo, exec_lo, s5
	v_add_co_u32 v2, vcc_lo, v2, 8
	v_add_co_ci_u32_e32 v3, vcc_lo, 0, v3, vcc_lo
	s_delay_alu instid0(VALU_DEP_1) | instskip(SKIP_1) | instid1(SALU_CYCLE_1)
	v_cmp_ge_i64_e32 vcc_lo, v[2:3], v[0:1]
	s_or_b32 s0, vcc_lo, s0
	s_and_not1_b32 exec_lo, exec_lo, s0
	s_cbranch_execz .LBB120_52
.LBB120_40:                             ; =>This Loop Header: Depth=1
                                        ;     Child Loop BB120_42 Depth 2
	v_lshlrev_b64 v[6:7], 3, v[2:3]
	s_mov_b32 s5, 0
	s_delay_alu instid0(VALU_DEP_1) | instskip(NEXT) | instid1(VALU_DEP_2)
	v_add_co_u32 v8, vcc_lo, s28, v6
	v_add_co_ci_u32_e32 v9, vcc_lo, s29, v7, vcc_lo
	v_add_co_u32 v6, vcc_lo, s30, v6
	v_add_co_ci_u32_e32 v7, vcc_lo, s31, v7, vcc_lo
	global_load_b64 v[8:9], v[8:9], off
	global_load_b64 v[12:13], v[6:7], off
	s_waitcnt vmcnt(1)
	v_sub_co_u32 v6, vcc_lo, v8, s4
	s_waitcnt vmcnt(0)
	v_mul_f32_e64 v10, v13, -s33
	v_mul_f32_e32 v11, s14, v13
	v_subrev_co_ci_u32_e32 v7, vcc_lo, 0, v9, vcc_lo
	v_lshl_add_u32 v8, v6, 3, v6
	s_delay_alu instid0(VALU_DEP_4) | instskip(NEXT) | instid1(VALU_DEP_4)
	v_fmac_f32_e32 v10, s14, v12
	v_fmac_f32_e32 v11, s33, v12
	s_delay_alu instid0(VALU_DEP_3)
	v_and_b32_e32 v12, 15, v8
	s_branch .LBB120_42
.LBB120_41:                             ;   in Loop: Header=BB120_42 Depth=2
	s_or_b32 exec_lo, exec_lo, s6
	s_xor_b32 s6, s7, -1
	s_delay_alu instid0(SALU_CYCLE_1) | instskip(NEXT) | instid1(SALU_CYCLE_1)
	s_and_b32 s6, exec_lo, s6
	s_or_b32 s5, s6, s5
	s_delay_alu instid0(SALU_CYCLE_1)
	s_and_not1_b32 exec_lo, exec_lo, s5
	s_cbranch_execz .LBB120_39
.LBB120_42:                             ;   Parent Loop BB120_40 Depth=1
                                        ; =>  This Inner Loop Header: Depth=2
	s_delay_alu instid0(VALU_DEP_1)
	v_lshl_add_u32 v13, v12, 3, v16
	s_mov_b32 s6, exec_lo
                                        ; implicit-def: $sgpr7
	ds_load_b64 v[8:9], v13
	s_waitcnt lgkmcnt(0)
	v_cmpx_ne_u64_e64 v[8:9], v[6:7]
	s_xor_b32 s6, exec_lo, s6
	s_cbranch_execz .LBB120_50
; %bb.43:                               ;   in Loop: Header=BB120_42 Depth=2
	s_mov_b32 s8, exec_lo
                                        ; implicit-def: $sgpr7
	v_cmpx_ne_u64_e64 s[2:3], v[8:9]
	s_xor_b32 s8, exec_lo, s8
; %bb.44:                               ;   in Loop: Header=BB120_42 Depth=2
	v_add_nc_u32_e32 v8, 1, v12
	s_mov_b32 s7, -1
                                        ; implicit-def: $vgpr13
	s_delay_alu instid0(VALU_DEP_1)
	v_and_b32_e32 v12, 15, v8
; %bb.45:                               ;   in Loop: Header=BB120_42 Depth=2
	s_and_not1_saveexec_b32 s8, s8
	s_cbranch_execz .LBB120_49
; %bb.46:                               ;   in Loop: Header=BB120_42 Depth=2
	v_dual_mov_b32 v9, s3 :: v_dual_mov_b32 v8, s2
	s_mov_b32 s9, -1
	s_mov_b32 s10, exec_lo
	ds_cmpstore_rtn_b64 v[8:9], v13, v[6:7], v[8:9]
	s_waitcnt lgkmcnt(0)
	v_cmpx_eq_u64_e64 s[2:3], v[8:9]
	s_cbranch_execz .LBB120_48
; %bb.47:                               ;   in Loop: Header=BB120_42 Depth=2
	v_lshl_add_u32 v8, v12, 3, v17
	s_xor_b32 s9, exec_lo, -1
	ds_add_f32 v8, v10
	ds_add_f32 v8, v11 offset:4
.LBB120_48:                             ;   in Loop: Header=BB120_42 Depth=2
	s_or_b32 exec_lo, exec_lo, s10
	s_delay_alu instid0(SALU_CYCLE_1) | instskip(SKIP_1) | instid1(SALU_CYCLE_1)
	s_and_not1_b32 s7, s7, exec_lo
	s_and_b32 s9, s9, exec_lo
	s_or_b32 s7, s7, s9
.LBB120_49:                             ;   in Loop: Header=BB120_42 Depth=2
	s_or_b32 exec_lo, exec_lo, s8
	s_delay_alu instid0(SALU_CYCLE_1)
	s_and_b32 s7, s7, exec_lo
.LBB120_50:                             ;   in Loop: Header=BB120_42 Depth=2
	s_and_not1_saveexec_b32 s6, s6
	s_cbranch_execz .LBB120_41
; %bb.51:                               ;   in Loop: Header=BB120_42 Depth=2
	v_lshl_add_u32 v8, v12, 3, v17
	s_and_not1_b32 s7, s7, exec_lo
	ds_add_f32 v8, v10
	ds_add_f32 v8, v11 offset:4
	s_branch .LBB120_41
.LBB120_52:
	s_or_b32 exec_lo, exec_lo, s1
.LBB120_53:
	v_add_co_u32 v0, vcc_lo, s34, v4
	v_add_co_ci_u32_e32 v1, vcc_lo, s35, v5, vcc_lo
	s_waitcnt lgkmcnt(0)
	buffer_gl0_inv
	s_mov_b32 s0, 0
	global_load_b64 v[0:1], v[0:1], off
	s_waitcnt vmcnt(0)
	v_sub_co_u32 v0, vcc_lo, v0, s26
	v_subrev_co_ci_u32_e32 v1, vcc_lo, 0, v1, vcc_lo
	s_delay_alu instid0(VALU_DEP_1) | instskip(NEXT) | instid1(VALU_DEP_1)
	v_lshlrev_b64 v[0:1], 3, v[0:1]
	v_add_co_u32 v2, vcc_lo, s12, v0
	s_delay_alu instid0(VALU_DEP_2)
	v_add_co_ci_u32_e32 v3, vcc_lo, s13, v1, vcc_lo
	s_branch .LBB120_55
.LBB120_54:                             ;   in Loop: Header=BB120_55 Depth=1
	s_or_b32 exec_lo, exec_lo, s1
	v_add_co_u32 v15, s1, v15, 8
	s_delay_alu instid0(VALU_DEP_1) | instskip(SKIP_2) | instid1(SALU_CYCLE_1)
	s_xor_b32 s1, s1, -1
	v_add_nc_u32_e32 v14, 64, v14
	s_and_b32 s1, exec_lo, s1
	s_or_b32 s0, s1, s0
	s_delay_alu instid0(SALU_CYCLE_1)
	s_and_not1_b32 exec_lo, exec_lo, s0
	s_cbranch_execz .LBB120_57
.LBB120_55:                             ; =>This Inner Loop Header: Depth=1
	ds_load_b64 v[0:1], v14 offset:4096
	s_mov_b32 s1, exec_lo
	s_waitcnt lgkmcnt(0)
	v_cmpx_gt_i64_e64 s[2:3], v[0:1]
	s_cbranch_execz .LBB120_54
; %bb.56:                               ;   in Loop: Header=BB120_55 Depth=1
	ds_load_b128 v[4:7], v16
	ds_load_b128 v[8:11], v16 offset:16
	ds_load_b128 v[17:20], v16 offset:32
	;; [unrolled: 1-line block ×7, first 2 shown]
	s_waitcnt lgkmcnt(7)
	v_cmp_gt_i64_e32 vcc_lo, v[0:1], v[4:5]
	v_cndmask_b32_e64 v4, 0, 1, vcc_lo
	v_cmp_gt_i64_e32 vcc_lo, v[0:1], v[6:7]
	s_delay_alu instid0(VALU_DEP_2) | instskip(SKIP_3) | instid1(VALU_DEP_2)
	v_lshlrev_b32_e32 v4, 3, v4
	v_cndmask_b32_e64 v5, 0, 1, vcc_lo
	s_waitcnt lgkmcnt(6)
	v_cmp_gt_i64_e32 vcc_lo, v[0:1], v[8:9]
	v_lshlrev_b32_e32 v5, 3, v5
	v_cndmask_b32_e64 v6, 0, 1, vcc_lo
	v_cmp_gt_i64_e32 vcc_lo, v[0:1], v[10:11]
	s_delay_alu instid0(VALU_DEP_2) | instskip(SKIP_3) | instid1(VALU_DEP_2)
	v_lshlrev_b32_e32 v6, 3, v6
	v_cndmask_b32_e64 v7, 0, 1, vcc_lo
	s_waitcnt lgkmcnt(5)
	v_cmp_gt_i64_e32 vcc_lo, v[0:1], v[17:18]
	v_lshlrev_b32_e32 v7, 3, v7
	v_cndmask_b32_e64 v8, 0, 1, vcc_lo
	v_cmp_gt_i64_e32 vcc_lo, v[0:1], v[19:20]
	v_cndmask_b32_e64 v9, 0, 1, vcc_lo
	s_waitcnt lgkmcnt(4)
	v_cmp_gt_i64_e32 vcc_lo, v[0:1], v[21:22]
	v_cndmask_b32_e64 v10, 0, 1, vcc_lo
	v_cmp_gt_i64_e32 vcc_lo, v[0:1], v[23:24]
	v_cndmask_b32_e64 v11, 0, 1, vcc_lo
	v_add_co_u32 v4, vcc_lo, v2, v4
	v_add_co_ci_u32_e32 v12, vcc_lo, 0, v3, vcc_lo
	s_delay_alu instid0(VALU_DEP_2) | instskip(NEXT) | instid1(VALU_DEP_2)
	v_add_co_u32 v4, vcc_lo, v4, v5
	v_add_co_ci_u32_e32 v5, vcc_lo, 0, v12, vcc_lo
	s_delay_alu instid0(VALU_DEP_2) | instskip(NEXT) | instid1(VALU_DEP_2)
	v_add_co_u32 v4, vcc_lo, v4, v6
	v_add_co_ci_u32_e32 v5, vcc_lo, 0, v5, vcc_lo
	v_lshlrev_b32_e32 v6, 3, v8
	s_delay_alu instid0(VALU_DEP_3) | instskip(NEXT) | instid1(VALU_DEP_3)
	v_add_co_u32 v4, vcc_lo, v4, v7
	v_add_co_ci_u32_e32 v5, vcc_lo, 0, v5, vcc_lo
	v_lshlrev_b32_e32 v7, 3, v9
	s_delay_alu instid0(VALU_DEP_3) | instskip(NEXT) | instid1(VALU_DEP_3)
	v_add_co_u32 v4, vcc_lo, v4, v6
	v_add_co_ci_u32_e32 v5, vcc_lo, 0, v5, vcc_lo
	v_lshlrev_b32_e32 v6, 3, v10
	s_delay_alu instid0(VALU_DEP_3) | instskip(NEXT) | instid1(VALU_DEP_3)
	v_add_co_u32 v4, vcc_lo, v4, v7
	v_add_co_ci_u32_e32 v5, vcc_lo, 0, v5, vcc_lo
	v_lshlrev_b32_e32 v7, 3, v11
	s_delay_alu instid0(VALU_DEP_3) | instskip(NEXT) | instid1(VALU_DEP_3)
	v_add_co_u32 v4, vcc_lo, v4, v6
	v_add_co_ci_u32_e32 v5, vcc_lo, 0, v5, vcc_lo
	s_waitcnt lgkmcnt(3)
	v_cmp_gt_i64_e32 vcc_lo, v[0:1], v[25:26]
	v_cndmask_b32_e64 v6, 0, 1, vcc_lo
	v_add_co_u32 v4, vcc_lo, v4, v7
	v_add_co_ci_u32_e32 v5, vcc_lo, 0, v5, vcc_lo
	v_cmp_gt_i64_e32 vcc_lo, v[0:1], v[27:28]
	s_delay_alu instid0(VALU_DEP_4)
	v_lshlrev_b32_e32 v6, 3, v6
	v_cndmask_b32_e64 v7, 0, 1, vcc_lo
	s_waitcnt lgkmcnt(2)
	v_cmp_gt_i64_e32 vcc_lo, v[0:1], v[29:30]
	v_cndmask_b32_e64 v8, 0, 1, vcc_lo
	v_add_co_u32 v4, vcc_lo, v4, v6
	v_add_co_ci_u32_e32 v5, vcc_lo, 0, v5, vcc_lo
	v_cmp_gt_i64_e32 vcc_lo, v[0:1], v[31:32]
	v_lshlrev_b32_e32 v6, 3, v7
	v_lshlrev_b32_e32 v7, 3, v8
	v_cndmask_b32_e64 v8, 0, 1, vcc_lo
	s_delay_alu instid0(VALU_DEP_3) | instskip(SKIP_1) | instid1(VALU_DEP_3)
	v_add_co_u32 v4, vcc_lo, v4, v6
	v_add_co_ci_u32_e32 v5, vcc_lo, 0, v5, vcc_lo
	v_lshlrev_b32_e32 v6, 3, v8
	s_delay_alu instid0(VALU_DEP_3) | instskip(NEXT) | instid1(VALU_DEP_3)
	v_add_co_u32 v4, vcc_lo, v4, v7
	v_add_co_ci_u32_e32 v5, vcc_lo, 0, v5, vcc_lo
	s_waitcnt lgkmcnt(1)
	v_cmp_gt_i64_e32 vcc_lo, v[0:1], v[33:34]
	v_cndmask_b32_e64 v7, 0, 1, vcc_lo
	v_add_co_u32 v4, vcc_lo, v4, v6
	v_add_co_ci_u32_e32 v5, vcc_lo, 0, v5, vcc_lo
	v_cmp_gt_i64_e32 vcc_lo, v[0:1], v[35:36]
	s_delay_alu instid0(VALU_DEP_4) | instskip(SKIP_3) | instid1(VALU_DEP_2)
	v_lshlrev_b32_e32 v6, 3, v7
	v_cndmask_b32_e64 v7, 0, 1, vcc_lo
	s_waitcnt lgkmcnt(0)
	v_cmp_gt_i64_e32 vcc_lo, v[0:1], v[37:38]
	v_lshlrev_b32_e32 v7, 3, v7
	v_cndmask_b32_e64 v8, 0, 1, vcc_lo
	v_add_co_u32 v6, vcc_lo, v4, v6
	v_add_co_ci_u32_e32 v9, vcc_lo, 0, v5, vcc_lo
	v_cmp_gt_i64_e32 vcc_lo, v[0:1], v[39:40]
	ds_load_b64 v[4:5], v14
	v_lshlrev_b32_e32 v8, 3, v8
	v_cndmask_b32_e64 v0, 0, 1, vcc_lo
	v_add_co_u32 v1, vcc_lo, v6, v7
	v_add_co_ci_u32_e32 v6, vcc_lo, 0, v9, vcc_lo
	s_delay_alu instid0(VALU_DEP_3) | instskip(NEXT) | instid1(VALU_DEP_3)
	v_lshlrev_b32_e32 v0, 3, v0
	v_add_co_u32 v1, vcc_lo, v1, v8
	s_delay_alu instid0(VALU_DEP_3) | instskip(NEXT) | instid1(VALU_DEP_2)
	v_add_co_ci_u32_e32 v6, vcc_lo, 0, v6, vcc_lo
	v_add_co_u32 v0, vcc_lo, v1, v0
	s_delay_alu instid0(VALU_DEP_2)
	v_add_co_ci_u32_e32 v1, vcc_lo, 0, v6, vcc_lo
	s_waitcnt lgkmcnt(0)
	global_store_b64 v[0:1], v[4:5], off
	s_branch .LBB120_54
.LBB120_57:
	s_nop 0
	s_sendmsg sendmsg(MSG_DEALLOC_VGPRS)
	s_endpgm
	.section	.rodata,"a",@progbits
	.p2align	6, 0x0
	.amdhsa_kernel _ZN9rocsparseL38csrgemm_numeric_fill_wf_per_row_kernelILj256ELj8ELj16ELj137Ell21rocsparse_complex_numIfEEEvT4_S3_PKS3_S5_NS_24const_host_device_scalarIT5_EEPKT3_S5_PKS7_SB_S5_SD_S8_SB_S5_SD_SB_S5_PS7_21rocsparse_index_base_SF_SF_SF_bbb
		.amdhsa_group_segment_fixed_size 8192
		.amdhsa_private_segment_fixed_size 0
		.amdhsa_kernarg_size 164
		.amdhsa_user_sgpr_count 15
		.amdhsa_user_sgpr_dispatch_ptr 0
		.amdhsa_user_sgpr_queue_ptr 0
		.amdhsa_user_sgpr_kernarg_segment_ptr 1
		.amdhsa_user_sgpr_dispatch_id 0
		.amdhsa_user_sgpr_private_segment_size 0
		.amdhsa_wavefront_size32 1
		.amdhsa_uses_dynamic_stack 0
		.amdhsa_enable_private_segment 0
		.amdhsa_system_sgpr_workgroup_id_x 1
		.amdhsa_system_sgpr_workgroup_id_y 0
		.amdhsa_system_sgpr_workgroup_id_z 0
		.amdhsa_system_sgpr_workgroup_info 0
		.amdhsa_system_vgpr_workitem_id 0
		.amdhsa_next_free_vgpr 41
		.amdhsa_next_free_sgpr 44
		.amdhsa_reserve_vcc 1
		.amdhsa_float_round_mode_32 0
		.amdhsa_float_round_mode_16_64 0
		.amdhsa_float_denorm_mode_32 3
		.amdhsa_float_denorm_mode_16_64 3
		.amdhsa_dx10_clamp 1
		.amdhsa_ieee_mode 1
		.amdhsa_fp16_overflow 0
		.amdhsa_workgroup_processor_mode 1
		.amdhsa_memory_ordered 1
		.amdhsa_forward_progress 0
		.amdhsa_shared_vgpr_count 0
		.amdhsa_exception_fp_ieee_invalid_op 0
		.amdhsa_exception_fp_denorm_src 0
		.amdhsa_exception_fp_ieee_div_zero 0
		.amdhsa_exception_fp_ieee_overflow 0
		.amdhsa_exception_fp_ieee_underflow 0
		.amdhsa_exception_fp_ieee_inexact 0
		.amdhsa_exception_int_div_zero 0
	.end_amdhsa_kernel
	.section	.text._ZN9rocsparseL38csrgemm_numeric_fill_wf_per_row_kernelILj256ELj8ELj16ELj137Ell21rocsparse_complex_numIfEEEvT4_S3_PKS3_S5_NS_24const_host_device_scalarIT5_EEPKT3_S5_PKS7_SB_S5_SD_S8_SB_S5_SD_SB_S5_PS7_21rocsparse_index_base_SF_SF_SF_bbb,"axG",@progbits,_ZN9rocsparseL38csrgemm_numeric_fill_wf_per_row_kernelILj256ELj8ELj16ELj137Ell21rocsparse_complex_numIfEEEvT4_S3_PKS3_S5_NS_24const_host_device_scalarIT5_EEPKT3_S5_PKS7_SB_S5_SD_S8_SB_S5_SD_SB_S5_PS7_21rocsparse_index_base_SF_SF_SF_bbb,comdat
.Lfunc_end120:
	.size	_ZN9rocsparseL38csrgemm_numeric_fill_wf_per_row_kernelILj256ELj8ELj16ELj137Ell21rocsparse_complex_numIfEEEvT4_S3_PKS3_S5_NS_24const_host_device_scalarIT5_EEPKT3_S5_PKS7_SB_S5_SD_S8_SB_S5_SD_SB_S5_PS7_21rocsparse_index_base_SF_SF_SF_bbb, .Lfunc_end120-_ZN9rocsparseL38csrgemm_numeric_fill_wf_per_row_kernelILj256ELj8ELj16ELj137Ell21rocsparse_complex_numIfEEEvT4_S3_PKS3_S5_NS_24const_host_device_scalarIT5_EEPKT3_S5_PKS7_SB_S5_SD_S8_SB_S5_SD_SB_S5_PS7_21rocsparse_index_base_SF_SF_SF_bbb
                                        ; -- End function
	.section	.AMDGPU.csdata,"",@progbits
; Kernel info:
; codeLenInByte = 2560
; NumSgprs: 46
; NumVgprs: 41
; ScratchSize: 0
; MemoryBound: 0
; FloatMode: 240
; IeeeMode: 1
; LDSByteSize: 8192 bytes/workgroup (compile time only)
; SGPRBlocks: 5
; VGPRBlocks: 5
; NumSGPRsForWavesPerEU: 46
; NumVGPRsForWavesPerEU: 41
; Occupancy: 16
; WaveLimiterHint : 1
; COMPUTE_PGM_RSRC2:SCRATCH_EN: 0
; COMPUTE_PGM_RSRC2:USER_SGPR: 15
; COMPUTE_PGM_RSRC2:TRAP_HANDLER: 0
; COMPUTE_PGM_RSRC2:TGID_X_EN: 1
; COMPUTE_PGM_RSRC2:TGID_Y_EN: 0
; COMPUTE_PGM_RSRC2:TGID_Z_EN: 0
; COMPUTE_PGM_RSRC2:TIDIG_COMP_CNT: 0
	.section	.text._ZN9rocsparseL38csrgemm_numeric_fill_wf_per_row_kernelILj256ELj16ELj32ELj137Ell21rocsparse_complex_numIfEEEvT4_S3_PKS3_S5_NS_24const_host_device_scalarIT5_EEPKT3_S5_PKS7_SB_S5_SD_S8_SB_S5_SD_SB_S5_PS7_21rocsparse_index_base_SF_SF_SF_bbb,"axG",@progbits,_ZN9rocsparseL38csrgemm_numeric_fill_wf_per_row_kernelILj256ELj16ELj32ELj137Ell21rocsparse_complex_numIfEEEvT4_S3_PKS3_S5_NS_24const_host_device_scalarIT5_EEPKT3_S5_PKS7_SB_S5_SD_S8_SB_S5_SD_SB_S5_PS7_21rocsparse_index_base_SF_SF_SF_bbb,comdat
	.globl	_ZN9rocsparseL38csrgemm_numeric_fill_wf_per_row_kernelILj256ELj16ELj32ELj137Ell21rocsparse_complex_numIfEEEvT4_S3_PKS3_S5_NS_24const_host_device_scalarIT5_EEPKT3_S5_PKS7_SB_S5_SD_S8_SB_S5_SD_SB_S5_PS7_21rocsparse_index_base_SF_SF_SF_bbb ; -- Begin function _ZN9rocsparseL38csrgemm_numeric_fill_wf_per_row_kernelILj256ELj16ELj32ELj137Ell21rocsparse_complex_numIfEEEvT4_S3_PKS3_S5_NS_24const_host_device_scalarIT5_EEPKT3_S5_PKS7_SB_S5_SD_S8_SB_S5_SD_SB_S5_PS7_21rocsparse_index_base_SF_SF_SF_bbb
	.p2align	8
	.type	_ZN9rocsparseL38csrgemm_numeric_fill_wf_per_row_kernelILj256ELj16ELj32ELj137Ell21rocsparse_complex_numIfEEEvT4_S3_PKS3_S5_NS_24const_host_device_scalarIT5_EEPKT3_S5_PKS7_SB_S5_SD_S8_SB_S5_SD_SB_S5_PS7_21rocsparse_index_base_SF_SF_SF_bbb,@function
_ZN9rocsparseL38csrgemm_numeric_fill_wf_per_row_kernelILj256ELj16ELj32ELj137Ell21rocsparse_complex_numIfEEEvT4_S3_PKS3_S5_NS_24const_host_device_scalarIT5_EEPKT3_S5_PKS7_SB_S5_SD_S8_SB_S5_SD_SB_S5_PS7_21rocsparse_index_base_SF_SF_SF_bbb: ; @_ZN9rocsparseL38csrgemm_numeric_fill_wf_per_row_kernelILj256ELj16ELj32ELj137Ell21rocsparse_complex_numIfEEEvT4_S3_PKS3_S5_NS_24const_host_device_scalarIT5_EEPKT3_S5_PKS7_SB_S5_SD_S8_SB_S5_SD_SB_S5_PS7_21rocsparse_index_base_SF_SF_SF_bbb
; %bb.0:
	s_clause 0x7
	s_load_b32 s2, s[0:1], 0xa0
	s_load_b64 s[34:35], s[0:1], 0x78
	s_load_b128 s[28:31], s[0:1], 0x68
	s_load_b256 s[4:11], s[0:1], 0x48
	s_load_b128 s[36:39], s[0:1], 0x10
	s_load_b256 s[16:23], s[0:1], 0x28
	s_load_b64 s[12:13], s[0:1], 0x88
	s_load_b128 s[24:27], s[0:1], 0x90
	s_mov_b32 s41, 0
	s_mov_b32 s42, 0
	s_waitcnt lgkmcnt(0)
	s_bitcmp1_b32 s2, 0
	s_cselect_b32 s43, -1, 0
	s_bitcmp1_b32 s2, 16
	s_cselect_b32 s3, -1, 0
	s_delay_alu instid0(SALU_CYCLE_1) | instskip(SKIP_2) | instid1(VALU_DEP_1)
	s_xor_b32 s3, s3, -1
	s_bitcmp0_b32 s2, 0
	v_cndmask_b32_e64 v1, 0, 1, s3
	v_cmp_ne_u32_e32 vcc_lo, 1, v1
	s_cbranch_scc1 .LBB121_5
; %bb.1:
	s_load_b64 s[40:41], s[0:1], 0x20
	s_and_b32 vcc_lo, exec_lo, vcc_lo
	s_waitcnt lgkmcnt(0)
	s_mov_b32 s42, s40
	s_cbranch_vccnz .LBB121_3
; %bb.2:
	s_load_b32 s42, s[40:41], 0x0
.LBB121_3:
	s_and_not1_b32 vcc_lo, exec_lo, s3
	s_cbranch_vccnz .LBB121_5
; %bb.4:
	s_load_b32 s41, s[40:41], 0x4
.LBB121_5:
	s_bitcmp1_b32 s2, 8
	s_mov_b32 s33, 0
	s_cselect_b32 s40, -1, 0
	s_bfe_u32 s2, s2, 0x10008
	s_mov_b32 s14, 0
	s_cmp_eq_u32 s2, 0
	s_cbranch_scc1 .LBB121_11
; %bb.6:
	v_cmp_ne_u32_e32 vcc_lo, 1, v1
	s_mov_b32 s14, s8
	s_cbranch_vccnz .LBB121_8
; %bb.7:
	s_load_b32 s14, s[8:9], 0x0
.LBB121_8:
	v_cmp_ne_u32_e32 vcc_lo, 1, v1
	s_cbranch_vccnz .LBB121_10
; %bb.9:
	s_load_b32 s9, s[8:9], 0x4
.LBB121_10:
	s_waitcnt lgkmcnt(0)
	s_mov_b32 s33, s9
.LBB121_11:
	s_load_b128 s[0:3], s[0:1], 0x0
	v_and_b32_e32 v18, 15, v0
	v_lshrrev_b32_e32 v4, 4, v0
	s_mov_b32 s8, 0
	s_delay_alu instid0(VALU_DEP_2) | instskip(NEXT) | instid1(VALU_DEP_1)
	v_dual_mov_b32 v0, 0 :: v_dual_lshlrev_b32 v1, 3, v18
	v_lshl_or_b32 v14, v4, 8, v1
	s_delay_alu instid0(VALU_DEP_2) | instskip(SKIP_1) | instid1(VALU_DEP_1)
	v_mov_b32_e32 v1, v0
	v_or_b32_e32 v15, -16, v18
	v_dual_mov_b32 v5, v14 :: v_dual_mov_b32 v6, v15
	s_waitcnt lgkmcnt(0)
	v_dual_mov_b32 v2, s2 :: v_dual_mov_b32 v3, s3
.LBB121_12:                             ; =>This Inner Loop Header: Depth=1
	s_delay_alu instid0(VALU_DEP_2) | instskip(NEXT) | instid1(VALU_DEP_1)
	v_add_co_u32 v6, s9, v6, 16
	s_xor_b32 s9, s9, -1
	ds_store_2addr_stride64_b64 v5, v[0:1], v[2:3] offset1:8
	v_add_nc_u32_e32 v5, 0x80, v5
	s_and_b32 s9, exec_lo, s9
	s_delay_alu instid0(SALU_CYCLE_1) | instskip(NEXT) | instid1(SALU_CYCLE_1)
	s_or_b32 s8, s9, s8
	s_and_not1_b32 exec_lo, exec_lo, s8
	s_cbranch_execnz .LBB121_12
; %bb.13:
	s_or_b32 exec_lo, exec_lo, s8
	s_lshl_b32 s8, s15, 4
	v_mov_b32_e32 v1, 0
	v_and_or_b32 v0, 0xffffff0, s8, v4
	s_waitcnt lgkmcnt(0)
	buffer_gl0_inv
	v_cmp_gt_i64_e32 vcc_lo, s[0:1], v[0:1]
	s_and_saveexec_b32 s0, vcc_lo
	s_cbranch_execz .LBB121_57
; %bb.14:
	s_cmp_eq_u64 s[38:39], 0
	s_cbranch_scc1 .LBB121_16
; %bb.15:
	s_load_b64 s[0:1], s[36:37], 0x0
	v_lshlrev_b32_e32 v0, 3, v0
	s_waitcnt lgkmcnt(0)
	s_lshl_b64 s[0:1], s[0:1], 3
	s_delay_alu instid0(SALU_CYCLE_1)
	s_add_u32 s0, s38, s0
	s_addc_u32 s1, s39, s1
	global_load_b64 v[0:1], v0, s[0:1]
.LBB121_16:
	v_lshlrev_b32_e32 v17, 8, v4
	s_waitcnt vmcnt(0)
	v_lshlrev_b64 v[4:5], 3, v[0:1]
	s_and_not1_b32 vcc_lo, exec_lo, s43
	s_delay_alu instid0(VALU_DEP_2)
	v_or_b32_e32 v16, 0x1000, v17
	s_cbranch_vccnz .LBB121_36
; %bb.17:
	s_delay_alu instid0(VALU_DEP_2) | instskip(NEXT) | instid1(VALU_DEP_3)
	v_add_co_u32 v0, vcc_lo, s16, v4
	v_add_co_ci_u32_e32 v1, vcc_lo, s17, v5, vcc_lo
	v_sub_co_u32 v8, s0, v18, s24
	s_delay_alu instid0(VALU_DEP_1)
	v_sub_co_ci_u32_e64 v9, null, 0, 0, s0
	global_load_b128 v[0:3], v[0:1], off
	s_mov_b32 s1, 0
	s_mov_b32 s0, exec_lo
	s_waitcnt vmcnt(0)
	v_sub_co_u32 v6, vcc_lo, v2, s24
	v_subrev_co_ci_u32_e32 v7, vcc_lo, 0, v3, vcc_lo
	v_add_co_u32 v8, vcc_lo, v0, v8
	v_add_co_ci_u32_e32 v9, vcc_lo, v1, v9, vcc_lo
	s_delay_alu instid0(VALU_DEP_1)
	v_cmpx_lt_i64_e64 v[8:9], v[6:7]
	s_cbranch_execz .LBB121_35
; %bb.18:
	s_mov_b32 s8, s25
	s_branch .LBB121_20
.LBB121_19:                             ;   in Loop: Header=BB121_20 Depth=1
	s_or_b32 exec_lo, exec_lo, s9
	v_add_co_u32 v8, vcc_lo, v8, 16
	v_add_co_ci_u32_e32 v9, vcc_lo, 0, v9, vcc_lo
	s_delay_alu instid0(VALU_DEP_1) | instskip(SKIP_1) | instid1(SALU_CYCLE_1)
	v_cmp_ge_i64_e32 vcc_lo, v[8:9], v[6:7]
	s_or_b32 s1, vcc_lo, s1
	s_and_not1_b32 exec_lo, exec_lo, s1
	s_cbranch_execz .LBB121_35
.LBB121_20:                             ; =>This Loop Header: Depth=1
                                        ;     Child Loop BB121_23 Depth 2
                                        ;       Child Loop BB121_25 Depth 3
	v_lshlrev_b64 v[10:11], 3, v[8:9]
	s_mov_b32 s9, exec_lo
	s_delay_alu instid0(VALU_DEP_1) | instskip(NEXT) | instid1(VALU_DEP_2)
	v_add_co_u32 v0, vcc_lo, s18, v10
	v_add_co_ci_u32_e32 v1, vcc_lo, s19, v11, vcc_lo
	global_load_b64 v[0:1], v[0:1], off
	s_waitcnt vmcnt(0)
	v_sub_co_u32 v0, vcc_lo, v0, s24
	v_subrev_co_ci_u32_e32 v1, vcc_lo, 0, v1, vcc_lo
	s_delay_alu instid0(VALU_DEP_1) | instskip(NEXT) | instid1(VALU_DEP_1)
	v_lshlrev_b64 v[0:1], 3, v[0:1]
	v_add_co_u32 v0, vcc_lo, s22, v0
	s_delay_alu instid0(VALU_DEP_2)
	v_add_co_ci_u32_e32 v1, vcc_lo, s23, v1, vcc_lo
	global_load_b128 v[0:3], v[0:1], off
	s_waitcnt vmcnt(0)
	v_cmpx_lt_i64_e64 v[0:1], v[2:3]
	s_cbranch_execz .LBB121_19
; %bb.21:                               ;   in Loop: Header=BB121_20 Depth=1
	v_add_co_u32 v10, vcc_lo, s20, v10
	v_add_co_ci_u32_e32 v11, vcc_lo, s21, v11, vcc_lo
	v_sub_co_u32 v2, vcc_lo, v2, s8
	v_subrev_co_ci_u32_e32 v3, vcc_lo, 0, v3, vcc_lo
	global_load_b64 v[10:11], v[10:11], off
	v_sub_co_u32 v0, vcc_lo, v0, s8
	v_subrev_co_ci_u32_e32 v1, vcc_lo, 0, v1, vcc_lo
	s_mov_b32 s15, 0
	s_waitcnt vmcnt(0)
	v_mul_f32_e64 v19, v11, -s41
	s_delay_alu instid0(VALU_DEP_1) | instskip(NEXT) | instid1(VALU_DEP_1)
	v_dual_mul_f32 v20, s42, v11 :: v_dual_fmac_f32 v19, s42, v10
	v_fmac_f32_e32 v20, s41, v10
	s_branch .LBB121_23
.LBB121_22:                             ;   in Loop: Header=BB121_23 Depth=2
	s_or_b32 exec_lo, exec_lo, s16
	v_add_co_u32 v0, vcc_lo, v0, 1
	v_add_co_ci_u32_e32 v1, vcc_lo, 0, v1, vcc_lo
	s_delay_alu instid0(VALU_DEP_1) | instskip(SKIP_1) | instid1(SALU_CYCLE_1)
	v_cmp_ge_i64_e32 vcc_lo, v[0:1], v[2:3]
	s_or_b32 s15, vcc_lo, s15
	s_and_not1_b32 exec_lo, exec_lo, s15
	s_cbranch_execz .LBB121_19
.LBB121_23:                             ;   Parent Loop BB121_20 Depth=1
                                        ; =>  This Loop Header: Depth=2
                                        ;       Child Loop BB121_25 Depth 3
	v_lshlrev_b64 v[10:11], 3, v[0:1]
	s_mov_b32 s16, 0
	s_delay_alu instid0(VALU_DEP_1) | instskip(NEXT) | instid1(VALU_DEP_2)
	v_add_co_u32 v12, vcc_lo, s4, v10
	v_add_co_ci_u32_e32 v13, vcc_lo, s5, v11, vcc_lo
	v_add_co_u32 v10, vcc_lo, s6, v10
	v_add_co_ci_u32_e32 v11, vcc_lo, s7, v11, vcc_lo
	global_load_b64 v[12:13], v[12:13], off
	global_load_b64 v[23:24], v[10:11], off
	s_waitcnt vmcnt(1)
	v_sub_co_u32 v10, vcc_lo, v12, s8
	s_waitcnt vmcnt(0)
	v_mul_f32_e64 v21, v24, -v20
	v_mul_f32_e32 v22, v19, v24
	v_subrev_co_ci_u32_e32 v11, vcc_lo, 0, v13, vcc_lo
	v_lshl_add_u32 v12, v10, 3, v10
	s_delay_alu instid0(VALU_DEP_4) | instskip(NEXT) | instid1(VALU_DEP_2)
	v_fmac_f32_e32 v21, v19, v23
	v_dual_fmac_f32 v22, v20, v23 :: v_dual_and_b32 v23, 31, v12
	s_branch .LBB121_25
.LBB121_24:                             ;   in Loop: Header=BB121_25 Depth=3
	s_or_b32 exec_lo, exec_lo, s17
	s_xor_b32 s17, s25, -1
	s_delay_alu instid0(SALU_CYCLE_1) | instskip(NEXT) | instid1(SALU_CYCLE_1)
	s_and_b32 s17, exec_lo, s17
	s_or_b32 s16, s17, s16
	s_delay_alu instid0(SALU_CYCLE_1)
	s_and_not1_b32 exec_lo, exec_lo, s16
	s_cbranch_execz .LBB121_22
.LBB121_25:                             ;   Parent Loop BB121_20 Depth=1
                                        ;     Parent Loop BB121_23 Depth=2
                                        ; =>    This Inner Loop Header: Depth=3
	s_delay_alu instid0(VALU_DEP_1)
	v_lshl_add_u32 v24, v23, 3, v16
	s_mov_b32 s17, exec_lo
                                        ; implicit-def: $sgpr25
	ds_load_b64 v[12:13], v24
	s_waitcnt lgkmcnt(0)
	v_cmpx_ne_u64_e64 v[12:13], v[10:11]
	s_xor_b32 s17, exec_lo, s17
	s_cbranch_execz .LBB121_33
; %bb.26:                               ;   in Loop: Header=BB121_25 Depth=3
	s_mov_b32 s36, exec_lo
                                        ; implicit-def: $sgpr25
	v_cmpx_ne_u64_e64 s[2:3], v[12:13]
	s_xor_b32 s36, exec_lo, s36
; %bb.27:                               ;   in Loop: Header=BB121_25 Depth=3
	v_add_nc_u32_e32 v12, 1, v23
	s_mov_b32 s25, -1
                                        ; implicit-def: $vgpr24
	s_delay_alu instid0(VALU_DEP_1)
	v_and_b32_e32 v23, 31, v12
; %bb.28:                               ;   in Loop: Header=BB121_25 Depth=3
	s_and_not1_saveexec_b32 s36, s36
	s_cbranch_execz .LBB121_32
; %bb.29:                               ;   in Loop: Header=BB121_25 Depth=3
	v_dual_mov_b32 v13, s3 :: v_dual_mov_b32 v12, s2
	s_mov_b32 s37, -1
	s_mov_b32 s38, exec_lo
	ds_cmpstore_rtn_b64 v[12:13], v24, v[10:11], v[12:13]
	s_waitcnt lgkmcnt(0)
	v_cmpx_eq_u64_e64 s[2:3], v[12:13]
	s_cbranch_execz .LBB121_31
; %bb.30:                               ;   in Loop: Header=BB121_25 Depth=3
	v_lshl_add_u32 v12, v23, 3, v17
	s_xor_b32 s37, exec_lo, -1
	ds_add_f32 v12, v21
	ds_add_f32 v12, v22 offset:4
.LBB121_31:                             ;   in Loop: Header=BB121_25 Depth=3
	s_or_b32 exec_lo, exec_lo, s38
	s_delay_alu instid0(SALU_CYCLE_1) | instskip(SKIP_1) | instid1(SALU_CYCLE_1)
	s_and_not1_b32 s25, s25, exec_lo
	s_and_b32 s37, s37, exec_lo
	s_or_b32 s25, s25, s37
.LBB121_32:                             ;   in Loop: Header=BB121_25 Depth=3
	s_or_b32 exec_lo, exec_lo, s36
	s_delay_alu instid0(SALU_CYCLE_1)
	s_and_b32 s25, s25, exec_lo
.LBB121_33:                             ;   in Loop: Header=BB121_25 Depth=3
	s_and_not1_saveexec_b32 s17, s17
	s_cbranch_execz .LBB121_24
; %bb.34:                               ;   in Loop: Header=BB121_25 Depth=3
	v_lshl_add_u32 v12, v23, 3, v17
	s_and_not1_b32 s25, s25, exec_lo
	ds_add_f32 v12, v21
	ds_add_f32 v12, v22 offset:4
	s_branch .LBB121_24
.LBB121_35:
	s_or_b32 exec_lo, exec_lo, s0
.LBB121_36:
	s_delay_alu instid0(SALU_CYCLE_1)
	s_and_not1_b32 vcc_lo, exec_lo, s40
	s_cbranch_vccnz .LBB121_53
; %bb.37:
	v_add_co_u32 v0, vcc_lo, s10, v4
	v_add_co_ci_u32_e32 v1, vcc_lo, s11, v5, vcc_lo
	v_sub_co_u32 v2, s0, v18, s27
	s_delay_alu instid0(VALU_DEP_1)
	v_sub_co_ci_u32_e64 v3, null, 0, 0, s0
	global_load_b128 v[6:9], v[0:1], off
	s_mov_b32 s0, 0
	s_mov_b32 s1, exec_lo
	s_waitcnt vmcnt(0)
	v_sub_co_u32 v0, vcc_lo, v8, s27
	v_subrev_co_ci_u32_e32 v1, vcc_lo, 0, v9, vcc_lo
	v_add_co_u32 v2, vcc_lo, v6, v2
	v_add_co_ci_u32_e32 v3, vcc_lo, v7, v3, vcc_lo
	s_delay_alu instid0(VALU_DEP_1)
	v_cmpx_lt_i64_e64 v[2:3], v[0:1]
	s_cbranch_execz .LBB121_52
; %bb.38:
	s_mov_b32 s4, s27
	s_branch .LBB121_40
.LBB121_39:                             ;   in Loop: Header=BB121_40 Depth=1
	s_or_b32 exec_lo, exec_lo, s5
	v_add_co_u32 v2, vcc_lo, v2, 16
	v_add_co_ci_u32_e32 v3, vcc_lo, 0, v3, vcc_lo
	s_delay_alu instid0(VALU_DEP_1) | instskip(SKIP_1) | instid1(SALU_CYCLE_1)
	v_cmp_ge_i64_e32 vcc_lo, v[2:3], v[0:1]
	s_or_b32 s0, vcc_lo, s0
	s_and_not1_b32 exec_lo, exec_lo, s0
	s_cbranch_execz .LBB121_52
.LBB121_40:                             ; =>This Loop Header: Depth=1
                                        ;     Child Loop BB121_42 Depth 2
	v_lshlrev_b64 v[6:7], 3, v[2:3]
	s_mov_b32 s5, 0
	s_delay_alu instid0(VALU_DEP_1) | instskip(NEXT) | instid1(VALU_DEP_2)
	v_add_co_u32 v8, vcc_lo, s28, v6
	v_add_co_ci_u32_e32 v9, vcc_lo, s29, v7, vcc_lo
	v_add_co_u32 v6, vcc_lo, s30, v6
	v_add_co_ci_u32_e32 v7, vcc_lo, s31, v7, vcc_lo
	global_load_b64 v[8:9], v[8:9], off
	global_load_b64 v[12:13], v[6:7], off
	s_waitcnt vmcnt(1)
	v_sub_co_u32 v6, vcc_lo, v8, s4
	s_waitcnt vmcnt(0)
	v_mul_f32_e64 v10, v13, -s33
	v_mul_f32_e32 v11, s14, v13
	v_subrev_co_ci_u32_e32 v7, vcc_lo, 0, v9, vcc_lo
	v_lshl_add_u32 v8, v6, 3, v6
	s_delay_alu instid0(VALU_DEP_4) | instskip(NEXT) | instid1(VALU_DEP_4)
	v_fmac_f32_e32 v10, s14, v12
	v_fmac_f32_e32 v11, s33, v12
	s_delay_alu instid0(VALU_DEP_3)
	v_and_b32_e32 v12, 31, v8
	s_branch .LBB121_42
.LBB121_41:                             ;   in Loop: Header=BB121_42 Depth=2
	s_or_b32 exec_lo, exec_lo, s6
	s_xor_b32 s6, s7, -1
	s_delay_alu instid0(SALU_CYCLE_1) | instskip(NEXT) | instid1(SALU_CYCLE_1)
	s_and_b32 s6, exec_lo, s6
	s_or_b32 s5, s6, s5
	s_delay_alu instid0(SALU_CYCLE_1)
	s_and_not1_b32 exec_lo, exec_lo, s5
	s_cbranch_execz .LBB121_39
.LBB121_42:                             ;   Parent Loop BB121_40 Depth=1
                                        ; =>  This Inner Loop Header: Depth=2
	s_delay_alu instid0(VALU_DEP_1)
	v_lshl_add_u32 v13, v12, 3, v16
	s_mov_b32 s6, exec_lo
                                        ; implicit-def: $sgpr7
	ds_load_b64 v[8:9], v13
	s_waitcnt lgkmcnt(0)
	v_cmpx_ne_u64_e64 v[8:9], v[6:7]
	s_xor_b32 s6, exec_lo, s6
	s_cbranch_execz .LBB121_50
; %bb.43:                               ;   in Loop: Header=BB121_42 Depth=2
	s_mov_b32 s8, exec_lo
                                        ; implicit-def: $sgpr7
	v_cmpx_ne_u64_e64 s[2:3], v[8:9]
	s_xor_b32 s8, exec_lo, s8
; %bb.44:                               ;   in Loop: Header=BB121_42 Depth=2
	v_add_nc_u32_e32 v8, 1, v12
	s_mov_b32 s7, -1
                                        ; implicit-def: $vgpr13
	s_delay_alu instid0(VALU_DEP_1)
	v_and_b32_e32 v12, 31, v8
; %bb.45:                               ;   in Loop: Header=BB121_42 Depth=2
	s_and_not1_saveexec_b32 s8, s8
	s_cbranch_execz .LBB121_49
; %bb.46:                               ;   in Loop: Header=BB121_42 Depth=2
	v_dual_mov_b32 v9, s3 :: v_dual_mov_b32 v8, s2
	s_mov_b32 s9, -1
	s_mov_b32 s10, exec_lo
	ds_cmpstore_rtn_b64 v[8:9], v13, v[6:7], v[8:9]
	s_waitcnt lgkmcnt(0)
	v_cmpx_eq_u64_e64 s[2:3], v[8:9]
	s_cbranch_execz .LBB121_48
; %bb.47:                               ;   in Loop: Header=BB121_42 Depth=2
	v_lshl_add_u32 v8, v12, 3, v17
	s_xor_b32 s9, exec_lo, -1
	ds_add_f32 v8, v10
	ds_add_f32 v8, v11 offset:4
.LBB121_48:                             ;   in Loop: Header=BB121_42 Depth=2
	s_or_b32 exec_lo, exec_lo, s10
	s_delay_alu instid0(SALU_CYCLE_1) | instskip(SKIP_1) | instid1(SALU_CYCLE_1)
	s_and_not1_b32 s7, s7, exec_lo
	s_and_b32 s9, s9, exec_lo
	s_or_b32 s7, s7, s9
.LBB121_49:                             ;   in Loop: Header=BB121_42 Depth=2
	s_or_b32 exec_lo, exec_lo, s8
	s_delay_alu instid0(SALU_CYCLE_1)
	s_and_b32 s7, s7, exec_lo
.LBB121_50:                             ;   in Loop: Header=BB121_42 Depth=2
	s_and_not1_saveexec_b32 s6, s6
	s_cbranch_execz .LBB121_41
; %bb.51:                               ;   in Loop: Header=BB121_42 Depth=2
	v_lshl_add_u32 v8, v12, 3, v17
	s_and_not1_b32 s7, s7, exec_lo
	ds_add_f32 v8, v10
	ds_add_f32 v8, v11 offset:4
	s_branch .LBB121_41
.LBB121_52:
	s_or_b32 exec_lo, exec_lo, s1
.LBB121_53:
	v_add_co_u32 v0, vcc_lo, s34, v4
	v_add_co_ci_u32_e32 v1, vcc_lo, s35, v5, vcc_lo
	s_waitcnt lgkmcnt(0)
	buffer_gl0_inv
	s_mov_b32 s0, 0
	global_load_b64 v[0:1], v[0:1], off
	s_waitcnt vmcnt(0)
	v_sub_co_u32 v0, vcc_lo, v0, s26
	v_subrev_co_ci_u32_e32 v1, vcc_lo, 0, v1, vcc_lo
	s_delay_alu instid0(VALU_DEP_1) | instskip(NEXT) | instid1(VALU_DEP_1)
	v_lshlrev_b64 v[0:1], 3, v[0:1]
	v_add_co_u32 v2, vcc_lo, s12, v0
	s_delay_alu instid0(VALU_DEP_2)
	v_add_co_ci_u32_e32 v3, vcc_lo, s13, v1, vcc_lo
	s_branch .LBB121_55
.LBB121_54:                             ;   in Loop: Header=BB121_55 Depth=1
	s_or_b32 exec_lo, exec_lo, s1
	v_add_co_u32 v15, s1, v15, 16
	s_delay_alu instid0(VALU_DEP_1) | instskip(SKIP_2) | instid1(SALU_CYCLE_1)
	s_xor_b32 s1, s1, -1
	v_add_nc_u32_e32 v14, 0x80, v14
	s_and_b32 s1, exec_lo, s1
	s_or_b32 s0, s1, s0
	s_delay_alu instid0(SALU_CYCLE_1)
	s_and_not1_b32 exec_lo, exec_lo, s0
	s_cbranch_execz .LBB121_57
.LBB121_55:                             ; =>This Inner Loop Header: Depth=1
	ds_load_b64 v[0:1], v14 offset:4096
	s_mov_b32 s1, exec_lo
	s_waitcnt lgkmcnt(0)
	v_cmpx_gt_i64_e64 s[2:3], v[0:1]
	s_cbranch_execz .LBB121_54
; %bb.56:                               ;   in Loop: Header=BB121_55 Depth=1
	ds_load_b128 v[4:7], v16
	ds_load_b128 v[8:11], v16 offset:16
	ds_load_b128 v[17:20], v16 offset:32
	;; [unrolled: 1-line block ×15, first 2 shown]
	s_waitcnt lgkmcnt(15)
	v_cmp_gt_i64_e32 vcc_lo, v[0:1], v[4:5]
	v_cndmask_b32_e64 v4, 0, 1, vcc_lo
	v_cmp_gt_i64_e32 vcc_lo, v[0:1], v[6:7]
	s_delay_alu instid0(VALU_DEP_2) | instskip(SKIP_3) | instid1(VALU_DEP_2)
	v_lshlrev_b32_e32 v4, 3, v4
	v_cndmask_b32_e64 v5, 0, 1, vcc_lo
	s_waitcnt lgkmcnt(14)
	v_cmp_gt_i64_e32 vcc_lo, v[0:1], v[8:9]
	v_lshlrev_b32_e32 v5, 3, v5
	v_cndmask_b32_e64 v6, 0, 1, vcc_lo
	v_cmp_gt_i64_e32 vcc_lo, v[0:1], v[10:11]
	s_delay_alu instid0(VALU_DEP_2) | instskip(SKIP_3) | instid1(VALU_DEP_3)
	v_lshlrev_b32_e32 v6, 3, v6
	v_cndmask_b32_e64 v7, 0, 1, vcc_lo
	v_add_co_u32 v4, vcc_lo, v2, v4
	v_add_co_ci_u32_e32 v8, vcc_lo, 0, v3, vcc_lo
	v_lshlrev_b32_e32 v7, 3, v7
	s_delay_alu instid0(VALU_DEP_3) | instskip(NEXT) | instid1(VALU_DEP_3)
	v_add_co_u32 v4, vcc_lo, v4, v5
	v_add_co_ci_u32_e32 v5, vcc_lo, 0, v8, vcc_lo
	s_delay_alu instid0(VALU_DEP_2) | instskip(NEXT) | instid1(VALU_DEP_2)
	v_add_co_u32 v4, vcc_lo, v4, v6
	v_add_co_ci_u32_e32 v5, vcc_lo, 0, v5, vcc_lo
	s_waitcnt lgkmcnt(13)
	v_cmp_gt_i64_e32 vcc_lo, v[0:1], v[17:18]
	v_cndmask_b32_e64 v6, 0, 1, vcc_lo
	v_add_co_u32 v4, vcc_lo, v4, v7
	v_add_co_ci_u32_e32 v5, vcc_lo, 0, v5, vcc_lo
	v_cmp_gt_i64_e32 vcc_lo, v[0:1], v[19:20]
	s_delay_alu instid0(VALU_DEP_4)
	v_lshlrev_b32_e32 v6, 3, v6
	v_cndmask_b32_e64 v7, 0, 1, vcc_lo
	s_waitcnt lgkmcnt(12)
	v_cmp_gt_i64_e32 vcc_lo, v[0:1], v[21:22]
	v_cndmask_b32_e64 v8, 0, 1, vcc_lo
	v_add_co_u32 v4, vcc_lo, v4, v6
	v_add_co_ci_u32_e32 v5, vcc_lo, 0, v5, vcc_lo
	v_cmp_gt_i64_e32 vcc_lo, v[0:1], v[23:24]
	v_lshlrev_b32_e32 v6, 3, v7
	v_lshlrev_b32_e32 v7, 3, v8
	v_cndmask_b32_e64 v8, 0, 1, vcc_lo
	s_delay_alu instid0(VALU_DEP_3) | instskip(SKIP_1) | instid1(VALU_DEP_3)
	v_add_co_u32 v4, vcc_lo, v4, v6
	v_add_co_ci_u32_e32 v5, vcc_lo, 0, v5, vcc_lo
	v_lshlrev_b32_e32 v6, 3, v8
	s_delay_alu instid0(VALU_DEP_3) | instskip(NEXT) | instid1(VALU_DEP_3)
	v_add_co_u32 v4, vcc_lo, v4, v7
	v_add_co_ci_u32_e32 v5, vcc_lo, 0, v5, vcc_lo
	s_waitcnt lgkmcnt(11)
	v_cmp_gt_i64_e32 vcc_lo, v[0:1], v[25:26]
	v_cndmask_b32_e64 v7, 0, 1, vcc_lo
	v_add_co_u32 v4, vcc_lo, v4, v6
	v_add_co_ci_u32_e32 v5, vcc_lo, 0, v5, vcc_lo
	v_cmp_gt_i64_e32 vcc_lo, v[0:1], v[27:28]
	s_delay_alu instid0(VALU_DEP_4)
	v_lshlrev_b32_e32 v6, 3, v7
	v_cndmask_b32_e64 v7, 0, 1, vcc_lo
	s_waitcnt lgkmcnt(10)
	v_cmp_gt_i64_e32 vcc_lo, v[0:1], v[29:30]
	v_cndmask_b32_e64 v8, 0, 1, vcc_lo
	v_add_co_u32 v4, vcc_lo, v4, v6
	v_add_co_ci_u32_e32 v5, vcc_lo, 0, v5, vcc_lo
	v_cmp_gt_i64_e32 vcc_lo, v[0:1], v[31:32]
	v_lshlrev_b32_e32 v6, 3, v7
	v_lshlrev_b32_e32 v7, 3, v8
	v_cndmask_b32_e64 v8, 0, 1, vcc_lo
	s_delay_alu instid0(VALU_DEP_3) | instskip(SKIP_1) | instid1(VALU_DEP_3)
	v_add_co_u32 v4, vcc_lo, v4, v6
	v_add_co_ci_u32_e32 v5, vcc_lo, 0, v5, vcc_lo
	v_lshlrev_b32_e32 v6, 3, v8
	s_delay_alu instid0(VALU_DEP_3) | instskip(NEXT) | instid1(VALU_DEP_3)
	;; [unrolled: 25-line block ×6, first 2 shown]
	v_add_co_u32 v4, vcc_lo, v4, v7
	v_add_co_ci_u32_e32 v5, vcc_lo, 0, v5, vcc_lo
	s_waitcnt lgkmcnt(1)
	v_cmp_gt_i64_e32 vcc_lo, v[0:1], v[65:66]
	v_cndmask_b32_e64 v7, 0, 1, vcc_lo
	v_add_co_u32 v4, vcc_lo, v4, v6
	v_add_co_ci_u32_e32 v5, vcc_lo, 0, v5, vcc_lo
	v_cmp_gt_i64_e32 vcc_lo, v[0:1], v[67:68]
	s_delay_alu instid0(VALU_DEP_4) | instskip(SKIP_3) | instid1(VALU_DEP_2)
	v_lshlrev_b32_e32 v6, 3, v7
	v_cndmask_b32_e64 v7, 0, 1, vcc_lo
	s_waitcnt lgkmcnt(0)
	v_cmp_gt_i64_e32 vcc_lo, v[0:1], v[69:70]
	v_lshlrev_b32_e32 v7, 3, v7
	v_cndmask_b32_e64 v8, 0, 1, vcc_lo
	v_add_co_u32 v6, vcc_lo, v4, v6
	v_add_co_ci_u32_e32 v9, vcc_lo, 0, v5, vcc_lo
	v_cmp_gt_i64_e32 vcc_lo, v[0:1], v[71:72]
	ds_load_b64 v[4:5], v14
	v_lshlrev_b32_e32 v8, 3, v8
	v_cndmask_b32_e64 v0, 0, 1, vcc_lo
	v_add_co_u32 v1, vcc_lo, v6, v7
	v_add_co_ci_u32_e32 v6, vcc_lo, 0, v9, vcc_lo
	s_delay_alu instid0(VALU_DEP_3) | instskip(NEXT) | instid1(VALU_DEP_3)
	v_lshlrev_b32_e32 v0, 3, v0
	v_add_co_u32 v1, vcc_lo, v1, v8
	s_delay_alu instid0(VALU_DEP_3) | instskip(NEXT) | instid1(VALU_DEP_2)
	v_add_co_ci_u32_e32 v6, vcc_lo, 0, v6, vcc_lo
	v_add_co_u32 v0, vcc_lo, v1, v0
	s_delay_alu instid0(VALU_DEP_2)
	v_add_co_ci_u32_e32 v1, vcc_lo, 0, v6, vcc_lo
	s_waitcnt lgkmcnt(0)
	global_store_b64 v[0:1], v[4:5], off
	s_branch .LBB121_54
.LBB121_57:
	s_nop 0
	s_sendmsg sendmsg(MSG_DEALLOC_VGPRS)
	s_endpgm
	.section	.rodata,"a",@progbits
	.p2align	6, 0x0
	.amdhsa_kernel _ZN9rocsparseL38csrgemm_numeric_fill_wf_per_row_kernelILj256ELj16ELj32ELj137Ell21rocsparse_complex_numIfEEEvT4_S3_PKS3_S5_NS_24const_host_device_scalarIT5_EEPKT3_S5_PKS7_SB_S5_SD_S8_SB_S5_SD_SB_S5_PS7_21rocsparse_index_base_SF_SF_SF_bbb
		.amdhsa_group_segment_fixed_size 8192
		.amdhsa_private_segment_fixed_size 0
		.amdhsa_kernarg_size 164
		.amdhsa_user_sgpr_count 15
		.amdhsa_user_sgpr_dispatch_ptr 0
		.amdhsa_user_sgpr_queue_ptr 0
		.amdhsa_user_sgpr_kernarg_segment_ptr 1
		.amdhsa_user_sgpr_dispatch_id 0
		.amdhsa_user_sgpr_private_segment_size 0
		.amdhsa_wavefront_size32 1
		.amdhsa_uses_dynamic_stack 0
		.amdhsa_enable_private_segment 0
		.amdhsa_system_sgpr_workgroup_id_x 1
		.amdhsa_system_sgpr_workgroup_id_y 0
		.amdhsa_system_sgpr_workgroup_id_z 0
		.amdhsa_system_sgpr_workgroup_info 0
		.amdhsa_system_vgpr_workitem_id 0
		.amdhsa_next_free_vgpr 73
		.amdhsa_next_free_sgpr 44
		.amdhsa_reserve_vcc 1
		.amdhsa_float_round_mode_32 0
		.amdhsa_float_round_mode_16_64 0
		.amdhsa_float_denorm_mode_32 3
		.amdhsa_float_denorm_mode_16_64 3
		.amdhsa_dx10_clamp 1
		.amdhsa_ieee_mode 1
		.amdhsa_fp16_overflow 0
		.amdhsa_workgroup_processor_mode 1
		.amdhsa_memory_ordered 1
		.amdhsa_forward_progress 0
		.amdhsa_shared_vgpr_count 0
		.amdhsa_exception_fp_ieee_invalid_op 0
		.amdhsa_exception_fp_denorm_src 0
		.amdhsa_exception_fp_ieee_div_zero 0
		.amdhsa_exception_fp_ieee_overflow 0
		.amdhsa_exception_fp_ieee_underflow 0
		.amdhsa_exception_fp_ieee_inexact 0
		.amdhsa_exception_int_div_zero 0
	.end_amdhsa_kernel
	.section	.text._ZN9rocsparseL38csrgemm_numeric_fill_wf_per_row_kernelILj256ELj16ELj32ELj137Ell21rocsparse_complex_numIfEEEvT4_S3_PKS3_S5_NS_24const_host_device_scalarIT5_EEPKT3_S5_PKS7_SB_S5_SD_S8_SB_S5_SD_SB_S5_PS7_21rocsparse_index_base_SF_SF_SF_bbb,"axG",@progbits,_ZN9rocsparseL38csrgemm_numeric_fill_wf_per_row_kernelILj256ELj16ELj32ELj137Ell21rocsparse_complex_numIfEEEvT4_S3_PKS3_S5_NS_24const_host_device_scalarIT5_EEPKT3_S5_PKS7_SB_S5_SD_S8_SB_S5_SD_SB_S5_PS7_21rocsparse_index_base_SF_SF_SF_bbb,comdat
.Lfunc_end121:
	.size	_ZN9rocsparseL38csrgemm_numeric_fill_wf_per_row_kernelILj256ELj16ELj32ELj137Ell21rocsparse_complex_numIfEEEvT4_S3_PKS3_S5_NS_24const_host_device_scalarIT5_EEPKT3_S5_PKS7_SB_S5_SD_S8_SB_S5_SD_SB_S5_PS7_21rocsparse_index_base_SF_SF_SF_bbb, .Lfunc_end121-_ZN9rocsparseL38csrgemm_numeric_fill_wf_per_row_kernelILj256ELj16ELj32ELj137Ell21rocsparse_complex_numIfEEEvT4_S3_PKS3_S5_NS_24const_host_device_scalarIT5_EEPKT3_S5_PKS7_SB_S5_SD_S8_SB_S5_SD_SB_S5_PS7_21rocsparse_index_base_SF_SF_SF_bbb
                                        ; -- End function
	.section	.AMDGPU.csdata,"",@progbits
; Kernel info:
; codeLenInByte = 3156
; NumSgprs: 46
; NumVgprs: 73
; ScratchSize: 0
; MemoryBound: 0
; FloatMode: 240
; IeeeMode: 1
; LDSByteSize: 8192 bytes/workgroup (compile time only)
; SGPRBlocks: 5
; VGPRBlocks: 9
; NumSGPRsForWavesPerEU: 46
; NumVGPRsForWavesPerEU: 73
; Occupancy: 16
; WaveLimiterHint : 1
; COMPUTE_PGM_RSRC2:SCRATCH_EN: 0
; COMPUTE_PGM_RSRC2:USER_SGPR: 15
; COMPUTE_PGM_RSRC2:TRAP_HANDLER: 0
; COMPUTE_PGM_RSRC2:TGID_X_EN: 1
; COMPUTE_PGM_RSRC2:TGID_Y_EN: 0
; COMPUTE_PGM_RSRC2:TGID_Z_EN: 0
; COMPUTE_PGM_RSRC2:TIDIG_COMP_CNT: 0
	.section	.text._ZN9rocsparseL41csrgemm_numeric_fill_block_per_row_kernelILj128ELj16ELj256ELj137ELj32Ell21rocsparse_complex_numIfEEEvT5_PKS3_S5_NS_24const_host_device_scalarIT6_EEPKT4_S5_PKS7_SB_S5_SD_S8_SB_S5_SD_SB_S5_PS7_21rocsparse_index_base_SF_SF_SF_bbb,"axG",@progbits,_ZN9rocsparseL41csrgemm_numeric_fill_block_per_row_kernelILj128ELj16ELj256ELj137ELj32Ell21rocsparse_complex_numIfEEEvT5_PKS3_S5_NS_24const_host_device_scalarIT6_EEPKT4_S5_PKS7_SB_S5_SD_S8_SB_S5_SD_SB_S5_PS7_21rocsparse_index_base_SF_SF_SF_bbb,comdat
	.globl	_ZN9rocsparseL41csrgemm_numeric_fill_block_per_row_kernelILj128ELj16ELj256ELj137ELj32Ell21rocsparse_complex_numIfEEEvT5_PKS3_S5_NS_24const_host_device_scalarIT6_EEPKT4_S5_PKS7_SB_S5_SD_S8_SB_S5_SD_SB_S5_PS7_21rocsparse_index_base_SF_SF_SF_bbb ; -- Begin function _ZN9rocsparseL41csrgemm_numeric_fill_block_per_row_kernelILj128ELj16ELj256ELj137ELj32Ell21rocsparse_complex_numIfEEEvT5_PKS3_S5_NS_24const_host_device_scalarIT6_EEPKT4_S5_PKS7_SB_S5_SD_S8_SB_S5_SD_SB_S5_PS7_21rocsparse_index_base_SF_SF_SF_bbb
	.p2align	8
	.type	_ZN9rocsparseL41csrgemm_numeric_fill_block_per_row_kernelILj128ELj16ELj256ELj137ELj32Ell21rocsparse_complex_numIfEEEvT5_PKS3_S5_NS_24const_host_device_scalarIT6_EEPKT4_S5_PKS7_SB_S5_SD_S8_SB_S5_SD_SB_S5_PS7_21rocsparse_index_base_SF_SF_SF_bbb,@function
_ZN9rocsparseL41csrgemm_numeric_fill_block_per_row_kernelILj128ELj16ELj256ELj137ELj32Ell21rocsparse_complex_numIfEEEvT5_PKS3_S5_NS_24const_host_device_scalarIT6_EEPKT4_S5_PKS7_SB_S5_SD_S8_SB_S5_SD_SB_S5_PS7_21rocsparse_index_base_SF_SF_SF_bbb: ; @_ZN9rocsparseL41csrgemm_numeric_fill_block_per_row_kernelILj128ELj16ELj256ELj137ELj32Ell21rocsparse_complex_numIfEEEvT5_PKS3_S5_NS_24const_host_device_scalarIT6_EEPKT4_S5_PKS7_SB_S5_SD_S8_SB_S5_SD_SB_S5_PS7_21rocsparse_index_base_SF_SF_SF_bbb
; %bb.0:
	s_mov_b32 s38, s15
	s_clause 0x7
	s_load_b32 s33, s[0:1], 0x98
	s_load_b64 s[36:37], s[0:1], 0x70
	s_load_b128 s[24:27], s[0:1], 0x60
	s_load_b256 s[4:11], s[0:1], 0x40
	s_load_b128 s[28:31], s[0:1], 0x8
	s_load_b256 s[12:19], s[0:1], 0x20
	s_load_b64 s[34:35], s[0:1], 0x80
	s_load_b128 s[20:23], s[0:1], 0x88
	s_mov_b32 s3, 0
	s_mov_b32 s41, 0
	s_waitcnt lgkmcnt(0)
	s_bitcmp1_b32 s33, 0
	s_cselect_b32 s42, -1, 0
	s_bitcmp1_b32 s33, 16
	s_cselect_b32 s2, -1, 0
	s_delay_alu instid0(SALU_CYCLE_1) | instskip(SKIP_2) | instid1(VALU_DEP_1)
	s_xor_b32 s39, s2, -1
	s_bitcmp0_b32 s33, 0
	v_cndmask_b32_e64 v1, 0, 1, s39
	v_cmp_ne_u32_e32 vcc_lo, 1, v1
	s_cbranch_scc1 .LBB122_5
; %bb.1:
	s_load_b64 s[2:3], s[0:1], 0x18
	s_and_b32 vcc_lo, exec_lo, vcc_lo
	s_waitcnt lgkmcnt(0)
	s_mov_b32 s41, s2
	s_cbranch_vccnz .LBB122_3
; %bb.2:
	s_load_b32 s41, s[2:3], 0x0
.LBB122_3:
	s_and_not1_b32 vcc_lo, exec_lo, s39
	s_cbranch_vccnz .LBB122_5
; %bb.4:
	s_load_b32 s3, s[2:3], 0x4
.LBB122_5:
	s_bitcmp1_b32 s33, 8
	s_mov_b32 s40, 0
	s_cselect_b32 s2, -1, 0
	s_bfe_u32 s33, s33, 0x10008
	s_delay_alu instid0(SALU_CYCLE_1)
	s_cmp_eq_u32 s33, 0
	s_mov_b32 s33, 0
	s_cbranch_scc1 .LBB122_11
; %bb.6:
	v_cmp_ne_u32_e32 vcc_lo, 1, v1
	s_mov_b32 s33, s8
	s_cbranch_vccnz .LBB122_8
; %bb.7:
	s_load_b32 s33, s[8:9], 0x0
.LBB122_8:
	v_cmp_ne_u32_e32 vcc_lo, 1, v1
	s_cbranch_vccnz .LBB122_10
; %bb.9:
	s_load_b32 s9, s[8:9], 0x4
.LBB122_10:
	s_waitcnt lgkmcnt(0)
	s_mov_b32 s40, s9
.LBB122_11:
	s_load_b64 s[8:9], s[0:1], 0x0
	v_cmp_gt_u32_e64 s0, 0x100, v0
	v_or_b32_e32 v12, 0xffffff80, v0
	v_lshl_add_u32 v13, v0, 3, 0
	s_delay_alu instid0(VALU_DEP_3)
	s_and_saveexec_b32 s1, s0
	s_cbranch_execz .LBB122_14
; %bb.12:
	v_or_b32_e32 v3, 0xffffff80, v0
	v_lshl_add_u32 v4, v0, 3, 0
	s_waitcnt lgkmcnt(0)
	v_dual_mov_b32 v1, s8 :: v_dual_mov_b32 v2, s9
	v_mov_b32_e32 v5, 0
	s_mov_b32 s39, 0
.LBB122_13:                             ; =>This Inner Loop Header: Depth=1
	v_add_co_u32 v3, s43, 0x80, v3
	s_delay_alu instid0(VALU_DEP_1)
	s_xor_b32 s43, s43, -1
	v_add_nc_u32_e32 v6, 0x800, v4
	ds_store_b64 v4, v[1:2]
	v_add_nc_u32_e32 v4, 0x400, v4
	s_and_b32 s43, exec_lo, s43
	ds_store_2addr_b32 v6, v5, v5 offset1:1
	s_or_b32 s39, s43, s39
	s_delay_alu instid0(SALU_CYCLE_1)
	s_and_not1_b32 exec_lo, exec_lo, s39
	s_cbranch_execnz .LBB122_13
.LBB122_14:
	s_or_b32 exec_lo, exec_lo, s1
	s_waitcnt lgkmcnt(0)
	s_barrier
	buffer_gl0_inv
	s_load_b64 s[28:29], s[28:29], 0x0
	s_mov_b32 s39, 0
	s_waitcnt lgkmcnt(0)
	s_lshl_b64 s[28:29], s[28:29], 3
	s_delay_alu instid0(SALU_CYCLE_1) | instskip(SKIP_2) | instid1(SALU_CYCLE_1)
	s_add_u32 s1, s30, s28
	s_addc_u32 s30, s31, s29
	s_lshl_b64 s[28:29], s[38:39], 3
	s_add_u32 s28, s1, s28
	s_addc_u32 s29, s30, s29
	s_and_b32 vcc_lo, exec_lo, s42
	s_load_b64 s[28:29], s[28:29], 0x0
	s_cbranch_vccz .LBB122_34
; %bb.15:
	s_waitcnt lgkmcnt(0)
	s_lshl_b64 s[30:31], s[28:29], 3
	v_lshrrev_b32_e32 v1, 4, v0
	s_add_u32 s12, s12, s30
	s_addc_u32 s13, s13, s31
	s_load_b128 s[44:47], s[12:13], 0x0
	s_delay_alu instid0(VALU_DEP_1) | instskip(NEXT) | instid1(VALU_DEP_1)
	v_sub_co_u32 v1, s1, v1, s20
	v_sub_co_ci_u32_e64 v2, null, 0, 0, s1
	s_mov_b32 s1, exec_lo
	s_waitcnt lgkmcnt(0)
	s_delay_alu instid0(VALU_DEP_2) | instskip(NEXT) | instid1(VALU_DEP_2)
	v_add_co_u32 v1, vcc_lo, s44, v1
	v_add_co_ci_u32_e32 v2, vcc_lo, s45, v2, vcc_lo
	s_sub_u32 s12, s46, s20
	s_subb_u32 s13, s47, 0
	s_delay_alu instid0(VALU_DEP_1) | instid1(SALU_CYCLE_1)
	v_cmpx_gt_i64_e64 s[12:13], v[1:2]
	s_cbranch_execz .LBB122_33
; %bb.16:
	v_and_b32_e32 v3, 15, v0
	s_delay_alu instid0(VALU_DEP_1) | instskip(NEXT) | instid1(VALU_DEP_1)
	v_sub_co_u32 v11, s30, v3, s21
	v_sub_co_ci_u32_e64 v14, null, 0, 0, s30
	s_mov_b32 s30, 0
	s_branch .LBB122_18
.LBB122_17:                             ;   in Loop: Header=BB122_18 Depth=1
	s_or_b32 exec_lo, exec_lo, s31
	v_add_co_u32 v1, vcc_lo, v1, 8
	v_add_co_ci_u32_e32 v2, vcc_lo, 0, v2, vcc_lo
	s_delay_alu instid0(VALU_DEP_1) | instskip(SKIP_1) | instid1(SALU_CYCLE_1)
	v_cmp_le_i64_e32 vcc_lo, s[12:13], v[1:2]
	s_or_b32 s30, vcc_lo, s30
	s_and_not1_b32 exec_lo, exec_lo, s30
	s_cbranch_execz .LBB122_33
.LBB122_18:                             ; =>This Loop Header: Depth=1
                                        ;     Child Loop BB122_21 Depth 2
                                        ;       Child Loop BB122_23 Depth 3
	v_lshlrev_b64 v[7:8], 3, v[1:2]
	s_mov_b32 s31, exec_lo
	s_delay_alu instid0(VALU_DEP_1) | instskip(NEXT) | instid1(VALU_DEP_2)
	v_add_co_u32 v3, vcc_lo, s14, v7
	v_add_co_ci_u32_e32 v4, vcc_lo, s15, v8, vcc_lo
	global_load_b64 v[3:4], v[3:4], off
	s_waitcnt vmcnt(0)
	v_sub_co_u32 v3, vcc_lo, v3, s20
	v_subrev_co_ci_u32_e32 v4, vcc_lo, 0, v4, vcc_lo
	s_delay_alu instid0(VALU_DEP_1) | instskip(NEXT) | instid1(VALU_DEP_1)
	v_lshlrev_b64 v[3:4], 3, v[3:4]
	v_add_co_u32 v3, vcc_lo, s18, v3
	s_delay_alu instid0(VALU_DEP_2)
	v_add_co_ci_u32_e32 v4, vcc_lo, s19, v4, vcc_lo
	global_load_b128 v[15:18], v[3:4], off
	s_waitcnt vmcnt(0)
	v_sub_co_u32 v3, vcc_lo, v17, s21
	v_subrev_co_ci_u32_e32 v4, vcc_lo, 0, v18, vcc_lo
	v_add_co_u32 v5, vcc_lo, v15, v11
	v_add_co_ci_u32_e32 v6, vcc_lo, v16, v14, vcc_lo
	s_delay_alu instid0(VALU_DEP_1)
	v_cmpx_lt_i64_e64 v[5:6], v[3:4]
	s_cbranch_execz .LBB122_17
; %bb.19:                               ;   in Loop: Header=BB122_18 Depth=1
	v_add_co_u32 v7, vcc_lo, s16, v7
	v_add_co_ci_u32_e32 v8, vcc_lo, s17, v8, vcc_lo
	s_mov_b32 s38, 0
	global_load_b64 v[7:8], v[7:8], off
	s_waitcnt vmcnt(0)
	v_mul_f32_e64 v15, v8, -s3
	s_delay_alu instid0(VALU_DEP_1) | instskip(NEXT) | instid1(VALU_DEP_1)
	v_dual_mul_f32 v16, s41, v8 :: v_dual_fmac_f32 v15, s41, v7
	v_fmac_f32_e32 v16, s3, v7
	s_branch .LBB122_21
.LBB122_20:                             ;   in Loop: Header=BB122_21 Depth=2
	s_or_b32 exec_lo, exec_lo, s39
	v_add_co_u32 v5, vcc_lo, v5, 16
	v_add_co_ci_u32_e32 v6, vcc_lo, 0, v6, vcc_lo
	s_delay_alu instid0(VALU_DEP_1) | instskip(SKIP_1) | instid1(SALU_CYCLE_1)
	v_cmp_ge_i64_e32 vcc_lo, v[5:6], v[3:4]
	s_or_b32 s38, vcc_lo, s38
	s_and_not1_b32 exec_lo, exec_lo, s38
	s_cbranch_execz .LBB122_17
.LBB122_21:                             ;   Parent Loop BB122_18 Depth=1
                                        ; =>  This Loop Header: Depth=2
                                        ;       Child Loop BB122_23 Depth 3
	v_lshlrev_b64 v[7:8], 3, v[5:6]
	s_mov_b32 s39, 0
	s_delay_alu instid0(VALU_DEP_1) | instskip(NEXT) | instid1(VALU_DEP_2)
	v_add_co_u32 v9, vcc_lo, s4, v7
	v_add_co_ci_u32_e32 v10, vcc_lo, s5, v8, vcc_lo
	v_add_co_u32 v7, vcc_lo, s6, v7
	v_add_co_ci_u32_e32 v8, vcc_lo, s7, v8, vcc_lo
	global_load_b64 v[9:10], v[9:10], off
	global_load_b64 v[19:20], v[7:8], off
	s_waitcnt vmcnt(1)
	v_sub_co_u32 v7, vcc_lo, v9, s21
	v_subrev_co_ci_u32_e32 v8, vcc_lo, 0, v10, vcc_lo
	s_waitcnt vmcnt(0)
	v_mul_f32_e64 v17, v20, -v16
	s_delay_alu instid0(VALU_DEP_3) | instskip(SKIP_1) | instid1(VALU_DEP_3)
	v_mul_lo_u32 v9, 0x89, v7
	v_mul_f32_e32 v18, v15, v20
	v_fmac_f32_e32 v17, v15, v19
	s_delay_alu instid0(VALU_DEP_2)
	v_dual_fmac_f32 v18, v16, v19 :: v_dual_and_b32 v19, 0xff, v9
	s_branch .LBB122_23
.LBB122_22:                             ;   in Loop: Header=BB122_23 Depth=3
	s_or_b32 exec_lo, exec_lo, s42
	s_xor_b32 s42, s43, -1
	s_delay_alu instid0(SALU_CYCLE_1) | instskip(NEXT) | instid1(SALU_CYCLE_1)
	s_and_b32 s42, exec_lo, s42
	s_or_b32 s39, s42, s39
	s_delay_alu instid0(SALU_CYCLE_1)
	s_and_not1_b32 exec_lo, exec_lo, s39
	s_cbranch_execz .LBB122_20
.LBB122_23:                             ;   Parent Loop BB122_18 Depth=1
                                        ;     Parent Loop BB122_21 Depth=2
                                        ; =>    This Inner Loop Header: Depth=3
	s_delay_alu instid0(VALU_DEP_1)
	v_lshl_add_u32 v20, v19, 3, 0
	s_mov_b32 s42, exec_lo
                                        ; implicit-def: $sgpr43
	ds_load_b64 v[9:10], v20
	s_waitcnt lgkmcnt(0)
	v_cmpx_ne_u64_e64 v[9:10], v[7:8]
	s_xor_b32 s42, exec_lo, s42
	s_cbranch_execz .LBB122_31
; %bb.24:                               ;   in Loop: Header=BB122_23 Depth=3
	s_mov_b32 s44, exec_lo
                                        ; implicit-def: $sgpr43
	v_cmpx_ne_u64_e64 s[8:9], v[9:10]
	s_xor_b32 s44, exec_lo, s44
; %bb.25:                               ;   in Loop: Header=BB122_23 Depth=3
	v_add_nc_u32_e32 v9, 1, v19
	s_mov_b32 s43, -1
                                        ; implicit-def: $vgpr20
	s_delay_alu instid0(VALU_DEP_1)
	v_and_b32_e32 v19, 0xff, v9
; %bb.26:                               ;   in Loop: Header=BB122_23 Depth=3
	s_and_not1_saveexec_b32 s44, s44
	s_cbranch_execz .LBB122_30
; %bb.27:                               ;   in Loop: Header=BB122_23 Depth=3
	v_dual_mov_b32 v10, s9 :: v_dual_mov_b32 v9, s8
	s_mov_b32 s45, -1
	s_mov_b32 s46, exec_lo
	ds_cmpstore_rtn_b64 v[9:10], v20, v[7:8], v[9:10]
	s_waitcnt lgkmcnt(0)
	v_cmpx_eq_u64_e64 s[8:9], v[9:10]
	s_cbranch_execz .LBB122_29
; %bb.28:                               ;   in Loop: Header=BB122_23 Depth=3
	ds_add_f32 v20, v17 offset:2048
	ds_add_f32 v20, v18 offset:2052
	s_xor_b32 s45, exec_lo, -1
.LBB122_29:                             ;   in Loop: Header=BB122_23 Depth=3
	s_or_b32 exec_lo, exec_lo, s46
	s_delay_alu instid0(SALU_CYCLE_1) | instskip(SKIP_1) | instid1(SALU_CYCLE_1)
	s_and_not1_b32 s43, s43, exec_lo
	s_and_b32 s45, s45, exec_lo
	s_or_b32 s43, s43, s45
.LBB122_30:                             ;   in Loop: Header=BB122_23 Depth=3
	s_or_b32 exec_lo, exec_lo, s44
	s_delay_alu instid0(SALU_CYCLE_1)
	s_and_b32 s43, s43, exec_lo
                                        ; implicit-def: $vgpr20
.LBB122_31:                             ;   in Loop: Header=BB122_23 Depth=3
	s_and_not1_saveexec_b32 s42, s42
	s_cbranch_execz .LBB122_22
; %bb.32:                               ;   in Loop: Header=BB122_23 Depth=3
	ds_add_f32 v20, v17 offset:2048
	ds_add_f32 v20, v18 offset:2052
	s_and_not1_b32 s43, s43, exec_lo
	s_branch .LBB122_22
.LBB122_33:
	s_or_b32 exec_lo, exec_lo, s1
.LBB122_34:
	s_delay_alu instid0(SALU_CYCLE_1)
	s_and_not1_b32 vcc_lo, exec_lo, s2
	s_cbranch_vccnz .LBB122_51
; %bb.35:
	s_waitcnt lgkmcnt(0)
	s_lshl_b64 s[2:3], s[28:29], 3
	v_sub_co_u32 v1, s1, v0, s23
	s_add_u32 s2, s10, s2
	s_addc_u32 s3, s11, s3
	v_sub_co_ci_u32_e64 v2, null, 0, 0, s1
	s_load_b128 s[4:7], s[2:3], 0x0
	s_mov_b32 s1, 0
	s_waitcnt lgkmcnt(0)
	v_add_co_u32 v1, vcc_lo, s4, v1
	v_add_co_ci_u32_e32 v2, vcc_lo, s5, v2, vcc_lo
	s_sub_u32 s2, s6, s23
	s_subb_u32 s3, s7, 0
	s_mov_b32 s4, exec_lo
	s_delay_alu instid0(VALU_DEP_1)
	v_cmpx_gt_i64_e64 s[2:3], v[1:2]
	s_cbranch_execz .LBB122_50
; %bb.36:
	s_mov_b32 s5, s23
	s_branch .LBB122_38
.LBB122_37:                             ;   in Loop: Header=BB122_38 Depth=1
	s_or_b32 exec_lo, exec_lo, s6
	v_add_co_u32 v1, vcc_lo, 0x80, v1
	v_add_co_ci_u32_e32 v2, vcc_lo, 0, v2, vcc_lo
	s_delay_alu instid0(VALU_DEP_1) | instskip(SKIP_1) | instid1(SALU_CYCLE_1)
	v_cmp_le_i64_e32 vcc_lo, s[2:3], v[1:2]
	s_or_b32 s1, vcc_lo, s1
	s_and_not1_b32 exec_lo, exec_lo, s1
	s_cbranch_execz .LBB122_50
.LBB122_38:                             ; =>This Loop Header: Depth=1
                                        ;     Child Loop BB122_40 Depth 2
	v_lshlrev_b64 v[3:4], 3, v[1:2]
	s_mov_b32 s6, 0
	s_delay_alu instid0(VALU_DEP_1) | instskip(NEXT) | instid1(VALU_DEP_2)
	v_add_co_u32 v5, vcc_lo, s24, v3
	v_add_co_ci_u32_e32 v6, vcc_lo, s25, v4, vcc_lo
	v_add_co_u32 v3, vcc_lo, s26, v3
	v_add_co_ci_u32_e32 v4, vcc_lo, s27, v4, vcc_lo
	global_load_b64 v[5:6], v[5:6], off
	global_load_b64 v[9:10], v[3:4], off
	s_waitcnt vmcnt(1)
	v_sub_co_u32 v3, vcc_lo, v5, s5
	v_subrev_co_ci_u32_e32 v4, vcc_lo, 0, v6, vcc_lo
	s_waitcnt vmcnt(0)
	v_mul_f32_e64 v7, v10, -s40
	s_delay_alu instid0(VALU_DEP_3) | instskip(NEXT) | instid1(VALU_DEP_2)
	v_mul_lo_u32 v5, 0x89, v3
	v_dual_mul_f32 v8, s33, v10 :: v_dual_fmac_f32 v7, s33, v9
	s_delay_alu instid0(VALU_DEP_1) | instskip(NEXT) | instid1(VALU_DEP_3)
	v_fmac_f32_e32 v8, s40, v9
	v_and_b32_e32 v9, 0xff, v5
	s_branch .LBB122_40
.LBB122_39:                             ;   in Loop: Header=BB122_40 Depth=2
	s_or_b32 exec_lo, exec_lo, s7
	s_xor_b32 s7, s10, -1
	s_delay_alu instid0(SALU_CYCLE_1) | instskip(NEXT) | instid1(SALU_CYCLE_1)
	s_and_b32 s7, exec_lo, s7
	s_or_b32 s6, s7, s6
	s_delay_alu instid0(SALU_CYCLE_1)
	s_and_not1_b32 exec_lo, exec_lo, s6
	s_cbranch_execz .LBB122_37
.LBB122_40:                             ;   Parent Loop BB122_38 Depth=1
                                        ; =>  This Inner Loop Header: Depth=2
	s_delay_alu instid0(VALU_DEP_1)
	v_lshl_add_u32 v10, v9, 3, 0
	s_mov_b32 s7, exec_lo
                                        ; implicit-def: $sgpr10
	ds_load_b64 v[5:6], v10
	s_waitcnt lgkmcnt(0)
	v_cmpx_ne_u64_e64 v[5:6], v[3:4]
	s_xor_b32 s7, exec_lo, s7
	s_cbranch_execz .LBB122_48
; %bb.41:                               ;   in Loop: Header=BB122_40 Depth=2
	s_mov_b32 s11, exec_lo
                                        ; implicit-def: $sgpr10
	v_cmpx_ne_u64_e64 s[8:9], v[5:6]
	s_xor_b32 s11, exec_lo, s11
; %bb.42:                               ;   in Loop: Header=BB122_40 Depth=2
	v_add_nc_u32_e32 v5, 1, v9
	s_mov_b32 s10, -1
                                        ; implicit-def: $vgpr10
	s_delay_alu instid0(VALU_DEP_1)
	v_and_b32_e32 v9, 0xff, v5
; %bb.43:                               ;   in Loop: Header=BB122_40 Depth=2
	s_and_not1_saveexec_b32 s11, s11
	s_cbranch_execz .LBB122_47
; %bb.44:                               ;   in Loop: Header=BB122_40 Depth=2
	v_dual_mov_b32 v5, s8 :: v_dual_mov_b32 v6, s9
	s_mov_b32 s12, -1
	s_mov_b32 s13, exec_lo
	ds_cmpstore_rtn_b64 v[5:6], v10, v[3:4], v[5:6]
	s_waitcnt lgkmcnt(0)
	v_cmpx_eq_u64_e64 s[8:9], v[5:6]
	s_cbranch_execz .LBB122_46
; %bb.45:                               ;   in Loop: Header=BB122_40 Depth=2
	ds_add_f32 v10, v7 offset:2048
	ds_add_f32 v10, v8 offset:2052
	s_xor_b32 s12, exec_lo, -1
.LBB122_46:                             ;   in Loop: Header=BB122_40 Depth=2
	s_or_b32 exec_lo, exec_lo, s13
	s_delay_alu instid0(SALU_CYCLE_1) | instskip(SKIP_1) | instid1(SALU_CYCLE_1)
	s_and_not1_b32 s10, s10, exec_lo
	s_and_b32 s12, s12, exec_lo
	s_or_b32 s10, s10, s12
.LBB122_47:                             ;   in Loop: Header=BB122_40 Depth=2
	s_or_b32 exec_lo, exec_lo, s11
	s_delay_alu instid0(SALU_CYCLE_1)
	s_and_b32 s10, s10, exec_lo
                                        ; implicit-def: $vgpr10
.LBB122_48:                             ;   in Loop: Header=BB122_40 Depth=2
	s_and_not1_saveexec_b32 s7, s7
	s_cbranch_execz .LBB122_39
; %bb.49:                               ;   in Loop: Header=BB122_40 Depth=2
	ds_add_f32 v10, v7 offset:2048
	ds_add_f32 v10, v8 offset:2052
	s_and_not1_b32 s10, s10, exec_lo
	s_branch .LBB122_39
.LBB122_50:
	s_or_b32 exec_lo, exec_lo, s4
.LBB122_51:
	s_waitcnt lgkmcnt(0)
	s_barrier
	buffer_gl0_inv
	s_and_saveexec_b32 s4, s0
	s_cbranch_execz .LBB122_64
; %bb.52:
	v_mbcnt_lo_u32_b32 v1, -1, 0
	v_lshrrev_b32_e32 v2, 2, v0
	v_cmp_eq_u32_e32 vcc_lo, 0x7f, v0
	v_cmp_lt_u32_e64 s0, 31, v0
	v_cmp_lt_u32_e64 s1, 63, v0
	v_xor_b32_e32 v1, 63, v1
	v_and_b32_e32 v3, 24, v2
	v_cmp_lt_u32_e64 s2, 0x5f, v0
	s_mov_b32 s5, 0
	v_mov_b32_e32 v5, 0
	v_lshrrev_b64 v[1:2], v1, -1
	v_add_nc_u32_e32 v14, 0, v3
	v_mov_b32_e32 v2, 0
	v_mov_b32_e32 v3, 0
	s_branch .LBB122_54
.LBB122_53:                             ;   in Loop: Header=BB122_54 Depth=1
	s_or_b32 exec_lo, exec_lo, s3
	s_waitcnt lgkmcnt(0)
	s_barrier
	buffer_gl0_inv
	ds_load_b64 v[6:7], v5 offset:4120
	v_add_co_u32 v12, s3, 0x80, v12
	s_delay_alu instid0(VALU_DEP_1) | instskip(SKIP_3) | instid1(VALU_DEP_1)
	s_xor_b32 s6, s3, -1
	v_add_nc_u32_e32 v13, 0x400, v13
	s_waitcnt lgkmcnt(0)
	v_add_co_u32 v2, s3, v6, v2
	v_add_co_ci_u32_e64 v3, s3, v7, v3, s3
	s_and_b32 s3, exec_lo, s6
	s_delay_alu instid0(SALU_CYCLE_1) | instskip(NEXT) | instid1(SALU_CYCLE_1)
	s_or_b32 s5, s3, s5
	s_and_not1_b32 exec_lo, exec_lo, s5
	s_cbranch_execz .LBB122_64
.LBB122_54:                             ; =>This Inner Loop Header: Depth=1
	ds_load_b64 v[6:7], v13
	v_add_nc_u32_e32 v4, 0x800, v13
	ds_load_2addr_b32 v[8:9], v4 offset1:1
	s_waitcnt lgkmcnt(0)
	s_barrier
	buffer_gl0_inv
	v_cmp_gt_i64_e64 s3, s[8:9], v[6:7]
	s_delay_alu instid0(VALU_DEP_1) | instskip(SKIP_1) | instid1(SALU_CYCLE_1)
	v_and_b32_e32 v10, s3, v1
	s_bcnt1_i32_b32 s6, s3
	v_mov_b32_e32 v4, s6
	s_delay_alu instid0(VALU_DEP_2)
	v_bcnt_u32_b32 v10, v10, 0
	ds_store_b64 v14, v[4:5] offset:4096
	s_waitcnt lgkmcnt(0)
	s_barrier
	buffer_gl0_inv
	s_and_saveexec_b32 s6, s0
	s_cbranch_execnz .LBB122_59
; %bb.55:                               ;   in Loop: Header=BB122_54 Depth=1
	s_or_b32 exec_lo, exec_lo, s6
	s_and_saveexec_b32 s6, s1
	s_cbranch_execnz .LBB122_60
.LBB122_56:                             ;   in Loop: Header=BB122_54 Depth=1
	s_or_b32 exec_lo, exec_lo, s6
	s_and_saveexec_b32 s6, s2
	s_cbranch_execnz .LBB122_61
.LBB122_57:                             ;   in Loop: Header=BB122_54 Depth=1
	s_or_b32 exec_lo, exec_lo, s6
	v_ashrrev_i32_e32 v11, 31, v10
	s_and_saveexec_b32 s6, s3
	s_cbranch_execnz .LBB122_62
.LBB122_58:                             ;   in Loop: Header=BB122_54 Depth=1
	s_or_b32 exec_lo, exec_lo, s6
	s_and_saveexec_b32 s3, vcc_lo
	s_cbranch_execz .LBB122_53
	s_branch .LBB122_63
.LBB122_59:                             ;   in Loop: Header=BB122_54 Depth=1
	ds_load_b32 v4, v5 offset:4096
	s_waitcnt lgkmcnt(0)
	v_add_nc_u32_e32 v10, v4, v10
	s_or_b32 exec_lo, exec_lo, s6
	s_and_saveexec_b32 s6, s1
	s_cbranch_execz .LBB122_56
.LBB122_60:                             ;   in Loop: Header=BB122_54 Depth=1
	ds_load_b32 v4, v5 offset:4104
	s_waitcnt lgkmcnt(0)
	v_add_nc_u32_e32 v10, v10, v4
	s_or_b32 exec_lo, exec_lo, s6
	s_and_saveexec_b32 s6, s2
	s_cbranch_execz .LBB122_57
.LBB122_61:                             ;   in Loop: Header=BB122_54 Depth=1
	ds_load_b32 v4, v5 offset:4112
	s_waitcnt lgkmcnt(0)
	v_add_nc_u32_e32 v10, v10, v4
	s_or_b32 exec_lo, exec_lo, s6
	s_delay_alu instid0(VALU_DEP_1)
	v_ashrrev_i32_e32 v11, 31, v10
	s_and_saveexec_b32 s6, s3
	s_cbranch_execz .LBB122_58
.LBB122_62:                             ;   in Loop: Header=BB122_54 Depth=1
	v_add3_u32 v4, v2, -1, v10
	s_delay_alu instid0(VALU_DEP_1) | instskip(NEXT) | instid1(VALU_DEP_1)
	v_lshl_add_u32 v4, v4, 3, 0
	v_add_nc_u32_e32 v15, 0x800, v4
	ds_store_b64 v4, v[6:7]
	ds_store_2addr_b32 v15, v8, v9 offset1:1
	s_or_b32 exec_lo, exec_lo, s6
	s_and_saveexec_b32 s3, vcc_lo
	s_cbranch_execz .LBB122_53
.LBB122_63:                             ;   in Loop: Header=BB122_54 Depth=1
	ds_store_b64 v5, v[10:11] offset:4120
	s_branch .LBB122_53
.LBB122_64:
	s_or_b32 exec_lo, exec_lo, s4
	s_lshl_b64 s[0:1], s[28:29], 3
	v_mov_b32_e32 v1, 0
	s_add_u32 s0, s36, s0
	s_addc_u32 s1, s37, s1
	s_mov_b32 s6, exec_lo
	s_load_b128 s[0:3], s[0:1], 0x0
	s_waitcnt lgkmcnt(0)
	s_sub_u32 s4, s2, s0
	s_subb_u32 s5, s3, s1
	s_delay_alu instid0(SALU_CYCLE_1)
	v_cmpx_gt_i64_e64 s[4:5], v[0:1]
	s_cbranch_execz .LBB122_74
; %bb.65:
	s_sub_u32 s8, s0, s22
	s_subb_u32 s9, s1, 0
	s_and_b32 s6, s4, 7
	s_sub_u32 s0, s0, s2
	s_subb_u32 s1, s1, s3
	s_mov_b32 s7, 0
	v_cmp_lt_u64_e64 s12, s[0:1], -7
	s_and_b32 s2, s4, -8
	s_cmp_lg_u64 s[6:7], 0
	s_mov_b32 s3, s5
	s_cselect_b32 s13, -1, 0
	s_mov_b32 s14, s7
	s_branch .LBB122_67
.LBB122_66:                             ;   in Loop: Header=BB122_67 Depth=1
	v_add_co_u32 v0, vcc_lo, 0x80, v0
	v_add_co_ci_u32_e32 v1, vcc_lo, 0, v1, vcc_lo
	s_waitcnt lgkmcnt(1)
	v_lshlrev_b64 v[4:5], 3, v[6:7]
	s_delay_alu instid0(VALU_DEP_2) | instskip(NEXT) | instid1(VALU_DEP_2)
	v_cmp_le_i64_e32 vcc_lo, s[4:5], v[0:1]
	v_add_co_u32 v4, s0, s34, v4
	s_delay_alu instid0(VALU_DEP_1)
	v_add_co_ci_u32_e64 v5, s0, s35, v5, s0
	s_or_b32 s14, vcc_lo, s14
	s_waitcnt lgkmcnt(0)
	global_store_b64 v[4:5], v[2:3], off
	s_and_not1_b32 exec_lo, exec_lo, s14
	s_cbranch_execz .LBB122_74
.LBB122_67:                             ; =>This Loop Header: Depth=1
                                        ;     Child Loop BB122_69 Depth 2
                                        ;     Child Loop BB122_73 Depth 2
	v_lshl_add_u32 v2, v0, 3, 0
	s_and_not1_b32 vcc_lo, exec_lo, s12
	s_mov_b64 s[0:1], 0
	v_dual_mov_b32 v6, s8 :: v_dual_mov_b32 v7, s9
	s_delay_alu instid0(VALU_DEP_2)
	v_add_nc_u32_e32 v3, 0x800, v2
	ds_load_b64 v[4:5], v2
	ds_load_2addr_b32 v[2:3], v3 offset1:1
	s_cbranch_vccnz .LBB122_71
; %bb.68:                               ;   in Loop: Header=BB122_67 Depth=1
	v_dual_mov_b32 v6, s8 :: v_dual_mov_b32 v7, s9
	s_mov_b64 s[10:11], 0
	s_mov_b32 s1, 0
.LBB122_69:                             ;   Parent Loop BB122_67 Depth=1
                                        ; =>  This Inner Loop Header: Depth=2
	s_delay_alu instid0(SALU_CYCLE_1)
	v_mov_b32_e32 v20, s1
	s_add_u32 s10, s10, 8
	s_addc_u32 s11, s11, 0
	s_add_i32 s1, s1, 64
	s_cmp_eq_u64 s[2:3], s[10:11]
	ds_load_2addr_b64 v[8:11], v20 offset1:1
	ds_load_2addr_b64 v[12:15], v20 offset0:2 offset1:3
	ds_load_2addr_b64 v[16:19], v20 offset0:4 offset1:5
	;; [unrolled: 1-line block ×3, first 2 shown]
	s_waitcnt lgkmcnt(3)
	v_cmp_gt_i64_e32 vcc_lo, v[4:5], v[8:9]
	v_cndmask_b32_e64 v8, 0, 1, vcc_lo
	v_cmp_gt_i64_e32 vcc_lo, v[4:5], v[10:11]
	v_cndmask_b32_e64 v9, 0, 1, vcc_lo
	s_waitcnt lgkmcnt(2)
	v_cmp_gt_i64_e32 vcc_lo, v[4:5], v[12:13]
	v_cndmask_b32_e64 v10, 0, 1, vcc_lo
	v_cmp_gt_i64_e32 vcc_lo, v[4:5], v[14:15]
	v_cndmask_b32_e64 v11, 0, 1, vcc_lo
	s_waitcnt lgkmcnt(1)
	v_cmp_gt_i64_e32 vcc_lo, v[4:5], v[16:17]
	v_cndmask_b32_e64 v12, 0, 1, vcc_lo
	v_add_co_u32 v6, vcc_lo, v6, v8
	v_add_co_ci_u32_e32 v7, vcc_lo, 0, v7, vcc_lo
	v_cmp_gt_i64_e32 vcc_lo, v[4:5], v[18:19]
	s_delay_alu instid0(VALU_DEP_3) | instskip(NEXT) | instid1(VALU_DEP_1)
	v_add_co_u32 v6, s0, v6, v9
	v_add_co_ci_u32_e64 v7, s0, 0, v7, s0
	v_cndmask_b32_e64 v8, 0, 1, vcc_lo
	s_delay_alu instid0(VALU_DEP_3) | instskip(NEXT) | instid1(VALU_DEP_3)
	v_add_co_u32 v6, vcc_lo, v6, v10
	v_add_co_ci_u32_e32 v7, vcc_lo, 0, v7, vcc_lo
	s_waitcnt lgkmcnt(0)
	v_cmp_gt_i64_e32 vcc_lo, v[4:5], v[20:21]
	s_delay_alu instid0(VALU_DEP_3) | instskip(NEXT) | instid1(VALU_DEP_1)
	v_add_co_u32 v6, s0, v6, v11
	v_add_co_ci_u32_e64 v7, s0, 0, v7, s0
	v_cndmask_b32_e64 v9, 0, 1, vcc_lo
	s_delay_alu instid0(VALU_DEP_3) | instskip(NEXT) | instid1(VALU_DEP_3)
	v_add_co_u32 v6, vcc_lo, v6, v12
	v_add_co_ci_u32_e32 v7, vcc_lo, 0, v7, vcc_lo
	v_cmp_gt_i64_e32 vcc_lo, v[4:5], v[22:23]
	s_delay_alu instid0(VALU_DEP_3) | instskip(NEXT) | instid1(VALU_DEP_1)
	v_add_co_u32 v6, s0, v6, v8
	v_add_co_ci_u32_e64 v7, s0, 0, v7, s0
	v_cndmask_b32_e64 v8, 0, 1, vcc_lo
	s_delay_alu instid0(VALU_DEP_3) | instskip(NEXT) | instid1(VALU_DEP_3)
	v_add_co_u32 v6, vcc_lo, v6, v9
	v_add_co_ci_u32_e32 v7, vcc_lo, 0, v7, vcc_lo
	s_delay_alu instid0(VALU_DEP_2) | instskip(NEXT) | instid1(VALU_DEP_2)
	v_add_co_u32 v6, vcc_lo, v6, v8
	v_add_co_ci_u32_e32 v7, vcc_lo, 0, v7, vcc_lo
	s_cbranch_scc0 .LBB122_69
; %bb.70:                               ;   in Loop: Header=BB122_67 Depth=1
	s_mov_b64 s[0:1], s[2:3]
.LBB122_71:                             ;   in Loop: Header=BB122_67 Depth=1
	s_and_not1_b32 vcc_lo, exec_lo, s13
	s_cbranch_vccnz .LBB122_66
; %bb.72:                               ;   in Loop: Header=BB122_67 Depth=1
	s_lshl_b32 s0, s0, 3
	s_delay_alu instid0(SALU_CYCLE_1)
	s_add_i32 s10, s0, 0
	s_mov_b64 s[0:1], s[6:7]
.LBB122_73:                             ;   Parent Loop BB122_67 Depth=1
                                        ; =>  This Inner Loop Header: Depth=2
	v_mov_b32_e32 v8, s10
	s_add_i32 s10, s10, 8
	s_add_u32 s0, s0, -1
	s_addc_u32 s1, s1, -1
	s_delay_alu instid0(SALU_CYCLE_1) | instskip(SKIP_4) | instid1(VALU_DEP_1)
	s_cmp_lg_u64 s[0:1], 0
	ds_load_b64 v[8:9], v8
	s_waitcnt lgkmcnt(0)
	v_cmp_gt_i64_e32 vcc_lo, v[4:5], v[8:9]
	v_cndmask_b32_e64 v8, 0, 1, vcc_lo
	v_add_co_u32 v6, vcc_lo, v6, v8
	v_add_co_ci_u32_e32 v7, vcc_lo, 0, v7, vcc_lo
	s_cbranch_scc1 .LBB122_73
	s_branch .LBB122_66
.LBB122_74:
	s_nop 0
	s_sendmsg sendmsg(MSG_DEALLOC_VGPRS)
	s_endpgm
	.section	.rodata,"a",@progbits
	.p2align	6, 0x0
	.amdhsa_kernel _ZN9rocsparseL41csrgemm_numeric_fill_block_per_row_kernelILj128ELj16ELj256ELj137ELj32Ell21rocsparse_complex_numIfEEEvT5_PKS3_S5_NS_24const_host_device_scalarIT6_EEPKT4_S5_PKS7_SB_S5_SD_S8_SB_S5_SD_SB_S5_PS7_21rocsparse_index_base_SF_SF_SF_bbb
		.amdhsa_group_segment_fixed_size 0
		.amdhsa_private_segment_fixed_size 0
		.amdhsa_kernarg_size 156
		.amdhsa_user_sgpr_count 15
		.amdhsa_user_sgpr_dispatch_ptr 0
		.amdhsa_user_sgpr_queue_ptr 0
		.amdhsa_user_sgpr_kernarg_segment_ptr 1
		.amdhsa_user_sgpr_dispatch_id 0
		.amdhsa_user_sgpr_private_segment_size 0
		.amdhsa_wavefront_size32 1
		.amdhsa_uses_dynamic_stack 0
		.amdhsa_enable_private_segment 0
		.amdhsa_system_sgpr_workgroup_id_x 1
		.amdhsa_system_sgpr_workgroup_id_y 0
		.amdhsa_system_sgpr_workgroup_id_z 0
		.amdhsa_system_sgpr_workgroup_info 0
		.amdhsa_system_vgpr_workitem_id 0
		.amdhsa_next_free_vgpr 24
		.amdhsa_next_free_sgpr 48
		.amdhsa_reserve_vcc 1
		.amdhsa_float_round_mode_32 0
		.amdhsa_float_round_mode_16_64 0
		.amdhsa_float_denorm_mode_32 3
		.amdhsa_float_denorm_mode_16_64 3
		.amdhsa_dx10_clamp 1
		.amdhsa_ieee_mode 1
		.amdhsa_fp16_overflow 0
		.amdhsa_workgroup_processor_mode 1
		.amdhsa_memory_ordered 1
		.amdhsa_forward_progress 0
		.amdhsa_shared_vgpr_count 0
		.amdhsa_exception_fp_ieee_invalid_op 0
		.amdhsa_exception_fp_denorm_src 0
		.amdhsa_exception_fp_ieee_div_zero 0
		.amdhsa_exception_fp_ieee_overflow 0
		.amdhsa_exception_fp_ieee_underflow 0
		.amdhsa_exception_fp_ieee_inexact 0
		.amdhsa_exception_int_div_zero 0
	.end_amdhsa_kernel
	.section	.text._ZN9rocsparseL41csrgemm_numeric_fill_block_per_row_kernelILj128ELj16ELj256ELj137ELj32Ell21rocsparse_complex_numIfEEEvT5_PKS3_S5_NS_24const_host_device_scalarIT6_EEPKT4_S5_PKS7_SB_S5_SD_S8_SB_S5_SD_SB_S5_PS7_21rocsparse_index_base_SF_SF_SF_bbb,"axG",@progbits,_ZN9rocsparseL41csrgemm_numeric_fill_block_per_row_kernelILj128ELj16ELj256ELj137ELj32Ell21rocsparse_complex_numIfEEEvT5_PKS3_S5_NS_24const_host_device_scalarIT6_EEPKT4_S5_PKS7_SB_S5_SD_S8_SB_S5_SD_SB_S5_PS7_21rocsparse_index_base_SF_SF_SF_bbb,comdat
.Lfunc_end122:
	.size	_ZN9rocsparseL41csrgemm_numeric_fill_block_per_row_kernelILj128ELj16ELj256ELj137ELj32Ell21rocsparse_complex_numIfEEEvT5_PKS3_S5_NS_24const_host_device_scalarIT6_EEPKT4_S5_PKS7_SB_S5_SD_S8_SB_S5_SD_SB_S5_PS7_21rocsparse_index_base_SF_SF_SF_bbb, .Lfunc_end122-_ZN9rocsparseL41csrgemm_numeric_fill_block_per_row_kernelILj128ELj16ELj256ELj137ELj32Ell21rocsparse_complex_numIfEEEvT5_PKS3_S5_NS_24const_host_device_scalarIT6_EEPKT4_S5_PKS7_SB_S5_SD_S8_SB_S5_SD_SB_S5_PS7_21rocsparse_index_base_SF_SF_SF_bbb
                                        ; -- End function
	.section	.AMDGPU.csdata,"",@progbits
; Kernel info:
; codeLenInByte = 2996
; NumSgprs: 50
; NumVgprs: 24
; ScratchSize: 0
; MemoryBound: 0
; FloatMode: 240
; IeeeMode: 1
; LDSByteSize: 0 bytes/workgroup (compile time only)
; SGPRBlocks: 6
; VGPRBlocks: 2
; NumSGPRsForWavesPerEU: 50
; NumVGPRsForWavesPerEU: 24
; Occupancy: 16
; WaveLimiterHint : 1
; COMPUTE_PGM_RSRC2:SCRATCH_EN: 0
; COMPUTE_PGM_RSRC2:USER_SGPR: 15
; COMPUTE_PGM_RSRC2:TRAP_HANDLER: 0
; COMPUTE_PGM_RSRC2:TGID_X_EN: 1
; COMPUTE_PGM_RSRC2:TGID_Y_EN: 0
; COMPUTE_PGM_RSRC2:TGID_Z_EN: 0
; COMPUTE_PGM_RSRC2:TIDIG_COMP_CNT: 0
	.section	.text._ZN9rocsparseL41csrgemm_numeric_fill_block_per_row_kernelILj128ELj16ELj256ELj137ELj64Ell21rocsparse_complex_numIfEEEvT5_PKS3_S5_NS_24const_host_device_scalarIT6_EEPKT4_S5_PKS7_SB_S5_SD_S8_SB_S5_SD_SB_S5_PS7_21rocsparse_index_base_SF_SF_SF_bbb,"axG",@progbits,_ZN9rocsparseL41csrgemm_numeric_fill_block_per_row_kernelILj128ELj16ELj256ELj137ELj64Ell21rocsparse_complex_numIfEEEvT5_PKS3_S5_NS_24const_host_device_scalarIT6_EEPKT4_S5_PKS7_SB_S5_SD_S8_SB_S5_SD_SB_S5_PS7_21rocsparse_index_base_SF_SF_SF_bbb,comdat
	.globl	_ZN9rocsparseL41csrgemm_numeric_fill_block_per_row_kernelILj128ELj16ELj256ELj137ELj64Ell21rocsparse_complex_numIfEEEvT5_PKS3_S5_NS_24const_host_device_scalarIT6_EEPKT4_S5_PKS7_SB_S5_SD_S8_SB_S5_SD_SB_S5_PS7_21rocsparse_index_base_SF_SF_SF_bbb ; -- Begin function _ZN9rocsparseL41csrgemm_numeric_fill_block_per_row_kernelILj128ELj16ELj256ELj137ELj64Ell21rocsparse_complex_numIfEEEvT5_PKS3_S5_NS_24const_host_device_scalarIT6_EEPKT4_S5_PKS7_SB_S5_SD_S8_SB_S5_SD_SB_S5_PS7_21rocsparse_index_base_SF_SF_SF_bbb
	.p2align	8
	.type	_ZN9rocsparseL41csrgemm_numeric_fill_block_per_row_kernelILj128ELj16ELj256ELj137ELj64Ell21rocsparse_complex_numIfEEEvT5_PKS3_S5_NS_24const_host_device_scalarIT6_EEPKT4_S5_PKS7_SB_S5_SD_S8_SB_S5_SD_SB_S5_PS7_21rocsparse_index_base_SF_SF_SF_bbb,@function
_ZN9rocsparseL41csrgemm_numeric_fill_block_per_row_kernelILj128ELj16ELj256ELj137ELj64Ell21rocsparse_complex_numIfEEEvT5_PKS3_S5_NS_24const_host_device_scalarIT6_EEPKT4_S5_PKS7_SB_S5_SD_S8_SB_S5_SD_SB_S5_PS7_21rocsparse_index_base_SF_SF_SF_bbb: ; @_ZN9rocsparseL41csrgemm_numeric_fill_block_per_row_kernelILj128ELj16ELj256ELj137ELj64Ell21rocsparse_complex_numIfEEEvT5_PKS3_S5_NS_24const_host_device_scalarIT6_EEPKT4_S5_PKS7_SB_S5_SD_S8_SB_S5_SD_SB_S5_PS7_21rocsparse_index_base_SF_SF_SF_bbb
; %bb.0:
	s_mov_b32 s38, s15
	s_clause 0x7
	s_load_b32 s33, s[0:1], 0x98
	s_load_b64 s[36:37], s[0:1], 0x70
	s_load_b128 s[24:27], s[0:1], 0x60
	s_load_b256 s[4:11], s[0:1], 0x40
	s_load_b128 s[28:31], s[0:1], 0x8
	s_load_b256 s[12:19], s[0:1], 0x20
	s_load_b64 s[34:35], s[0:1], 0x80
	s_load_b128 s[20:23], s[0:1], 0x88
	s_mov_b32 s3, 0
	s_mov_b32 s41, 0
	s_waitcnt lgkmcnt(0)
	s_bitcmp1_b32 s33, 0
	s_cselect_b32 s42, -1, 0
	s_bitcmp1_b32 s33, 16
	s_cselect_b32 s2, -1, 0
	s_delay_alu instid0(SALU_CYCLE_1) | instskip(SKIP_2) | instid1(VALU_DEP_1)
	s_xor_b32 s39, s2, -1
	s_bitcmp0_b32 s33, 0
	v_cndmask_b32_e64 v1, 0, 1, s39
	v_cmp_ne_u32_e32 vcc_lo, 1, v1
	s_cbranch_scc1 .LBB123_5
; %bb.1:
	s_load_b64 s[2:3], s[0:1], 0x18
	s_and_b32 vcc_lo, exec_lo, vcc_lo
	s_waitcnt lgkmcnt(0)
	s_mov_b32 s41, s2
	s_cbranch_vccnz .LBB123_3
; %bb.2:
	s_load_b32 s41, s[2:3], 0x0
.LBB123_3:
	s_and_not1_b32 vcc_lo, exec_lo, s39
	s_cbranch_vccnz .LBB123_5
; %bb.4:
	s_load_b32 s3, s[2:3], 0x4
.LBB123_5:
	s_bitcmp1_b32 s33, 8
	s_mov_b32 s40, 0
	s_cselect_b32 s2, -1, 0
	s_bfe_u32 s33, s33, 0x10008
	s_delay_alu instid0(SALU_CYCLE_1)
	s_cmp_eq_u32 s33, 0
	s_mov_b32 s33, 0
	s_cbranch_scc1 .LBB123_11
; %bb.6:
	v_cmp_ne_u32_e32 vcc_lo, 1, v1
	s_mov_b32 s33, s8
	s_cbranch_vccnz .LBB123_8
; %bb.7:
	s_load_b32 s33, s[8:9], 0x0
.LBB123_8:
	v_cmp_ne_u32_e32 vcc_lo, 1, v1
	s_cbranch_vccnz .LBB123_10
; %bb.9:
	s_load_b32 s9, s[8:9], 0x4
.LBB123_10:
	s_waitcnt lgkmcnt(0)
	s_mov_b32 s40, s9
.LBB123_11:
	s_load_b64 s[8:9], s[0:1], 0x0
	v_cmp_gt_u32_e64 s0, 0x100, v0
	v_or_b32_e32 v12, 0xffffff80, v0
	v_lshl_add_u32 v13, v0, 3, 0
	s_delay_alu instid0(VALU_DEP_3)
	s_and_saveexec_b32 s1, s0
	s_cbranch_execz .LBB123_14
; %bb.12:
	v_or_b32_e32 v3, 0xffffff80, v0
	v_lshl_add_u32 v4, v0, 3, 0
	s_waitcnt lgkmcnt(0)
	v_dual_mov_b32 v1, s8 :: v_dual_mov_b32 v2, s9
	v_mov_b32_e32 v5, 0
	s_mov_b32 s39, 0
.LBB123_13:                             ; =>This Inner Loop Header: Depth=1
	v_add_co_u32 v3, s43, 0x80, v3
	s_delay_alu instid0(VALU_DEP_1)
	s_xor_b32 s43, s43, -1
	v_add_nc_u32_e32 v6, 0x800, v4
	ds_store_b64 v4, v[1:2]
	v_add_nc_u32_e32 v4, 0x400, v4
	s_and_b32 s43, exec_lo, s43
	ds_store_2addr_b32 v6, v5, v5 offset1:1
	s_or_b32 s39, s43, s39
	s_delay_alu instid0(SALU_CYCLE_1)
	s_and_not1_b32 exec_lo, exec_lo, s39
	s_cbranch_execnz .LBB123_13
.LBB123_14:
	s_or_b32 exec_lo, exec_lo, s1
	s_waitcnt lgkmcnt(0)
	s_barrier
	buffer_gl0_inv
	s_load_b64 s[28:29], s[28:29], 0x0
	s_mov_b32 s39, 0
	s_waitcnt lgkmcnt(0)
	s_lshl_b64 s[28:29], s[28:29], 3
	s_delay_alu instid0(SALU_CYCLE_1) | instskip(SKIP_2) | instid1(SALU_CYCLE_1)
	s_add_u32 s1, s30, s28
	s_addc_u32 s30, s31, s29
	s_lshl_b64 s[28:29], s[38:39], 3
	s_add_u32 s28, s1, s28
	s_addc_u32 s29, s30, s29
	s_and_b32 vcc_lo, exec_lo, s42
	s_load_b64 s[28:29], s[28:29], 0x0
	s_cbranch_vccz .LBB123_34
; %bb.15:
	s_waitcnt lgkmcnt(0)
	s_lshl_b64 s[30:31], s[28:29], 3
	v_lshrrev_b32_e32 v1, 4, v0
	s_add_u32 s12, s12, s30
	s_addc_u32 s13, s13, s31
	s_load_b128 s[44:47], s[12:13], 0x0
	s_delay_alu instid0(VALU_DEP_1) | instskip(NEXT) | instid1(VALU_DEP_1)
	v_sub_co_u32 v1, s1, v1, s20
	v_sub_co_ci_u32_e64 v2, null, 0, 0, s1
	s_mov_b32 s1, exec_lo
	s_waitcnt lgkmcnt(0)
	s_delay_alu instid0(VALU_DEP_2) | instskip(NEXT) | instid1(VALU_DEP_2)
	v_add_co_u32 v1, vcc_lo, s44, v1
	v_add_co_ci_u32_e32 v2, vcc_lo, s45, v2, vcc_lo
	s_sub_u32 s12, s46, s20
	s_subb_u32 s13, s47, 0
	s_delay_alu instid0(VALU_DEP_1) | instid1(SALU_CYCLE_1)
	v_cmpx_gt_i64_e64 s[12:13], v[1:2]
	s_cbranch_execz .LBB123_33
; %bb.16:
	v_and_b32_e32 v3, 15, v0
	s_delay_alu instid0(VALU_DEP_1) | instskip(NEXT) | instid1(VALU_DEP_1)
	v_sub_co_u32 v11, s30, v3, s21
	v_sub_co_ci_u32_e64 v14, null, 0, 0, s30
	s_mov_b32 s30, 0
	s_branch .LBB123_18
.LBB123_17:                             ;   in Loop: Header=BB123_18 Depth=1
	s_or_b32 exec_lo, exec_lo, s31
	v_add_co_u32 v1, vcc_lo, v1, 8
	v_add_co_ci_u32_e32 v2, vcc_lo, 0, v2, vcc_lo
	s_delay_alu instid0(VALU_DEP_1) | instskip(SKIP_1) | instid1(SALU_CYCLE_1)
	v_cmp_le_i64_e32 vcc_lo, s[12:13], v[1:2]
	s_or_b32 s30, vcc_lo, s30
	s_and_not1_b32 exec_lo, exec_lo, s30
	s_cbranch_execz .LBB123_33
.LBB123_18:                             ; =>This Loop Header: Depth=1
                                        ;     Child Loop BB123_21 Depth 2
                                        ;       Child Loop BB123_23 Depth 3
	v_lshlrev_b64 v[7:8], 3, v[1:2]
	s_mov_b32 s31, exec_lo
	s_delay_alu instid0(VALU_DEP_1) | instskip(NEXT) | instid1(VALU_DEP_2)
	v_add_co_u32 v3, vcc_lo, s14, v7
	v_add_co_ci_u32_e32 v4, vcc_lo, s15, v8, vcc_lo
	global_load_b64 v[3:4], v[3:4], off
	s_waitcnt vmcnt(0)
	v_sub_co_u32 v3, vcc_lo, v3, s20
	v_subrev_co_ci_u32_e32 v4, vcc_lo, 0, v4, vcc_lo
	s_delay_alu instid0(VALU_DEP_1) | instskip(NEXT) | instid1(VALU_DEP_1)
	v_lshlrev_b64 v[3:4], 3, v[3:4]
	v_add_co_u32 v3, vcc_lo, s18, v3
	s_delay_alu instid0(VALU_DEP_2)
	v_add_co_ci_u32_e32 v4, vcc_lo, s19, v4, vcc_lo
	global_load_b128 v[15:18], v[3:4], off
	s_waitcnt vmcnt(0)
	v_sub_co_u32 v3, vcc_lo, v17, s21
	v_subrev_co_ci_u32_e32 v4, vcc_lo, 0, v18, vcc_lo
	v_add_co_u32 v5, vcc_lo, v15, v11
	v_add_co_ci_u32_e32 v6, vcc_lo, v16, v14, vcc_lo
	s_delay_alu instid0(VALU_DEP_1)
	v_cmpx_lt_i64_e64 v[5:6], v[3:4]
	s_cbranch_execz .LBB123_17
; %bb.19:                               ;   in Loop: Header=BB123_18 Depth=1
	v_add_co_u32 v7, vcc_lo, s16, v7
	v_add_co_ci_u32_e32 v8, vcc_lo, s17, v8, vcc_lo
	s_mov_b32 s38, 0
	global_load_b64 v[7:8], v[7:8], off
	s_waitcnt vmcnt(0)
	v_mul_f32_e64 v15, v8, -s3
	s_delay_alu instid0(VALU_DEP_1) | instskip(NEXT) | instid1(VALU_DEP_1)
	v_dual_mul_f32 v16, s41, v8 :: v_dual_fmac_f32 v15, s41, v7
	v_fmac_f32_e32 v16, s3, v7
	s_branch .LBB123_21
.LBB123_20:                             ;   in Loop: Header=BB123_21 Depth=2
	s_or_b32 exec_lo, exec_lo, s39
	v_add_co_u32 v5, vcc_lo, v5, 16
	v_add_co_ci_u32_e32 v6, vcc_lo, 0, v6, vcc_lo
	s_delay_alu instid0(VALU_DEP_1) | instskip(SKIP_1) | instid1(SALU_CYCLE_1)
	v_cmp_ge_i64_e32 vcc_lo, v[5:6], v[3:4]
	s_or_b32 s38, vcc_lo, s38
	s_and_not1_b32 exec_lo, exec_lo, s38
	s_cbranch_execz .LBB123_17
.LBB123_21:                             ;   Parent Loop BB123_18 Depth=1
                                        ; =>  This Loop Header: Depth=2
                                        ;       Child Loop BB123_23 Depth 3
	v_lshlrev_b64 v[7:8], 3, v[5:6]
	s_mov_b32 s39, 0
	s_delay_alu instid0(VALU_DEP_1) | instskip(NEXT) | instid1(VALU_DEP_2)
	v_add_co_u32 v9, vcc_lo, s4, v7
	v_add_co_ci_u32_e32 v10, vcc_lo, s5, v8, vcc_lo
	v_add_co_u32 v7, vcc_lo, s6, v7
	v_add_co_ci_u32_e32 v8, vcc_lo, s7, v8, vcc_lo
	global_load_b64 v[9:10], v[9:10], off
	global_load_b64 v[19:20], v[7:8], off
	s_waitcnt vmcnt(1)
	v_sub_co_u32 v7, vcc_lo, v9, s21
	v_subrev_co_ci_u32_e32 v8, vcc_lo, 0, v10, vcc_lo
	s_waitcnt vmcnt(0)
	v_mul_f32_e64 v17, v20, -v16
	s_delay_alu instid0(VALU_DEP_3) | instskip(SKIP_1) | instid1(VALU_DEP_3)
	v_mul_lo_u32 v9, 0x89, v7
	v_mul_f32_e32 v18, v15, v20
	v_fmac_f32_e32 v17, v15, v19
	s_delay_alu instid0(VALU_DEP_2)
	v_dual_fmac_f32 v18, v16, v19 :: v_dual_and_b32 v19, 0xff, v9
	s_branch .LBB123_23
.LBB123_22:                             ;   in Loop: Header=BB123_23 Depth=3
	s_or_b32 exec_lo, exec_lo, s42
	s_xor_b32 s42, s43, -1
	s_delay_alu instid0(SALU_CYCLE_1) | instskip(NEXT) | instid1(SALU_CYCLE_1)
	s_and_b32 s42, exec_lo, s42
	s_or_b32 s39, s42, s39
	s_delay_alu instid0(SALU_CYCLE_1)
	s_and_not1_b32 exec_lo, exec_lo, s39
	s_cbranch_execz .LBB123_20
.LBB123_23:                             ;   Parent Loop BB123_18 Depth=1
                                        ;     Parent Loop BB123_21 Depth=2
                                        ; =>    This Inner Loop Header: Depth=3
	s_delay_alu instid0(VALU_DEP_1)
	v_lshl_add_u32 v20, v19, 3, 0
	s_mov_b32 s42, exec_lo
                                        ; implicit-def: $sgpr43
	ds_load_b64 v[9:10], v20
	s_waitcnt lgkmcnt(0)
	v_cmpx_ne_u64_e64 v[9:10], v[7:8]
	s_xor_b32 s42, exec_lo, s42
	s_cbranch_execz .LBB123_31
; %bb.24:                               ;   in Loop: Header=BB123_23 Depth=3
	s_mov_b32 s44, exec_lo
                                        ; implicit-def: $sgpr43
	v_cmpx_ne_u64_e64 s[8:9], v[9:10]
	s_xor_b32 s44, exec_lo, s44
; %bb.25:                               ;   in Loop: Header=BB123_23 Depth=3
	v_add_nc_u32_e32 v9, 1, v19
	s_mov_b32 s43, -1
                                        ; implicit-def: $vgpr20
	s_delay_alu instid0(VALU_DEP_1)
	v_and_b32_e32 v19, 0xff, v9
; %bb.26:                               ;   in Loop: Header=BB123_23 Depth=3
	s_and_not1_saveexec_b32 s44, s44
	s_cbranch_execz .LBB123_30
; %bb.27:                               ;   in Loop: Header=BB123_23 Depth=3
	v_dual_mov_b32 v10, s9 :: v_dual_mov_b32 v9, s8
	s_mov_b32 s45, -1
	s_mov_b32 s46, exec_lo
	ds_cmpstore_rtn_b64 v[9:10], v20, v[7:8], v[9:10]
	s_waitcnt lgkmcnt(0)
	v_cmpx_eq_u64_e64 s[8:9], v[9:10]
	s_cbranch_execz .LBB123_29
; %bb.28:                               ;   in Loop: Header=BB123_23 Depth=3
	ds_add_f32 v20, v17 offset:2048
	ds_add_f32 v20, v18 offset:2052
	s_xor_b32 s45, exec_lo, -1
.LBB123_29:                             ;   in Loop: Header=BB123_23 Depth=3
	s_or_b32 exec_lo, exec_lo, s46
	s_delay_alu instid0(SALU_CYCLE_1) | instskip(SKIP_1) | instid1(SALU_CYCLE_1)
	s_and_not1_b32 s43, s43, exec_lo
	s_and_b32 s45, s45, exec_lo
	s_or_b32 s43, s43, s45
.LBB123_30:                             ;   in Loop: Header=BB123_23 Depth=3
	s_or_b32 exec_lo, exec_lo, s44
	s_delay_alu instid0(SALU_CYCLE_1)
	s_and_b32 s43, s43, exec_lo
                                        ; implicit-def: $vgpr20
.LBB123_31:                             ;   in Loop: Header=BB123_23 Depth=3
	s_and_not1_saveexec_b32 s42, s42
	s_cbranch_execz .LBB123_22
; %bb.32:                               ;   in Loop: Header=BB123_23 Depth=3
	ds_add_f32 v20, v17 offset:2048
	ds_add_f32 v20, v18 offset:2052
	s_and_not1_b32 s43, s43, exec_lo
	s_branch .LBB123_22
.LBB123_33:
	s_or_b32 exec_lo, exec_lo, s1
.LBB123_34:
	s_delay_alu instid0(SALU_CYCLE_1)
	s_and_not1_b32 vcc_lo, exec_lo, s2
	s_cbranch_vccnz .LBB123_51
; %bb.35:
	s_waitcnt lgkmcnt(0)
	s_lshl_b64 s[2:3], s[28:29], 3
	v_sub_co_u32 v1, s1, v0, s23
	s_add_u32 s2, s10, s2
	s_addc_u32 s3, s11, s3
	v_sub_co_ci_u32_e64 v2, null, 0, 0, s1
	s_load_b128 s[4:7], s[2:3], 0x0
	s_mov_b32 s1, 0
	s_waitcnt lgkmcnt(0)
	v_add_co_u32 v1, vcc_lo, s4, v1
	v_add_co_ci_u32_e32 v2, vcc_lo, s5, v2, vcc_lo
	s_sub_u32 s2, s6, s23
	s_subb_u32 s3, s7, 0
	s_mov_b32 s4, exec_lo
	s_delay_alu instid0(VALU_DEP_1)
	v_cmpx_gt_i64_e64 s[2:3], v[1:2]
	s_cbranch_execz .LBB123_50
; %bb.36:
	s_mov_b32 s5, s23
	s_branch .LBB123_38
.LBB123_37:                             ;   in Loop: Header=BB123_38 Depth=1
	s_or_b32 exec_lo, exec_lo, s6
	v_add_co_u32 v1, vcc_lo, 0x80, v1
	v_add_co_ci_u32_e32 v2, vcc_lo, 0, v2, vcc_lo
	s_delay_alu instid0(VALU_DEP_1) | instskip(SKIP_1) | instid1(SALU_CYCLE_1)
	v_cmp_le_i64_e32 vcc_lo, s[2:3], v[1:2]
	s_or_b32 s1, vcc_lo, s1
	s_and_not1_b32 exec_lo, exec_lo, s1
	s_cbranch_execz .LBB123_50
.LBB123_38:                             ; =>This Loop Header: Depth=1
                                        ;     Child Loop BB123_40 Depth 2
	v_lshlrev_b64 v[3:4], 3, v[1:2]
	s_mov_b32 s6, 0
	s_delay_alu instid0(VALU_DEP_1) | instskip(NEXT) | instid1(VALU_DEP_2)
	v_add_co_u32 v5, vcc_lo, s24, v3
	v_add_co_ci_u32_e32 v6, vcc_lo, s25, v4, vcc_lo
	v_add_co_u32 v3, vcc_lo, s26, v3
	v_add_co_ci_u32_e32 v4, vcc_lo, s27, v4, vcc_lo
	global_load_b64 v[5:6], v[5:6], off
	global_load_b64 v[9:10], v[3:4], off
	s_waitcnt vmcnt(1)
	v_sub_co_u32 v3, vcc_lo, v5, s5
	v_subrev_co_ci_u32_e32 v4, vcc_lo, 0, v6, vcc_lo
	s_waitcnt vmcnt(0)
	v_mul_f32_e64 v7, v10, -s40
	s_delay_alu instid0(VALU_DEP_3) | instskip(NEXT) | instid1(VALU_DEP_2)
	v_mul_lo_u32 v5, 0x89, v3
	v_dual_mul_f32 v8, s33, v10 :: v_dual_fmac_f32 v7, s33, v9
	s_delay_alu instid0(VALU_DEP_1) | instskip(NEXT) | instid1(VALU_DEP_3)
	v_fmac_f32_e32 v8, s40, v9
	v_and_b32_e32 v9, 0xff, v5
	s_branch .LBB123_40
.LBB123_39:                             ;   in Loop: Header=BB123_40 Depth=2
	s_or_b32 exec_lo, exec_lo, s7
	s_xor_b32 s7, s10, -1
	s_delay_alu instid0(SALU_CYCLE_1) | instskip(NEXT) | instid1(SALU_CYCLE_1)
	s_and_b32 s7, exec_lo, s7
	s_or_b32 s6, s7, s6
	s_delay_alu instid0(SALU_CYCLE_1)
	s_and_not1_b32 exec_lo, exec_lo, s6
	s_cbranch_execz .LBB123_37
.LBB123_40:                             ;   Parent Loop BB123_38 Depth=1
                                        ; =>  This Inner Loop Header: Depth=2
	s_delay_alu instid0(VALU_DEP_1)
	v_lshl_add_u32 v10, v9, 3, 0
	s_mov_b32 s7, exec_lo
                                        ; implicit-def: $sgpr10
	ds_load_b64 v[5:6], v10
	s_waitcnt lgkmcnt(0)
	v_cmpx_ne_u64_e64 v[5:6], v[3:4]
	s_xor_b32 s7, exec_lo, s7
	s_cbranch_execz .LBB123_48
; %bb.41:                               ;   in Loop: Header=BB123_40 Depth=2
	s_mov_b32 s11, exec_lo
                                        ; implicit-def: $sgpr10
	v_cmpx_ne_u64_e64 s[8:9], v[5:6]
	s_xor_b32 s11, exec_lo, s11
; %bb.42:                               ;   in Loop: Header=BB123_40 Depth=2
	v_add_nc_u32_e32 v5, 1, v9
	s_mov_b32 s10, -1
                                        ; implicit-def: $vgpr10
	s_delay_alu instid0(VALU_DEP_1)
	v_and_b32_e32 v9, 0xff, v5
; %bb.43:                               ;   in Loop: Header=BB123_40 Depth=2
	s_and_not1_saveexec_b32 s11, s11
	s_cbranch_execz .LBB123_47
; %bb.44:                               ;   in Loop: Header=BB123_40 Depth=2
	v_dual_mov_b32 v5, s8 :: v_dual_mov_b32 v6, s9
	s_mov_b32 s12, -1
	s_mov_b32 s13, exec_lo
	ds_cmpstore_rtn_b64 v[5:6], v10, v[3:4], v[5:6]
	s_waitcnt lgkmcnt(0)
	v_cmpx_eq_u64_e64 s[8:9], v[5:6]
	s_cbranch_execz .LBB123_46
; %bb.45:                               ;   in Loop: Header=BB123_40 Depth=2
	ds_add_f32 v10, v7 offset:2048
	ds_add_f32 v10, v8 offset:2052
	s_xor_b32 s12, exec_lo, -1
.LBB123_46:                             ;   in Loop: Header=BB123_40 Depth=2
	s_or_b32 exec_lo, exec_lo, s13
	s_delay_alu instid0(SALU_CYCLE_1) | instskip(SKIP_1) | instid1(SALU_CYCLE_1)
	s_and_not1_b32 s10, s10, exec_lo
	s_and_b32 s12, s12, exec_lo
	s_or_b32 s10, s10, s12
.LBB123_47:                             ;   in Loop: Header=BB123_40 Depth=2
	s_or_b32 exec_lo, exec_lo, s11
	s_delay_alu instid0(SALU_CYCLE_1)
	s_and_b32 s10, s10, exec_lo
                                        ; implicit-def: $vgpr10
.LBB123_48:                             ;   in Loop: Header=BB123_40 Depth=2
	s_and_not1_saveexec_b32 s7, s7
	s_cbranch_execz .LBB123_39
; %bb.49:                               ;   in Loop: Header=BB123_40 Depth=2
	ds_add_f32 v10, v7 offset:2048
	ds_add_f32 v10, v8 offset:2052
	s_and_not1_b32 s10, s10, exec_lo
	s_branch .LBB123_39
.LBB123_50:
	s_or_b32 exec_lo, exec_lo, s4
.LBB123_51:
	s_waitcnt lgkmcnt(0)
	s_barrier
	buffer_gl0_inv
	s_and_saveexec_b32 s3, s0
	s_cbranch_execz .LBB123_60
; %bb.52:
	v_mbcnt_lo_u32_b32 v1, -1, 0
	v_lshrrev_b32_e32 v2, 3, v0
	v_cmp_lt_u32_e32 vcc_lo, 63, v0
	v_cmp_eq_u32_e64 s0, 0x7f, v0
	s_mov_b32 s4, 0
	v_xor_b32_e32 v1, 63, v1
	v_and_b32_e32 v3, 8, v2
	v_mov_b32_e32 v5, 0
	s_delay_alu instid0(VALU_DEP_3) | instskip(NEXT) | instid1(VALU_DEP_3)
	v_lshrrev_b64 v[1:2], v1, -1
	v_add_nc_u32_e32 v14, 0, v3
	v_mov_b32_e32 v2, 0
	v_mov_b32_e32 v3, 0
	s_branch .LBB123_54
.LBB123_53:                             ;   in Loop: Header=BB123_54 Depth=1
	s_or_b32 exec_lo, exec_lo, s1
	s_waitcnt lgkmcnt(0)
	s_barrier
	buffer_gl0_inv
	ds_load_b64 v[6:7], v5 offset:4104
	v_add_co_u32 v12, s1, 0x80, v12
	s_delay_alu instid0(VALU_DEP_1) | instskip(SKIP_3) | instid1(VALU_DEP_1)
	s_xor_b32 s2, s1, -1
	v_add_nc_u32_e32 v13, 0x400, v13
	s_waitcnt lgkmcnt(0)
	v_add_co_u32 v2, s1, v6, v2
	v_add_co_ci_u32_e64 v3, s1, v7, v3, s1
	s_and_b32 s1, exec_lo, s2
	s_delay_alu instid0(SALU_CYCLE_1) | instskip(NEXT) | instid1(SALU_CYCLE_1)
	s_or_b32 s4, s1, s4
	s_and_not1_b32 exec_lo, exec_lo, s4
	s_cbranch_execz .LBB123_60
.LBB123_54:                             ; =>This Inner Loop Header: Depth=1
	ds_load_b64 v[6:7], v13
	v_add_nc_u32_e32 v4, 0x800, v13
	ds_load_2addr_b32 v[8:9], v4 offset1:1
	s_waitcnt lgkmcnt(0)
	s_barrier
	buffer_gl0_inv
	v_cmp_gt_i64_e64 s1, s[8:9], v[6:7]
	s_delay_alu instid0(VALU_DEP_1) | instskip(SKIP_1) | instid1(SALU_CYCLE_1)
	v_and_b32_e32 v10, s1, v1
	s_bcnt1_i32_b32 s2, s1
	v_mov_b32_e32 v4, s2
	s_delay_alu instid0(VALU_DEP_2)
	v_bcnt_u32_b32 v10, v10, 0
	ds_store_b64 v14, v[4:5] offset:4096
	s_waitcnt lgkmcnt(0)
	s_barrier
	buffer_gl0_inv
	s_and_saveexec_b32 s5, vcc_lo
	s_cbranch_execnz .LBB123_57
; %bb.55:                               ;   in Loop: Header=BB123_54 Depth=1
	s_or_b32 exec_lo, exec_lo, s5
	s_and_saveexec_b32 s2, s1
	s_cbranch_execnz .LBB123_58
.LBB123_56:                             ;   in Loop: Header=BB123_54 Depth=1
	s_or_b32 exec_lo, exec_lo, s2
	s_and_saveexec_b32 s1, s0
	s_cbranch_execz .LBB123_53
	s_branch .LBB123_59
.LBB123_57:                             ;   in Loop: Header=BB123_54 Depth=1
	ds_load_b64 v[15:16], v5 offset:4096
	s_waitcnt lgkmcnt(0)
	v_add_co_u32 v10, s2, v15, v10
	s_or_b32 exec_lo, exec_lo, s5
	s_and_saveexec_b32 s2, s1
	s_cbranch_execz .LBB123_56
.LBB123_58:                             ;   in Loop: Header=BB123_54 Depth=1
	s_delay_alu instid0(VALU_DEP_1) | instskip(NEXT) | instid1(VALU_DEP_1)
	v_add3_u32 v4, v2, -1, v10
	v_lshl_add_u32 v4, v4, 3, 0
	s_delay_alu instid0(VALU_DEP_1)
	v_add_nc_u32_e32 v11, 0x800, v4
	ds_store_b64 v4, v[6:7]
	ds_store_2addr_b32 v11, v8, v9 offset1:1
	s_or_b32 exec_lo, exec_lo, s2
	s_and_saveexec_b32 s1, s0
	s_cbranch_execz .LBB123_53
.LBB123_59:                             ;   in Loop: Header=BB123_54 Depth=1
	v_ashrrev_i32_e32 v11, 31, v10
	ds_store_b64 v5, v[10:11] offset:4104
	s_branch .LBB123_53
.LBB123_60:
	s_or_b32 exec_lo, exec_lo, s3
	s_lshl_b64 s[0:1], s[28:29], 3
	v_mov_b32_e32 v1, 0
	s_add_u32 s0, s36, s0
	s_addc_u32 s1, s37, s1
	s_mov_b32 s6, exec_lo
	s_load_b128 s[0:3], s[0:1], 0x0
	s_waitcnt lgkmcnt(0)
	s_sub_u32 s4, s2, s0
	s_subb_u32 s5, s3, s1
	s_delay_alu instid0(SALU_CYCLE_1)
	v_cmpx_gt_i64_e64 s[4:5], v[0:1]
	s_cbranch_execz .LBB123_70
; %bb.61:
	s_sub_u32 s8, s0, s22
	s_subb_u32 s9, s1, 0
	s_and_b32 s6, s4, 7
	s_sub_u32 s0, s0, s2
	s_subb_u32 s1, s1, s3
	s_mov_b32 s7, 0
	v_cmp_lt_u64_e64 s12, s[0:1], -7
	s_and_b32 s2, s4, -8
	s_cmp_lg_u64 s[6:7], 0
	s_mov_b32 s3, s5
	s_cselect_b32 s13, -1, 0
	s_mov_b32 s14, s7
	s_branch .LBB123_63
.LBB123_62:                             ;   in Loop: Header=BB123_63 Depth=1
	v_add_co_u32 v0, vcc_lo, 0x80, v0
	v_add_co_ci_u32_e32 v1, vcc_lo, 0, v1, vcc_lo
	s_waitcnt lgkmcnt(1)
	v_lshlrev_b64 v[4:5], 3, v[6:7]
	s_delay_alu instid0(VALU_DEP_2) | instskip(NEXT) | instid1(VALU_DEP_2)
	v_cmp_le_i64_e32 vcc_lo, s[4:5], v[0:1]
	v_add_co_u32 v4, s0, s34, v4
	s_delay_alu instid0(VALU_DEP_1)
	v_add_co_ci_u32_e64 v5, s0, s35, v5, s0
	s_or_b32 s14, vcc_lo, s14
	s_waitcnt lgkmcnt(0)
	global_store_b64 v[4:5], v[2:3], off
	s_and_not1_b32 exec_lo, exec_lo, s14
	s_cbranch_execz .LBB123_70
.LBB123_63:                             ; =>This Loop Header: Depth=1
                                        ;     Child Loop BB123_65 Depth 2
                                        ;     Child Loop BB123_69 Depth 2
	v_lshl_add_u32 v2, v0, 3, 0
	s_and_not1_b32 vcc_lo, exec_lo, s12
	s_mov_b64 s[0:1], 0
	v_dual_mov_b32 v6, s8 :: v_dual_mov_b32 v7, s9
	s_delay_alu instid0(VALU_DEP_2)
	v_add_nc_u32_e32 v3, 0x800, v2
	ds_load_b64 v[4:5], v2
	ds_load_2addr_b32 v[2:3], v3 offset1:1
	s_cbranch_vccnz .LBB123_67
; %bb.64:                               ;   in Loop: Header=BB123_63 Depth=1
	v_dual_mov_b32 v6, s8 :: v_dual_mov_b32 v7, s9
	s_mov_b64 s[10:11], 0
	s_mov_b32 s1, 0
.LBB123_65:                             ;   Parent Loop BB123_63 Depth=1
                                        ; =>  This Inner Loop Header: Depth=2
	s_delay_alu instid0(SALU_CYCLE_1)
	v_mov_b32_e32 v20, s1
	s_add_u32 s10, s10, 8
	s_addc_u32 s11, s11, 0
	s_add_i32 s1, s1, 64
	s_cmp_eq_u64 s[2:3], s[10:11]
	ds_load_2addr_b64 v[8:11], v20 offset1:1
	ds_load_2addr_b64 v[12:15], v20 offset0:2 offset1:3
	ds_load_2addr_b64 v[16:19], v20 offset0:4 offset1:5
	ds_load_2addr_b64 v[20:23], v20 offset0:6 offset1:7
	s_waitcnt lgkmcnt(3)
	v_cmp_gt_i64_e32 vcc_lo, v[4:5], v[8:9]
	v_cndmask_b32_e64 v8, 0, 1, vcc_lo
	v_cmp_gt_i64_e32 vcc_lo, v[4:5], v[10:11]
	v_cndmask_b32_e64 v9, 0, 1, vcc_lo
	s_waitcnt lgkmcnt(2)
	v_cmp_gt_i64_e32 vcc_lo, v[4:5], v[12:13]
	v_cndmask_b32_e64 v10, 0, 1, vcc_lo
	v_cmp_gt_i64_e32 vcc_lo, v[4:5], v[14:15]
	v_cndmask_b32_e64 v11, 0, 1, vcc_lo
	s_waitcnt lgkmcnt(1)
	v_cmp_gt_i64_e32 vcc_lo, v[4:5], v[16:17]
	v_cndmask_b32_e64 v12, 0, 1, vcc_lo
	v_add_co_u32 v6, vcc_lo, v6, v8
	v_add_co_ci_u32_e32 v7, vcc_lo, 0, v7, vcc_lo
	v_cmp_gt_i64_e32 vcc_lo, v[4:5], v[18:19]
	s_delay_alu instid0(VALU_DEP_3) | instskip(NEXT) | instid1(VALU_DEP_1)
	v_add_co_u32 v6, s0, v6, v9
	v_add_co_ci_u32_e64 v7, s0, 0, v7, s0
	v_cndmask_b32_e64 v8, 0, 1, vcc_lo
	s_delay_alu instid0(VALU_DEP_3) | instskip(NEXT) | instid1(VALU_DEP_3)
	v_add_co_u32 v6, vcc_lo, v6, v10
	v_add_co_ci_u32_e32 v7, vcc_lo, 0, v7, vcc_lo
	s_waitcnt lgkmcnt(0)
	v_cmp_gt_i64_e32 vcc_lo, v[4:5], v[20:21]
	s_delay_alu instid0(VALU_DEP_3) | instskip(NEXT) | instid1(VALU_DEP_1)
	v_add_co_u32 v6, s0, v6, v11
	v_add_co_ci_u32_e64 v7, s0, 0, v7, s0
	v_cndmask_b32_e64 v9, 0, 1, vcc_lo
	s_delay_alu instid0(VALU_DEP_3) | instskip(NEXT) | instid1(VALU_DEP_3)
	v_add_co_u32 v6, vcc_lo, v6, v12
	v_add_co_ci_u32_e32 v7, vcc_lo, 0, v7, vcc_lo
	v_cmp_gt_i64_e32 vcc_lo, v[4:5], v[22:23]
	s_delay_alu instid0(VALU_DEP_3) | instskip(NEXT) | instid1(VALU_DEP_1)
	v_add_co_u32 v6, s0, v6, v8
	v_add_co_ci_u32_e64 v7, s0, 0, v7, s0
	v_cndmask_b32_e64 v8, 0, 1, vcc_lo
	s_delay_alu instid0(VALU_DEP_3) | instskip(NEXT) | instid1(VALU_DEP_3)
	v_add_co_u32 v6, vcc_lo, v6, v9
	v_add_co_ci_u32_e32 v7, vcc_lo, 0, v7, vcc_lo
	s_delay_alu instid0(VALU_DEP_2) | instskip(NEXT) | instid1(VALU_DEP_2)
	v_add_co_u32 v6, vcc_lo, v6, v8
	v_add_co_ci_u32_e32 v7, vcc_lo, 0, v7, vcc_lo
	s_cbranch_scc0 .LBB123_65
; %bb.66:                               ;   in Loop: Header=BB123_63 Depth=1
	s_mov_b64 s[0:1], s[2:3]
.LBB123_67:                             ;   in Loop: Header=BB123_63 Depth=1
	s_and_not1_b32 vcc_lo, exec_lo, s13
	s_cbranch_vccnz .LBB123_62
; %bb.68:                               ;   in Loop: Header=BB123_63 Depth=1
	s_lshl_b32 s0, s0, 3
	s_delay_alu instid0(SALU_CYCLE_1)
	s_add_i32 s10, s0, 0
	s_mov_b64 s[0:1], s[6:7]
.LBB123_69:                             ;   Parent Loop BB123_63 Depth=1
                                        ; =>  This Inner Loop Header: Depth=2
	v_mov_b32_e32 v8, s10
	s_add_i32 s10, s10, 8
	s_add_u32 s0, s0, -1
	s_addc_u32 s1, s1, -1
	s_delay_alu instid0(SALU_CYCLE_1) | instskip(SKIP_4) | instid1(VALU_DEP_1)
	s_cmp_lg_u64 s[0:1], 0
	ds_load_b64 v[8:9], v8
	s_waitcnt lgkmcnt(0)
	v_cmp_gt_i64_e32 vcc_lo, v[4:5], v[8:9]
	v_cndmask_b32_e64 v8, 0, 1, vcc_lo
	v_add_co_u32 v6, vcc_lo, v6, v8
	v_add_co_ci_u32_e32 v7, vcc_lo, 0, v7, vcc_lo
	s_cbranch_scc1 .LBB123_69
	s_branch .LBB123_62
.LBB123_70:
	s_nop 0
	s_sendmsg sendmsg(MSG_DEALLOC_VGPRS)
	s_endpgm
	.section	.rodata,"a",@progbits
	.p2align	6, 0x0
	.amdhsa_kernel _ZN9rocsparseL41csrgemm_numeric_fill_block_per_row_kernelILj128ELj16ELj256ELj137ELj64Ell21rocsparse_complex_numIfEEEvT5_PKS3_S5_NS_24const_host_device_scalarIT6_EEPKT4_S5_PKS7_SB_S5_SD_S8_SB_S5_SD_SB_S5_PS7_21rocsparse_index_base_SF_SF_SF_bbb
		.amdhsa_group_segment_fixed_size 0
		.amdhsa_private_segment_fixed_size 0
		.amdhsa_kernarg_size 156
		.amdhsa_user_sgpr_count 15
		.amdhsa_user_sgpr_dispatch_ptr 0
		.amdhsa_user_sgpr_queue_ptr 0
		.amdhsa_user_sgpr_kernarg_segment_ptr 1
		.amdhsa_user_sgpr_dispatch_id 0
		.amdhsa_user_sgpr_private_segment_size 0
		.amdhsa_wavefront_size32 1
		.amdhsa_uses_dynamic_stack 0
		.amdhsa_enable_private_segment 0
		.amdhsa_system_sgpr_workgroup_id_x 1
		.amdhsa_system_sgpr_workgroup_id_y 0
		.amdhsa_system_sgpr_workgroup_id_z 0
		.amdhsa_system_sgpr_workgroup_info 0
		.amdhsa_system_vgpr_workitem_id 0
		.amdhsa_next_free_vgpr 24
		.amdhsa_next_free_sgpr 48
		.amdhsa_reserve_vcc 1
		.amdhsa_float_round_mode_32 0
		.amdhsa_float_round_mode_16_64 0
		.amdhsa_float_denorm_mode_32 3
		.amdhsa_float_denorm_mode_16_64 3
		.amdhsa_dx10_clamp 1
		.amdhsa_ieee_mode 1
		.amdhsa_fp16_overflow 0
		.amdhsa_workgroup_processor_mode 1
		.amdhsa_memory_ordered 1
		.amdhsa_forward_progress 0
		.amdhsa_shared_vgpr_count 0
		.amdhsa_exception_fp_ieee_invalid_op 0
		.amdhsa_exception_fp_denorm_src 0
		.amdhsa_exception_fp_ieee_div_zero 0
		.amdhsa_exception_fp_ieee_overflow 0
		.amdhsa_exception_fp_ieee_underflow 0
		.amdhsa_exception_fp_ieee_inexact 0
		.amdhsa_exception_int_div_zero 0
	.end_amdhsa_kernel
	.section	.text._ZN9rocsparseL41csrgemm_numeric_fill_block_per_row_kernelILj128ELj16ELj256ELj137ELj64Ell21rocsparse_complex_numIfEEEvT5_PKS3_S5_NS_24const_host_device_scalarIT6_EEPKT4_S5_PKS7_SB_S5_SD_S8_SB_S5_SD_SB_S5_PS7_21rocsparse_index_base_SF_SF_SF_bbb,"axG",@progbits,_ZN9rocsparseL41csrgemm_numeric_fill_block_per_row_kernelILj128ELj16ELj256ELj137ELj64Ell21rocsparse_complex_numIfEEEvT5_PKS3_S5_NS_24const_host_device_scalarIT6_EEPKT4_S5_PKS7_SB_S5_SD_S8_SB_S5_SD_SB_S5_PS7_21rocsparse_index_base_SF_SF_SF_bbb,comdat
.Lfunc_end123:
	.size	_ZN9rocsparseL41csrgemm_numeric_fill_block_per_row_kernelILj128ELj16ELj256ELj137ELj64Ell21rocsparse_complex_numIfEEEvT5_PKS3_S5_NS_24const_host_device_scalarIT6_EEPKT4_S5_PKS7_SB_S5_SD_S8_SB_S5_SD_SB_S5_PS7_21rocsparse_index_base_SF_SF_SF_bbb, .Lfunc_end123-_ZN9rocsparseL41csrgemm_numeric_fill_block_per_row_kernelILj128ELj16ELj256ELj137ELj64Ell21rocsparse_complex_numIfEEEvT5_PKS3_S5_NS_24const_host_device_scalarIT6_EEPKT4_S5_PKS7_SB_S5_SD_S8_SB_S5_SD_SB_S5_PS7_21rocsparse_index_base_SF_SF_SF_bbb
                                        ; -- End function
	.section	.AMDGPU.csdata,"",@progbits
; Kernel info:
; codeLenInByte = 2900
; NumSgprs: 50
; NumVgprs: 24
; ScratchSize: 0
; MemoryBound: 0
; FloatMode: 240
; IeeeMode: 1
; LDSByteSize: 0 bytes/workgroup (compile time only)
; SGPRBlocks: 6
; VGPRBlocks: 2
; NumSGPRsForWavesPerEU: 50
; NumVGPRsForWavesPerEU: 24
; Occupancy: 16
; WaveLimiterHint : 1
; COMPUTE_PGM_RSRC2:SCRATCH_EN: 0
; COMPUTE_PGM_RSRC2:USER_SGPR: 15
; COMPUTE_PGM_RSRC2:TRAP_HANDLER: 0
; COMPUTE_PGM_RSRC2:TGID_X_EN: 1
; COMPUTE_PGM_RSRC2:TGID_Y_EN: 0
; COMPUTE_PGM_RSRC2:TGID_Z_EN: 0
; COMPUTE_PGM_RSRC2:TIDIG_COMP_CNT: 0
	.section	.text._ZN9rocsparseL41csrgemm_numeric_fill_block_per_row_kernelILj256ELj32ELj512ELj137ELj32Ell21rocsparse_complex_numIfEEEvT5_PKS3_S5_NS_24const_host_device_scalarIT6_EEPKT4_S5_PKS7_SB_S5_SD_S8_SB_S5_SD_SB_S5_PS7_21rocsparse_index_base_SF_SF_SF_bbb,"axG",@progbits,_ZN9rocsparseL41csrgemm_numeric_fill_block_per_row_kernelILj256ELj32ELj512ELj137ELj32Ell21rocsparse_complex_numIfEEEvT5_PKS3_S5_NS_24const_host_device_scalarIT6_EEPKT4_S5_PKS7_SB_S5_SD_S8_SB_S5_SD_SB_S5_PS7_21rocsparse_index_base_SF_SF_SF_bbb,comdat
	.globl	_ZN9rocsparseL41csrgemm_numeric_fill_block_per_row_kernelILj256ELj32ELj512ELj137ELj32Ell21rocsparse_complex_numIfEEEvT5_PKS3_S5_NS_24const_host_device_scalarIT6_EEPKT4_S5_PKS7_SB_S5_SD_S8_SB_S5_SD_SB_S5_PS7_21rocsparse_index_base_SF_SF_SF_bbb ; -- Begin function _ZN9rocsparseL41csrgemm_numeric_fill_block_per_row_kernelILj256ELj32ELj512ELj137ELj32Ell21rocsparse_complex_numIfEEEvT5_PKS3_S5_NS_24const_host_device_scalarIT6_EEPKT4_S5_PKS7_SB_S5_SD_S8_SB_S5_SD_SB_S5_PS7_21rocsparse_index_base_SF_SF_SF_bbb
	.p2align	8
	.type	_ZN9rocsparseL41csrgemm_numeric_fill_block_per_row_kernelILj256ELj32ELj512ELj137ELj32Ell21rocsparse_complex_numIfEEEvT5_PKS3_S5_NS_24const_host_device_scalarIT6_EEPKT4_S5_PKS7_SB_S5_SD_S8_SB_S5_SD_SB_S5_PS7_21rocsparse_index_base_SF_SF_SF_bbb,@function
_ZN9rocsparseL41csrgemm_numeric_fill_block_per_row_kernelILj256ELj32ELj512ELj137ELj32Ell21rocsparse_complex_numIfEEEvT5_PKS3_S5_NS_24const_host_device_scalarIT6_EEPKT4_S5_PKS7_SB_S5_SD_S8_SB_S5_SD_SB_S5_PS7_21rocsparse_index_base_SF_SF_SF_bbb: ; @_ZN9rocsparseL41csrgemm_numeric_fill_block_per_row_kernelILj256ELj32ELj512ELj137ELj32Ell21rocsparse_complex_numIfEEEvT5_PKS3_S5_NS_24const_host_device_scalarIT6_EEPKT4_S5_PKS7_SB_S5_SD_S8_SB_S5_SD_SB_S5_PS7_21rocsparse_index_base_SF_SF_SF_bbb
; %bb.0:
	s_mov_b32 s38, s15
	s_clause 0x7
	s_load_b32 s33, s[0:1], 0x98
	s_load_b64 s[36:37], s[0:1], 0x70
	s_load_b128 s[24:27], s[0:1], 0x60
	s_load_b256 s[4:11], s[0:1], 0x40
	s_load_b128 s[28:31], s[0:1], 0x8
	s_load_b256 s[12:19], s[0:1], 0x20
	s_load_b64 s[34:35], s[0:1], 0x80
	s_load_b128 s[20:23], s[0:1], 0x88
	s_mov_b32 s3, 0
	s_mov_b32 s41, 0
	s_waitcnt lgkmcnt(0)
	s_bitcmp1_b32 s33, 0
	s_cselect_b32 s42, -1, 0
	s_bitcmp1_b32 s33, 16
	s_cselect_b32 s2, -1, 0
	s_delay_alu instid0(SALU_CYCLE_1) | instskip(SKIP_2) | instid1(VALU_DEP_1)
	s_xor_b32 s39, s2, -1
	s_bitcmp0_b32 s33, 0
	v_cndmask_b32_e64 v1, 0, 1, s39
	v_cmp_ne_u32_e32 vcc_lo, 1, v1
	s_cbranch_scc1 .LBB124_5
; %bb.1:
	s_load_b64 s[2:3], s[0:1], 0x18
	s_and_b32 vcc_lo, exec_lo, vcc_lo
	s_waitcnt lgkmcnt(0)
	s_mov_b32 s41, s2
	s_cbranch_vccnz .LBB124_3
; %bb.2:
	s_load_b32 s41, s[2:3], 0x0
.LBB124_3:
	s_and_not1_b32 vcc_lo, exec_lo, s39
	s_cbranch_vccnz .LBB124_5
; %bb.4:
	s_load_b32 s3, s[2:3], 0x4
.LBB124_5:
	s_bitcmp1_b32 s33, 8
	s_mov_b32 s40, 0
	s_cselect_b32 s2, -1, 0
	s_bfe_u32 s33, s33, 0x10008
	s_delay_alu instid0(SALU_CYCLE_1)
	s_cmp_eq_u32 s33, 0
	s_mov_b32 s33, 0
	s_cbranch_scc1 .LBB124_11
; %bb.6:
	v_cmp_ne_u32_e32 vcc_lo, 1, v1
	s_mov_b32 s33, s8
	s_cbranch_vccnz .LBB124_8
; %bb.7:
	s_load_b32 s33, s[8:9], 0x0
.LBB124_8:
	v_cmp_ne_u32_e32 vcc_lo, 1, v1
	s_cbranch_vccnz .LBB124_10
; %bb.9:
	s_load_b32 s9, s[8:9], 0x4
.LBB124_10:
	s_waitcnt lgkmcnt(0)
	s_mov_b32 s40, s9
.LBB124_11:
	s_load_b64 s[8:9], s[0:1], 0x0
	v_cmp_gt_u32_e64 s0, 0x200, v0
	v_or_b32_e32 v12, 0xffffff00, v0
	v_lshl_add_u32 v13, v0, 3, 0
	s_delay_alu instid0(VALU_DEP_3)
	s_and_saveexec_b32 s1, s0
	s_cbranch_execz .LBB124_14
; %bb.12:
	v_or_b32_e32 v3, 0xffffff00, v0
	v_lshl_add_u32 v4, v0, 3, 0
	s_waitcnt lgkmcnt(0)
	v_dual_mov_b32 v1, s8 :: v_dual_mov_b32 v2, s9
	v_mov_b32_e32 v5, 0
	s_mov_b32 s39, 0
.LBB124_13:                             ; =>This Inner Loop Header: Depth=1
	v_add_co_u32 v3, s43, 0x100, v3
	s_delay_alu instid0(VALU_DEP_1)
	s_xor_b32 s43, s43, -1
	v_add_nc_u32_e32 v6, 0x1000, v4
	ds_store_b64 v4, v[1:2]
	v_add_nc_u32_e32 v4, 0x800, v4
	s_and_b32 s43, exec_lo, s43
	ds_store_2addr_b32 v6, v5, v5 offset1:1
	s_or_b32 s39, s43, s39
	s_delay_alu instid0(SALU_CYCLE_1)
	s_and_not1_b32 exec_lo, exec_lo, s39
	s_cbranch_execnz .LBB124_13
.LBB124_14:
	s_or_b32 exec_lo, exec_lo, s1
	s_waitcnt lgkmcnt(0)
	s_barrier
	buffer_gl0_inv
	s_load_b64 s[28:29], s[28:29], 0x0
	s_mov_b32 s39, 0
	v_lshrrev_b32_e32 v11, 5, v0
	s_waitcnt lgkmcnt(0)
	s_lshl_b64 s[28:29], s[28:29], 3
	s_delay_alu instid0(SALU_CYCLE_1) | instskip(SKIP_2) | instid1(SALU_CYCLE_1)
	s_add_u32 s1, s30, s28
	s_addc_u32 s30, s31, s29
	s_lshl_b64 s[28:29], s[38:39], 3
	s_add_u32 s28, s1, s28
	s_addc_u32 s29, s30, s29
	s_and_b32 vcc_lo, exec_lo, s42
	s_load_b64 s[28:29], s[28:29], 0x0
	s_cbranch_vccz .LBB124_34
; %bb.15:
	s_waitcnt lgkmcnt(0)
	s_lshl_b64 s[30:31], s[28:29], 3
	v_sub_co_u32 v1, s1, v11, s20
	s_add_u32 s12, s12, s30
	s_addc_u32 s13, s13, s31
	v_sub_co_ci_u32_e64 v2, null, 0, 0, s1
	s_load_b128 s[44:47], s[12:13], 0x0
	s_mov_b32 s1, exec_lo
	s_waitcnt lgkmcnt(0)
	v_add_co_u32 v1, vcc_lo, s44, v1
	v_add_co_ci_u32_e32 v2, vcc_lo, s45, v2, vcc_lo
	s_sub_u32 s12, s46, s20
	s_subb_u32 s13, s47, 0
	s_delay_alu instid0(VALU_DEP_1) | instid1(SALU_CYCLE_1)
	v_cmpx_gt_i64_e64 s[12:13], v[1:2]
	s_cbranch_execz .LBB124_33
; %bb.16:
	v_and_b32_e32 v3, 31, v0
	s_delay_alu instid0(VALU_DEP_1) | instskip(NEXT) | instid1(VALU_DEP_1)
	v_sub_co_u32 v14, s30, v3, s21
	v_sub_co_ci_u32_e64 v15, null, 0, 0, s30
	s_mov_b32 s30, 0
	s_branch .LBB124_18
.LBB124_17:                             ;   in Loop: Header=BB124_18 Depth=1
	s_or_b32 exec_lo, exec_lo, s31
	v_add_co_u32 v1, vcc_lo, v1, 8
	v_add_co_ci_u32_e32 v2, vcc_lo, 0, v2, vcc_lo
	s_delay_alu instid0(VALU_DEP_1) | instskip(SKIP_1) | instid1(SALU_CYCLE_1)
	v_cmp_le_i64_e32 vcc_lo, s[12:13], v[1:2]
	s_or_b32 s30, vcc_lo, s30
	s_and_not1_b32 exec_lo, exec_lo, s30
	s_cbranch_execz .LBB124_33
.LBB124_18:                             ; =>This Loop Header: Depth=1
                                        ;     Child Loop BB124_21 Depth 2
                                        ;       Child Loop BB124_23 Depth 3
	v_lshlrev_b64 v[7:8], 3, v[1:2]
	s_mov_b32 s31, exec_lo
	s_delay_alu instid0(VALU_DEP_1) | instskip(NEXT) | instid1(VALU_DEP_2)
	v_add_co_u32 v3, vcc_lo, s14, v7
	v_add_co_ci_u32_e32 v4, vcc_lo, s15, v8, vcc_lo
	global_load_b64 v[3:4], v[3:4], off
	s_waitcnt vmcnt(0)
	v_sub_co_u32 v3, vcc_lo, v3, s20
	v_subrev_co_ci_u32_e32 v4, vcc_lo, 0, v4, vcc_lo
	s_delay_alu instid0(VALU_DEP_1) | instskip(NEXT) | instid1(VALU_DEP_1)
	v_lshlrev_b64 v[3:4], 3, v[3:4]
	v_add_co_u32 v3, vcc_lo, s18, v3
	s_delay_alu instid0(VALU_DEP_2)
	v_add_co_ci_u32_e32 v4, vcc_lo, s19, v4, vcc_lo
	global_load_b128 v[16:19], v[3:4], off
	s_waitcnt vmcnt(0)
	v_sub_co_u32 v3, vcc_lo, v18, s21
	v_subrev_co_ci_u32_e32 v4, vcc_lo, 0, v19, vcc_lo
	v_add_co_u32 v5, vcc_lo, v16, v14
	v_add_co_ci_u32_e32 v6, vcc_lo, v17, v15, vcc_lo
	s_delay_alu instid0(VALU_DEP_1)
	v_cmpx_lt_i64_e64 v[5:6], v[3:4]
	s_cbranch_execz .LBB124_17
; %bb.19:                               ;   in Loop: Header=BB124_18 Depth=1
	v_add_co_u32 v7, vcc_lo, s16, v7
	v_add_co_ci_u32_e32 v8, vcc_lo, s17, v8, vcc_lo
	s_mov_b32 s38, 0
	global_load_b64 v[7:8], v[7:8], off
	s_waitcnt vmcnt(0)
	v_mul_f32_e64 v16, v8, -s3
	s_delay_alu instid0(VALU_DEP_1) | instskip(NEXT) | instid1(VALU_DEP_1)
	v_dual_mul_f32 v17, s41, v8 :: v_dual_fmac_f32 v16, s41, v7
	v_fmac_f32_e32 v17, s3, v7
	s_branch .LBB124_21
.LBB124_20:                             ;   in Loop: Header=BB124_21 Depth=2
	s_or_b32 exec_lo, exec_lo, s39
	v_add_co_u32 v5, vcc_lo, v5, 32
	v_add_co_ci_u32_e32 v6, vcc_lo, 0, v6, vcc_lo
	s_delay_alu instid0(VALU_DEP_1) | instskip(SKIP_1) | instid1(SALU_CYCLE_1)
	v_cmp_ge_i64_e32 vcc_lo, v[5:6], v[3:4]
	s_or_b32 s38, vcc_lo, s38
	s_and_not1_b32 exec_lo, exec_lo, s38
	s_cbranch_execz .LBB124_17
.LBB124_21:                             ;   Parent Loop BB124_18 Depth=1
                                        ; =>  This Loop Header: Depth=2
                                        ;       Child Loop BB124_23 Depth 3
	v_lshlrev_b64 v[7:8], 3, v[5:6]
	s_mov_b32 s39, 0
	s_delay_alu instid0(VALU_DEP_1) | instskip(NEXT) | instid1(VALU_DEP_2)
	v_add_co_u32 v9, vcc_lo, s4, v7
	v_add_co_ci_u32_e32 v10, vcc_lo, s5, v8, vcc_lo
	v_add_co_u32 v7, vcc_lo, s6, v7
	v_add_co_ci_u32_e32 v8, vcc_lo, s7, v8, vcc_lo
	global_load_b64 v[9:10], v[9:10], off
	global_load_b64 v[20:21], v[7:8], off
	s_waitcnt vmcnt(1)
	v_sub_co_u32 v7, vcc_lo, v9, s21
	v_subrev_co_ci_u32_e32 v8, vcc_lo, 0, v10, vcc_lo
	s_waitcnt vmcnt(0)
	v_mul_f32_e64 v18, v21, -v17
	s_delay_alu instid0(VALU_DEP_3) | instskip(SKIP_1) | instid1(VALU_DEP_3)
	v_mul_lo_u32 v9, 0x89, v7
	v_mul_f32_e32 v19, v16, v21
	v_fmac_f32_e32 v18, v16, v20
	s_delay_alu instid0(VALU_DEP_2)
	v_dual_fmac_f32 v19, v17, v20 :: v_dual_and_b32 v20, 0x1ff, v9
	s_branch .LBB124_23
.LBB124_22:                             ;   in Loop: Header=BB124_23 Depth=3
	s_or_b32 exec_lo, exec_lo, s42
	s_xor_b32 s42, s43, -1
	s_delay_alu instid0(SALU_CYCLE_1) | instskip(NEXT) | instid1(SALU_CYCLE_1)
	s_and_b32 s42, exec_lo, s42
	s_or_b32 s39, s42, s39
	s_delay_alu instid0(SALU_CYCLE_1)
	s_and_not1_b32 exec_lo, exec_lo, s39
	s_cbranch_execz .LBB124_20
.LBB124_23:                             ;   Parent Loop BB124_18 Depth=1
                                        ;     Parent Loop BB124_21 Depth=2
                                        ; =>    This Inner Loop Header: Depth=3
	s_delay_alu instid0(VALU_DEP_1)
	v_lshl_add_u32 v21, v20, 3, 0
	s_mov_b32 s42, exec_lo
                                        ; implicit-def: $sgpr43
	ds_load_b64 v[9:10], v21
	s_waitcnt lgkmcnt(0)
	v_cmpx_ne_u64_e64 v[9:10], v[7:8]
	s_xor_b32 s42, exec_lo, s42
	s_cbranch_execz .LBB124_31
; %bb.24:                               ;   in Loop: Header=BB124_23 Depth=3
	s_mov_b32 s44, exec_lo
                                        ; implicit-def: $sgpr43
	v_cmpx_ne_u64_e64 s[8:9], v[9:10]
	s_xor_b32 s44, exec_lo, s44
; %bb.25:                               ;   in Loop: Header=BB124_23 Depth=3
	v_add_nc_u32_e32 v9, 1, v20
	s_mov_b32 s43, -1
                                        ; implicit-def: $vgpr21
	s_delay_alu instid0(VALU_DEP_1)
	v_and_b32_e32 v20, 0x1ff, v9
; %bb.26:                               ;   in Loop: Header=BB124_23 Depth=3
	s_and_not1_saveexec_b32 s44, s44
	s_cbranch_execz .LBB124_30
; %bb.27:                               ;   in Loop: Header=BB124_23 Depth=3
	v_dual_mov_b32 v10, s9 :: v_dual_mov_b32 v9, s8
	s_mov_b32 s45, -1
	s_mov_b32 s46, exec_lo
	ds_cmpstore_rtn_b64 v[9:10], v21, v[7:8], v[9:10]
	s_waitcnt lgkmcnt(0)
	v_cmpx_eq_u64_e64 s[8:9], v[9:10]
	s_cbranch_execz .LBB124_29
; %bb.28:                               ;   in Loop: Header=BB124_23 Depth=3
	ds_add_f32 v21, v18 offset:4096
	ds_add_f32 v21, v19 offset:4100
	s_xor_b32 s45, exec_lo, -1
.LBB124_29:                             ;   in Loop: Header=BB124_23 Depth=3
	s_or_b32 exec_lo, exec_lo, s46
	s_delay_alu instid0(SALU_CYCLE_1) | instskip(SKIP_1) | instid1(SALU_CYCLE_1)
	s_and_not1_b32 s43, s43, exec_lo
	s_and_b32 s45, s45, exec_lo
	s_or_b32 s43, s43, s45
.LBB124_30:                             ;   in Loop: Header=BB124_23 Depth=3
	s_or_b32 exec_lo, exec_lo, s44
	s_delay_alu instid0(SALU_CYCLE_1)
	s_and_b32 s43, s43, exec_lo
                                        ; implicit-def: $vgpr21
.LBB124_31:                             ;   in Loop: Header=BB124_23 Depth=3
	s_and_not1_saveexec_b32 s42, s42
	s_cbranch_execz .LBB124_22
; %bb.32:                               ;   in Loop: Header=BB124_23 Depth=3
	ds_add_f32 v21, v18 offset:4096
	ds_add_f32 v21, v19 offset:4100
	s_and_not1_b32 s43, s43, exec_lo
	s_branch .LBB124_22
.LBB124_33:
	s_or_b32 exec_lo, exec_lo, s1
.LBB124_34:
	s_delay_alu instid0(SALU_CYCLE_1)
	s_and_not1_b32 vcc_lo, exec_lo, s2
	s_cbranch_vccnz .LBB124_51
; %bb.35:
	s_waitcnt lgkmcnt(0)
	s_lshl_b64 s[2:3], s[28:29], 3
	v_sub_co_u32 v1, s1, v0, s23
	s_add_u32 s2, s10, s2
	s_addc_u32 s3, s11, s3
	v_sub_co_ci_u32_e64 v2, null, 0, 0, s1
	s_load_b128 s[4:7], s[2:3], 0x0
	s_mov_b32 s1, 0
	s_waitcnt lgkmcnt(0)
	v_add_co_u32 v1, vcc_lo, s4, v1
	v_add_co_ci_u32_e32 v2, vcc_lo, s5, v2, vcc_lo
	s_sub_u32 s2, s6, s23
	s_subb_u32 s3, s7, 0
	s_mov_b32 s4, exec_lo
	s_delay_alu instid0(VALU_DEP_1)
	v_cmpx_gt_i64_e64 s[2:3], v[1:2]
	s_cbranch_execz .LBB124_50
; %bb.36:
	s_mov_b32 s5, s23
	s_branch .LBB124_38
.LBB124_37:                             ;   in Loop: Header=BB124_38 Depth=1
	s_or_b32 exec_lo, exec_lo, s6
	v_add_co_u32 v1, vcc_lo, 0x100, v1
	v_add_co_ci_u32_e32 v2, vcc_lo, 0, v2, vcc_lo
	s_delay_alu instid0(VALU_DEP_1) | instskip(SKIP_1) | instid1(SALU_CYCLE_1)
	v_cmp_le_i64_e32 vcc_lo, s[2:3], v[1:2]
	s_or_b32 s1, vcc_lo, s1
	s_and_not1_b32 exec_lo, exec_lo, s1
	s_cbranch_execz .LBB124_50
.LBB124_38:                             ; =>This Loop Header: Depth=1
                                        ;     Child Loop BB124_40 Depth 2
	v_lshlrev_b64 v[3:4], 3, v[1:2]
	s_mov_b32 s6, 0
	s_delay_alu instid0(VALU_DEP_1) | instskip(NEXT) | instid1(VALU_DEP_2)
	v_add_co_u32 v5, vcc_lo, s24, v3
	v_add_co_ci_u32_e32 v6, vcc_lo, s25, v4, vcc_lo
	v_add_co_u32 v3, vcc_lo, s26, v3
	v_add_co_ci_u32_e32 v4, vcc_lo, s27, v4, vcc_lo
	global_load_b64 v[5:6], v[5:6], off
	global_load_b64 v[9:10], v[3:4], off
	s_waitcnt vmcnt(1)
	v_sub_co_u32 v3, vcc_lo, v5, s5
	v_subrev_co_ci_u32_e32 v4, vcc_lo, 0, v6, vcc_lo
	s_waitcnt vmcnt(0)
	v_mul_f32_e64 v7, v10, -s40
	s_delay_alu instid0(VALU_DEP_3) | instskip(NEXT) | instid1(VALU_DEP_2)
	v_mul_lo_u32 v5, 0x89, v3
	v_dual_mul_f32 v8, s33, v10 :: v_dual_fmac_f32 v7, s33, v9
	s_delay_alu instid0(VALU_DEP_1) | instskip(NEXT) | instid1(VALU_DEP_3)
	v_fmac_f32_e32 v8, s40, v9
	v_and_b32_e32 v9, 0x1ff, v5
	s_branch .LBB124_40
.LBB124_39:                             ;   in Loop: Header=BB124_40 Depth=2
	s_or_b32 exec_lo, exec_lo, s7
	s_xor_b32 s7, s10, -1
	s_delay_alu instid0(SALU_CYCLE_1) | instskip(NEXT) | instid1(SALU_CYCLE_1)
	s_and_b32 s7, exec_lo, s7
	s_or_b32 s6, s7, s6
	s_delay_alu instid0(SALU_CYCLE_1)
	s_and_not1_b32 exec_lo, exec_lo, s6
	s_cbranch_execz .LBB124_37
.LBB124_40:                             ;   Parent Loop BB124_38 Depth=1
                                        ; =>  This Inner Loop Header: Depth=2
	s_delay_alu instid0(VALU_DEP_1)
	v_lshl_add_u32 v10, v9, 3, 0
	s_mov_b32 s7, exec_lo
                                        ; implicit-def: $sgpr10
	ds_load_b64 v[5:6], v10
	s_waitcnt lgkmcnt(0)
	v_cmpx_ne_u64_e64 v[5:6], v[3:4]
	s_xor_b32 s7, exec_lo, s7
	s_cbranch_execz .LBB124_48
; %bb.41:                               ;   in Loop: Header=BB124_40 Depth=2
	s_mov_b32 s11, exec_lo
                                        ; implicit-def: $sgpr10
	v_cmpx_ne_u64_e64 s[8:9], v[5:6]
	s_xor_b32 s11, exec_lo, s11
; %bb.42:                               ;   in Loop: Header=BB124_40 Depth=2
	v_add_nc_u32_e32 v5, 1, v9
	s_mov_b32 s10, -1
                                        ; implicit-def: $vgpr10
	s_delay_alu instid0(VALU_DEP_1)
	v_and_b32_e32 v9, 0x1ff, v5
; %bb.43:                               ;   in Loop: Header=BB124_40 Depth=2
	s_and_not1_saveexec_b32 s11, s11
	s_cbranch_execz .LBB124_47
; %bb.44:                               ;   in Loop: Header=BB124_40 Depth=2
	v_dual_mov_b32 v5, s8 :: v_dual_mov_b32 v6, s9
	s_mov_b32 s12, -1
	s_mov_b32 s13, exec_lo
	ds_cmpstore_rtn_b64 v[5:6], v10, v[3:4], v[5:6]
	s_waitcnt lgkmcnt(0)
	v_cmpx_eq_u64_e64 s[8:9], v[5:6]
	s_cbranch_execz .LBB124_46
; %bb.45:                               ;   in Loop: Header=BB124_40 Depth=2
	ds_add_f32 v10, v7 offset:4096
	ds_add_f32 v10, v8 offset:4100
	s_xor_b32 s12, exec_lo, -1
.LBB124_46:                             ;   in Loop: Header=BB124_40 Depth=2
	s_or_b32 exec_lo, exec_lo, s13
	s_delay_alu instid0(SALU_CYCLE_1) | instskip(SKIP_1) | instid1(SALU_CYCLE_1)
	s_and_not1_b32 s10, s10, exec_lo
	s_and_b32 s12, s12, exec_lo
	s_or_b32 s10, s10, s12
.LBB124_47:                             ;   in Loop: Header=BB124_40 Depth=2
	s_or_b32 exec_lo, exec_lo, s11
	s_delay_alu instid0(SALU_CYCLE_1)
	s_and_b32 s10, s10, exec_lo
                                        ; implicit-def: $vgpr10
.LBB124_48:                             ;   in Loop: Header=BB124_40 Depth=2
	s_and_not1_saveexec_b32 s7, s7
	s_cbranch_execz .LBB124_39
; %bb.49:                               ;   in Loop: Header=BB124_40 Depth=2
	ds_add_f32 v10, v7 offset:4096
	ds_add_f32 v10, v8 offset:4100
	s_and_not1_b32 s10, s10, exec_lo
	s_branch .LBB124_39
.LBB124_50:
	s_or_b32 exec_lo, exec_lo, s4
.LBB124_51:
	s_waitcnt lgkmcnt(0)
	s_barrier
	buffer_gl0_inv
	s_and_saveexec_b32 s10, s0
	s_cbranch_execz .LBB124_72
; %bb.52:
	v_mbcnt_lo_u32_b32 v1, -1, 0
	v_lshl_add_u32 v14, v11, 3, 0
	v_cmp_eq_u32_e32 vcc_lo, 0xff, v0
	v_cmp_lt_u32_e64 s0, 31, v0
	v_cmp_lt_u32_e64 s1, 63, v0
	v_xor_b32_e32 v1, 63, v1
	v_cmp_lt_u32_e64 s2, 0x5f, v0
	v_cmp_lt_u32_e64 s3, 0x7f, v0
	;; [unrolled: 1-line block ×4, first 2 shown]
	v_lshrrev_b64 v[1:2], v1, -1
	v_dual_mov_b32 v2, 0 :: v_dual_mov_b32 v5, 0
	v_cmp_lt_u32_e64 s6, 0xdf, v0
	v_mov_b32_e32 v3, 0
	s_mov_b32 s11, 0
	s_branch .LBB124_54
.LBB124_53:                             ;   in Loop: Header=BB124_54 Depth=1
	s_or_b32 exec_lo, exec_lo, s7
	s_waitcnt lgkmcnt(0)
	s_barrier
	buffer_gl0_inv
	ds_load_b64 v[6:7], v5 offset:8248
	v_add_co_u32 v12, s7, 0x100, v12
	s_delay_alu instid0(VALU_DEP_1) | instskip(SKIP_3) | instid1(VALU_DEP_1)
	s_xor_b32 s12, s7, -1
	v_add_nc_u32_e32 v13, 0x800, v13
	s_waitcnt lgkmcnt(0)
	v_add_co_u32 v2, s7, v6, v2
	v_add_co_ci_u32_e64 v3, s7, v7, v3, s7
	s_and_b32 s7, exec_lo, s12
	s_delay_alu instid0(SALU_CYCLE_1) | instskip(NEXT) | instid1(SALU_CYCLE_1)
	s_or_b32 s11, s7, s11
	s_and_not1_b32 exec_lo, exec_lo, s11
	s_cbranch_execz .LBB124_72
.LBB124_54:                             ; =>This Inner Loop Header: Depth=1
	ds_load_b64 v[6:7], v13
	v_add_nc_u32_e32 v4, 0x1000, v13
	ds_load_2addr_b32 v[8:9], v4 offset1:1
	s_waitcnt lgkmcnt(0)
	s_barrier
	buffer_gl0_inv
	v_cmp_gt_i64_e64 s7, s[8:9], v[6:7]
	s_delay_alu instid0(VALU_DEP_1) | instskip(SKIP_1) | instid1(SALU_CYCLE_1)
	v_and_b32_e32 v10, s7, v1
	s_bcnt1_i32_b32 s12, s7
	v_mov_b32_e32 v4, s12
	s_delay_alu instid0(VALU_DEP_2)
	v_bcnt_u32_b32 v10, v10, 0
	ds_store_b64 v14, v[4:5] offset:8192
	s_waitcnt lgkmcnt(0)
	s_barrier
	buffer_gl0_inv
	s_and_saveexec_b32 s12, s0
	s_cbranch_execnz .LBB124_63
; %bb.55:                               ;   in Loop: Header=BB124_54 Depth=1
	s_or_b32 exec_lo, exec_lo, s12
	s_and_saveexec_b32 s12, s1
	s_cbranch_execnz .LBB124_64
.LBB124_56:                             ;   in Loop: Header=BB124_54 Depth=1
	s_or_b32 exec_lo, exec_lo, s12
	s_and_saveexec_b32 s12, s2
	s_cbranch_execnz .LBB124_65
.LBB124_57:                             ;   in Loop: Header=BB124_54 Depth=1
	s_or_b32 exec_lo, exec_lo, s12
	s_and_saveexec_b32 s12, s3
	s_cbranch_execnz .LBB124_66
.LBB124_58:                             ;   in Loop: Header=BB124_54 Depth=1
	s_or_b32 exec_lo, exec_lo, s12
	s_and_saveexec_b32 s12, s4
	s_cbranch_execnz .LBB124_67
.LBB124_59:                             ;   in Loop: Header=BB124_54 Depth=1
	s_or_b32 exec_lo, exec_lo, s12
	s_and_saveexec_b32 s12, s5
	s_cbranch_execnz .LBB124_68
.LBB124_60:                             ;   in Loop: Header=BB124_54 Depth=1
	s_or_b32 exec_lo, exec_lo, s12
	s_and_saveexec_b32 s12, s6
	s_cbranch_execnz .LBB124_69
.LBB124_61:                             ;   in Loop: Header=BB124_54 Depth=1
	s_or_b32 exec_lo, exec_lo, s12
	v_ashrrev_i32_e32 v11, 31, v10
	s_and_saveexec_b32 s12, s7
	s_cbranch_execnz .LBB124_70
.LBB124_62:                             ;   in Loop: Header=BB124_54 Depth=1
	s_or_b32 exec_lo, exec_lo, s12
	s_and_saveexec_b32 s7, vcc_lo
	s_cbranch_execz .LBB124_53
	s_branch .LBB124_71
.LBB124_63:                             ;   in Loop: Header=BB124_54 Depth=1
	ds_load_b32 v4, v5 offset:8192
	s_waitcnt lgkmcnt(0)
	v_add_nc_u32_e32 v10, v4, v10
	s_or_b32 exec_lo, exec_lo, s12
	s_and_saveexec_b32 s12, s1
	s_cbranch_execz .LBB124_56
.LBB124_64:                             ;   in Loop: Header=BB124_54 Depth=1
	ds_load_b32 v4, v5 offset:8200
	s_waitcnt lgkmcnt(0)
	v_add_nc_u32_e32 v10, v10, v4
	s_or_b32 exec_lo, exec_lo, s12
	s_and_saveexec_b32 s12, s2
	s_cbranch_execz .LBB124_57
.LBB124_65:                             ;   in Loop: Header=BB124_54 Depth=1
	ds_load_b32 v4, v5 offset:8208
	s_waitcnt lgkmcnt(0)
	v_add_nc_u32_e32 v10, v10, v4
	s_or_b32 exec_lo, exec_lo, s12
	s_and_saveexec_b32 s12, s3
	s_cbranch_execz .LBB124_58
.LBB124_66:                             ;   in Loop: Header=BB124_54 Depth=1
	ds_load_b32 v4, v5 offset:8216
	s_waitcnt lgkmcnt(0)
	v_add_nc_u32_e32 v10, v10, v4
	s_or_b32 exec_lo, exec_lo, s12
	s_and_saveexec_b32 s12, s4
	s_cbranch_execz .LBB124_59
.LBB124_67:                             ;   in Loop: Header=BB124_54 Depth=1
	ds_load_b32 v4, v5 offset:8224
	s_waitcnt lgkmcnt(0)
	v_add_nc_u32_e32 v10, v10, v4
	s_or_b32 exec_lo, exec_lo, s12
	s_and_saveexec_b32 s12, s5
	s_cbranch_execz .LBB124_60
.LBB124_68:                             ;   in Loop: Header=BB124_54 Depth=1
	ds_load_b32 v4, v5 offset:8232
	s_waitcnt lgkmcnt(0)
	v_add_nc_u32_e32 v10, v10, v4
	s_or_b32 exec_lo, exec_lo, s12
	s_and_saveexec_b32 s12, s6
	s_cbranch_execz .LBB124_61
.LBB124_69:                             ;   in Loop: Header=BB124_54 Depth=1
	ds_load_b32 v4, v5 offset:8240
	s_waitcnt lgkmcnt(0)
	v_add_nc_u32_e32 v10, v10, v4
	s_or_b32 exec_lo, exec_lo, s12
	s_delay_alu instid0(VALU_DEP_1)
	v_ashrrev_i32_e32 v11, 31, v10
	s_and_saveexec_b32 s12, s7
	s_cbranch_execz .LBB124_62
.LBB124_70:                             ;   in Loop: Header=BB124_54 Depth=1
	v_add3_u32 v4, v2, -1, v10
	s_delay_alu instid0(VALU_DEP_1) | instskip(NEXT) | instid1(VALU_DEP_1)
	v_lshl_add_u32 v4, v4, 3, 0
	v_add_nc_u32_e32 v15, 0x1000, v4
	ds_store_b64 v4, v[6:7]
	ds_store_2addr_b32 v15, v8, v9 offset1:1
	s_or_b32 exec_lo, exec_lo, s12
	s_and_saveexec_b32 s7, vcc_lo
	s_cbranch_execz .LBB124_53
.LBB124_71:                             ;   in Loop: Header=BB124_54 Depth=1
	ds_store_b64 v5, v[10:11] offset:8248
	s_branch .LBB124_53
.LBB124_72:
	s_or_b32 exec_lo, exec_lo, s10
	s_lshl_b64 s[0:1], s[28:29], 3
	v_mov_b32_e32 v1, 0
	s_add_u32 s0, s36, s0
	s_addc_u32 s1, s37, s1
	s_mov_b32 s6, exec_lo
	s_load_b128 s[0:3], s[0:1], 0x0
	s_waitcnt lgkmcnt(0)
	s_sub_u32 s4, s2, s0
	s_subb_u32 s5, s3, s1
	s_delay_alu instid0(SALU_CYCLE_1)
	v_cmpx_gt_i64_e64 s[4:5], v[0:1]
	s_cbranch_execz .LBB124_82
; %bb.73:
	s_sub_u32 s8, s0, s22
	s_subb_u32 s9, s1, 0
	s_and_b32 s6, s4, 7
	s_sub_u32 s0, s0, s2
	s_subb_u32 s1, s1, s3
	s_mov_b32 s7, 0
	v_cmp_lt_u64_e64 s12, s[0:1], -7
	s_and_b32 s2, s4, -8
	s_cmp_lg_u64 s[6:7], 0
	s_mov_b32 s3, s5
	s_cselect_b32 s13, -1, 0
	s_mov_b32 s14, s7
	s_branch .LBB124_75
.LBB124_74:                             ;   in Loop: Header=BB124_75 Depth=1
	v_add_co_u32 v0, vcc_lo, 0x100, v0
	v_add_co_ci_u32_e32 v1, vcc_lo, 0, v1, vcc_lo
	s_waitcnt lgkmcnt(1)
	v_lshlrev_b64 v[4:5], 3, v[6:7]
	s_delay_alu instid0(VALU_DEP_2) | instskip(NEXT) | instid1(VALU_DEP_2)
	v_cmp_le_i64_e32 vcc_lo, s[4:5], v[0:1]
	v_add_co_u32 v4, s0, s34, v4
	s_delay_alu instid0(VALU_DEP_1)
	v_add_co_ci_u32_e64 v5, s0, s35, v5, s0
	s_or_b32 s14, vcc_lo, s14
	s_waitcnt lgkmcnt(0)
	global_store_b64 v[4:5], v[2:3], off
	s_and_not1_b32 exec_lo, exec_lo, s14
	s_cbranch_execz .LBB124_82
.LBB124_75:                             ; =>This Loop Header: Depth=1
                                        ;     Child Loop BB124_77 Depth 2
                                        ;     Child Loop BB124_81 Depth 2
	v_lshl_add_u32 v2, v0, 3, 0
	s_and_not1_b32 vcc_lo, exec_lo, s12
	s_mov_b64 s[0:1], 0
	v_dual_mov_b32 v6, s8 :: v_dual_mov_b32 v7, s9
	s_delay_alu instid0(VALU_DEP_2)
	v_add_nc_u32_e32 v3, 0x1000, v2
	ds_load_b64 v[4:5], v2
	ds_load_2addr_b32 v[2:3], v3 offset1:1
	s_cbranch_vccnz .LBB124_79
; %bb.76:                               ;   in Loop: Header=BB124_75 Depth=1
	v_dual_mov_b32 v6, s8 :: v_dual_mov_b32 v7, s9
	s_mov_b64 s[10:11], 0
	s_mov_b32 s1, 0
.LBB124_77:                             ;   Parent Loop BB124_75 Depth=1
                                        ; =>  This Inner Loop Header: Depth=2
	s_delay_alu instid0(SALU_CYCLE_1)
	v_mov_b32_e32 v20, s1
	s_add_u32 s10, s10, 8
	s_addc_u32 s11, s11, 0
	s_add_i32 s1, s1, 64
	s_cmp_eq_u64 s[2:3], s[10:11]
	ds_load_2addr_b64 v[8:11], v20 offset1:1
	ds_load_2addr_b64 v[12:15], v20 offset0:2 offset1:3
	ds_load_2addr_b64 v[16:19], v20 offset0:4 offset1:5
	;; [unrolled: 1-line block ×3, first 2 shown]
	s_waitcnt lgkmcnt(3)
	v_cmp_gt_i64_e32 vcc_lo, v[4:5], v[8:9]
	v_cndmask_b32_e64 v8, 0, 1, vcc_lo
	v_cmp_gt_i64_e32 vcc_lo, v[4:5], v[10:11]
	v_cndmask_b32_e64 v9, 0, 1, vcc_lo
	s_waitcnt lgkmcnt(2)
	v_cmp_gt_i64_e32 vcc_lo, v[4:5], v[12:13]
	v_cndmask_b32_e64 v10, 0, 1, vcc_lo
	v_cmp_gt_i64_e32 vcc_lo, v[4:5], v[14:15]
	v_cndmask_b32_e64 v11, 0, 1, vcc_lo
	s_waitcnt lgkmcnt(1)
	v_cmp_gt_i64_e32 vcc_lo, v[4:5], v[16:17]
	v_cndmask_b32_e64 v12, 0, 1, vcc_lo
	v_add_co_u32 v6, vcc_lo, v6, v8
	v_add_co_ci_u32_e32 v7, vcc_lo, 0, v7, vcc_lo
	v_cmp_gt_i64_e32 vcc_lo, v[4:5], v[18:19]
	s_delay_alu instid0(VALU_DEP_3) | instskip(NEXT) | instid1(VALU_DEP_1)
	v_add_co_u32 v6, s0, v6, v9
	v_add_co_ci_u32_e64 v7, s0, 0, v7, s0
	v_cndmask_b32_e64 v8, 0, 1, vcc_lo
	s_delay_alu instid0(VALU_DEP_3) | instskip(NEXT) | instid1(VALU_DEP_3)
	v_add_co_u32 v6, vcc_lo, v6, v10
	v_add_co_ci_u32_e32 v7, vcc_lo, 0, v7, vcc_lo
	s_waitcnt lgkmcnt(0)
	v_cmp_gt_i64_e32 vcc_lo, v[4:5], v[20:21]
	s_delay_alu instid0(VALU_DEP_3) | instskip(NEXT) | instid1(VALU_DEP_1)
	v_add_co_u32 v6, s0, v6, v11
	v_add_co_ci_u32_e64 v7, s0, 0, v7, s0
	v_cndmask_b32_e64 v9, 0, 1, vcc_lo
	s_delay_alu instid0(VALU_DEP_3) | instskip(NEXT) | instid1(VALU_DEP_3)
	v_add_co_u32 v6, vcc_lo, v6, v12
	v_add_co_ci_u32_e32 v7, vcc_lo, 0, v7, vcc_lo
	v_cmp_gt_i64_e32 vcc_lo, v[4:5], v[22:23]
	s_delay_alu instid0(VALU_DEP_3) | instskip(NEXT) | instid1(VALU_DEP_1)
	v_add_co_u32 v6, s0, v6, v8
	v_add_co_ci_u32_e64 v7, s0, 0, v7, s0
	v_cndmask_b32_e64 v8, 0, 1, vcc_lo
	s_delay_alu instid0(VALU_DEP_3) | instskip(NEXT) | instid1(VALU_DEP_3)
	v_add_co_u32 v6, vcc_lo, v6, v9
	v_add_co_ci_u32_e32 v7, vcc_lo, 0, v7, vcc_lo
	s_delay_alu instid0(VALU_DEP_2) | instskip(NEXT) | instid1(VALU_DEP_2)
	v_add_co_u32 v6, vcc_lo, v6, v8
	v_add_co_ci_u32_e32 v7, vcc_lo, 0, v7, vcc_lo
	s_cbranch_scc0 .LBB124_77
; %bb.78:                               ;   in Loop: Header=BB124_75 Depth=1
	s_mov_b64 s[0:1], s[2:3]
.LBB124_79:                             ;   in Loop: Header=BB124_75 Depth=1
	s_and_not1_b32 vcc_lo, exec_lo, s13
	s_cbranch_vccnz .LBB124_74
; %bb.80:                               ;   in Loop: Header=BB124_75 Depth=1
	s_lshl_b32 s0, s0, 3
	s_delay_alu instid0(SALU_CYCLE_1)
	s_add_i32 s10, s0, 0
	s_mov_b64 s[0:1], s[6:7]
.LBB124_81:                             ;   Parent Loop BB124_75 Depth=1
                                        ; =>  This Inner Loop Header: Depth=2
	v_mov_b32_e32 v8, s10
	s_add_i32 s10, s10, 8
	s_add_u32 s0, s0, -1
	s_addc_u32 s1, s1, -1
	s_delay_alu instid0(SALU_CYCLE_1) | instskip(SKIP_4) | instid1(VALU_DEP_1)
	s_cmp_lg_u64 s[0:1], 0
	ds_load_b64 v[8:9], v8
	s_waitcnt lgkmcnt(0)
	v_cmp_gt_i64_e32 vcc_lo, v[4:5], v[8:9]
	v_cndmask_b32_e64 v8, 0, 1, vcc_lo
	v_add_co_u32 v6, vcc_lo, v6, v8
	v_add_co_ci_u32_e32 v7, vcc_lo, 0, v7, vcc_lo
	s_cbranch_scc1 .LBB124_81
	s_branch .LBB124_74
.LBB124_82:
	s_nop 0
	s_sendmsg sendmsg(MSG_DEALLOC_VGPRS)
	s_endpgm
	.section	.rodata,"a",@progbits
	.p2align	6, 0x0
	.amdhsa_kernel _ZN9rocsparseL41csrgemm_numeric_fill_block_per_row_kernelILj256ELj32ELj512ELj137ELj32Ell21rocsparse_complex_numIfEEEvT5_PKS3_S5_NS_24const_host_device_scalarIT6_EEPKT4_S5_PKS7_SB_S5_SD_S8_SB_S5_SD_SB_S5_PS7_21rocsparse_index_base_SF_SF_SF_bbb
		.amdhsa_group_segment_fixed_size 0
		.amdhsa_private_segment_fixed_size 0
		.amdhsa_kernarg_size 156
		.amdhsa_user_sgpr_count 15
		.amdhsa_user_sgpr_dispatch_ptr 0
		.amdhsa_user_sgpr_queue_ptr 0
		.amdhsa_user_sgpr_kernarg_segment_ptr 1
		.amdhsa_user_sgpr_dispatch_id 0
		.amdhsa_user_sgpr_private_segment_size 0
		.amdhsa_wavefront_size32 1
		.amdhsa_uses_dynamic_stack 0
		.amdhsa_enable_private_segment 0
		.amdhsa_system_sgpr_workgroup_id_x 1
		.amdhsa_system_sgpr_workgroup_id_y 0
		.amdhsa_system_sgpr_workgroup_id_z 0
		.amdhsa_system_sgpr_workgroup_info 0
		.amdhsa_system_vgpr_workitem_id 0
		.amdhsa_next_free_vgpr 24
		.amdhsa_next_free_sgpr 48
		.amdhsa_reserve_vcc 1
		.amdhsa_float_round_mode_32 0
		.amdhsa_float_round_mode_16_64 0
		.amdhsa_float_denorm_mode_32 3
		.amdhsa_float_denorm_mode_16_64 3
		.amdhsa_dx10_clamp 1
		.amdhsa_ieee_mode 1
		.amdhsa_fp16_overflow 0
		.amdhsa_workgroup_processor_mode 1
		.amdhsa_memory_ordered 1
		.amdhsa_forward_progress 0
		.amdhsa_shared_vgpr_count 0
		.amdhsa_exception_fp_ieee_invalid_op 0
		.amdhsa_exception_fp_denorm_src 0
		.amdhsa_exception_fp_ieee_div_zero 0
		.amdhsa_exception_fp_ieee_overflow 0
		.amdhsa_exception_fp_ieee_underflow 0
		.amdhsa_exception_fp_ieee_inexact 0
		.amdhsa_exception_int_div_zero 0
	.end_amdhsa_kernel
	.section	.text._ZN9rocsparseL41csrgemm_numeric_fill_block_per_row_kernelILj256ELj32ELj512ELj137ELj32Ell21rocsparse_complex_numIfEEEvT5_PKS3_S5_NS_24const_host_device_scalarIT6_EEPKT4_S5_PKS7_SB_S5_SD_S8_SB_S5_SD_SB_S5_PS7_21rocsparse_index_base_SF_SF_SF_bbb,"axG",@progbits,_ZN9rocsparseL41csrgemm_numeric_fill_block_per_row_kernelILj256ELj32ELj512ELj137ELj32Ell21rocsparse_complex_numIfEEEvT5_PKS3_S5_NS_24const_host_device_scalarIT6_EEPKT4_S5_PKS7_SB_S5_SD_S8_SB_S5_SD_SB_S5_PS7_21rocsparse_index_base_SF_SF_SF_bbb,comdat
.Lfunc_end124:
	.size	_ZN9rocsparseL41csrgemm_numeric_fill_block_per_row_kernelILj256ELj32ELj512ELj137ELj32Ell21rocsparse_complex_numIfEEEvT5_PKS3_S5_NS_24const_host_device_scalarIT6_EEPKT4_S5_PKS7_SB_S5_SD_S8_SB_S5_SD_SB_S5_PS7_21rocsparse_index_base_SF_SF_SF_bbb, .Lfunc_end124-_ZN9rocsparseL41csrgemm_numeric_fill_block_per_row_kernelILj256ELj32ELj512ELj137ELj32Ell21rocsparse_complex_numIfEEEvT5_PKS3_S5_NS_24const_host_device_scalarIT6_EEPKT4_S5_PKS7_SB_S5_SD_S8_SB_S5_SD_SB_S5_PS7_21rocsparse_index_base_SF_SF_SF_bbb
                                        ; -- End function
	.section	.AMDGPU.csdata,"",@progbits
; Kernel info:
; codeLenInByte = 3192
; NumSgprs: 50
; NumVgprs: 24
; ScratchSize: 0
; MemoryBound: 0
; FloatMode: 240
; IeeeMode: 1
; LDSByteSize: 0 bytes/workgroup (compile time only)
; SGPRBlocks: 6
; VGPRBlocks: 2
; NumSGPRsForWavesPerEU: 50
; NumVGPRsForWavesPerEU: 24
; Occupancy: 16
; WaveLimiterHint : 1
; COMPUTE_PGM_RSRC2:SCRATCH_EN: 0
; COMPUTE_PGM_RSRC2:USER_SGPR: 15
; COMPUTE_PGM_RSRC2:TRAP_HANDLER: 0
; COMPUTE_PGM_RSRC2:TGID_X_EN: 1
; COMPUTE_PGM_RSRC2:TGID_Y_EN: 0
; COMPUTE_PGM_RSRC2:TGID_Z_EN: 0
; COMPUTE_PGM_RSRC2:TIDIG_COMP_CNT: 0
	.section	.text._ZN9rocsparseL41csrgemm_numeric_fill_block_per_row_kernelILj256ELj32ELj512ELj137ELj64Ell21rocsparse_complex_numIfEEEvT5_PKS3_S5_NS_24const_host_device_scalarIT6_EEPKT4_S5_PKS7_SB_S5_SD_S8_SB_S5_SD_SB_S5_PS7_21rocsparse_index_base_SF_SF_SF_bbb,"axG",@progbits,_ZN9rocsparseL41csrgemm_numeric_fill_block_per_row_kernelILj256ELj32ELj512ELj137ELj64Ell21rocsparse_complex_numIfEEEvT5_PKS3_S5_NS_24const_host_device_scalarIT6_EEPKT4_S5_PKS7_SB_S5_SD_S8_SB_S5_SD_SB_S5_PS7_21rocsparse_index_base_SF_SF_SF_bbb,comdat
	.globl	_ZN9rocsparseL41csrgemm_numeric_fill_block_per_row_kernelILj256ELj32ELj512ELj137ELj64Ell21rocsparse_complex_numIfEEEvT5_PKS3_S5_NS_24const_host_device_scalarIT6_EEPKT4_S5_PKS7_SB_S5_SD_S8_SB_S5_SD_SB_S5_PS7_21rocsparse_index_base_SF_SF_SF_bbb ; -- Begin function _ZN9rocsparseL41csrgemm_numeric_fill_block_per_row_kernelILj256ELj32ELj512ELj137ELj64Ell21rocsparse_complex_numIfEEEvT5_PKS3_S5_NS_24const_host_device_scalarIT6_EEPKT4_S5_PKS7_SB_S5_SD_S8_SB_S5_SD_SB_S5_PS7_21rocsparse_index_base_SF_SF_SF_bbb
	.p2align	8
	.type	_ZN9rocsparseL41csrgemm_numeric_fill_block_per_row_kernelILj256ELj32ELj512ELj137ELj64Ell21rocsparse_complex_numIfEEEvT5_PKS3_S5_NS_24const_host_device_scalarIT6_EEPKT4_S5_PKS7_SB_S5_SD_S8_SB_S5_SD_SB_S5_PS7_21rocsparse_index_base_SF_SF_SF_bbb,@function
_ZN9rocsparseL41csrgemm_numeric_fill_block_per_row_kernelILj256ELj32ELj512ELj137ELj64Ell21rocsparse_complex_numIfEEEvT5_PKS3_S5_NS_24const_host_device_scalarIT6_EEPKT4_S5_PKS7_SB_S5_SD_S8_SB_S5_SD_SB_S5_PS7_21rocsparse_index_base_SF_SF_SF_bbb: ; @_ZN9rocsparseL41csrgemm_numeric_fill_block_per_row_kernelILj256ELj32ELj512ELj137ELj64Ell21rocsparse_complex_numIfEEEvT5_PKS3_S5_NS_24const_host_device_scalarIT6_EEPKT4_S5_PKS7_SB_S5_SD_S8_SB_S5_SD_SB_S5_PS7_21rocsparse_index_base_SF_SF_SF_bbb
; %bb.0:
	s_mov_b32 s38, s15
	s_clause 0x7
	s_load_b32 s33, s[0:1], 0x98
	s_load_b64 s[36:37], s[0:1], 0x70
	s_load_b128 s[24:27], s[0:1], 0x60
	s_load_b256 s[4:11], s[0:1], 0x40
	s_load_b128 s[28:31], s[0:1], 0x8
	s_load_b256 s[12:19], s[0:1], 0x20
	s_load_b64 s[34:35], s[0:1], 0x80
	s_load_b128 s[20:23], s[0:1], 0x88
	s_mov_b32 s3, 0
	s_mov_b32 s41, 0
	s_waitcnt lgkmcnt(0)
	s_bitcmp1_b32 s33, 0
	s_cselect_b32 s42, -1, 0
	s_bitcmp1_b32 s33, 16
	s_cselect_b32 s2, -1, 0
	s_delay_alu instid0(SALU_CYCLE_1) | instskip(SKIP_2) | instid1(VALU_DEP_1)
	s_xor_b32 s39, s2, -1
	s_bitcmp0_b32 s33, 0
	v_cndmask_b32_e64 v1, 0, 1, s39
	v_cmp_ne_u32_e32 vcc_lo, 1, v1
	s_cbranch_scc1 .LBB125_5
; %bb.1:
	s_load_b64 s[2:3], s[0:1], 0x18
	s_and_b32 vcc_lo, exec_lo, vcc_lo
	s_waitcnt lgkmcnt(0)
	s_mov_b32 s41, s2
	s_cbranch_vccnz .LBB125_3
; %bb.2:
	s_load_b32 s41, s[2:3], 0x0
.LBB125_3:
	s_and_not1_b32 vcc_lo, exec_lo, s39
	s_cbranch_vccnz .LBB125_5
; %bb.4:
	s_load_b32 s3, s[2:3], 0x4
.LBB125_5:
	s_bitcmp1_b32 s33, 8
	s_mov_b32 s40, 0
	s_cselect_b32 s2, -1, 0
	s_bfe_u32 s33, s33, 0x10008
	s_delay_alu instid0(SALU_CYCLE_1)
	s_cmp_eq_u32 s33, 0
	s_mov_b32 s33, 0
	s_cbranch_scc1 .LBB125_11
; %bb.6:
	v_cmp_ne_u32_e32 vcc_lo, 1, v1
	s_mov_b32 s33, s8
	s_cbranch_vccnz .LBB125_8
; %bb.7:
	s_load_b32 s33, s[8:9], 0x0
.LBB125_8:
	v_cmp_ne_u32_e32 vcc_lo, 1, v1
	s_cbranch_vccnz .LBB125_10
; %bb.9:
	s_load_b32 s9, s[8:9], 0x4
.LBB125_10:
	s_waitcnt lgkmcnt(0)
	s_mov_b32 s40, s9
.LBB125_11:
	s_load_b64 s[8:9], s[0:1], 0x0
	v_cmp_gt_u32_e64 s0, 0x200, v0
	v_or_b32_e32 v12, 0xffffff00, v0
	v_lshl_add_u32 v13, v0, 3, 0
	s_delay_alu instid0(VALU_DEP_3)
	s_and_saveexec_b32 s1, s0
	s_cbranch_execz .LBB125_14
; %bb.12:
	v_or_b32_e32 v3, 0xffffff00, v0
	v_lshl_add_u32 v4, v0, 3, 0
	s_waitcnt lgkmcnt(0)
	v_dual_mov_b32 v1, s8 :: v_dual_mov_b32 v2, s9
	v_mov_b32_e32 v5, 0
	s_mov_b32 s39, 0
.LBB125_13:                             ; =>This Inner Loop Header: Depth=1
	v_add_co_u32 v3, s43, 0x100, v3
	s_delay_alu instid0(VALU_DEP_1)
	s_xor_b32 s43, s43, -1
	v_add_nc_u32_e32 v6, 0x1000, v4
	ds_store_b64 v4, v[1:2]
	v_add_nc_u32_e32 v4, 0x800, v4
	s_and_b32 s43, exec_lo, s43
	ds_store_2addr_b32 v6, v5, v5 offset1:1
	s_or_b32 s39, s43, s39
	s_delay_alu instid0(SALU_CYCLE_1)
	s_and_not1_b32 exec_lo, exec_lo, s39
	s_cbranch_execnz .LBB125_13
.LBB125_14:
	s_or_b32 exec_lo, exec_lo, s1
	s_waitcnt lgkmcnt(0)
	s_barrier
	buffer_gl0_inv
	s_load_b64 s[28:29], s[28:29], 0x0
	s_mov_b32 s39, 0
	s_waitcnt lgkmcnt(0)
	s_lshl_b64 s[28:29], s[28:29], 3
	s_delay_alu instid0(SALU_CYCLE_1) | instskip(SKIP_2) | instid1(SALU_CYCLE_1)
	s_add_u32 s1, s30, s28
	s_addc_u32 s30, s31, s29
	s_lshl_b64 s[28:29], s[38:39], 3
	s_add_u32 s28, s1, s28
	s_addc_u32 s29, s30, s29
	s_and_b32 vcc_lo, exec_lo, s42
	s_load_b64 s[28:29], s[28:29], 0x0
	s_cbranch_vccz .LBB125_34
; %bb.15:
	s_waitcnt lgkmcnt(0)
	s_lshl_b64 s[30:31], s[28:29], 3
	v_lshrrev_b32_e32 v1, 5, v0
	s_add_u32 s12, s12, s30
	s_addc_u32 s13, s13, s31
	s_load_b128 s[44:47], s[12:13], 0x0
	s_delay_alu instid0(VALU_DEP_1) | instskip(NEXT) | instid1(VALU_DEP_1)
	v_sub_co_u32 v1, s1, v1, s20
	v_sub_co_ci_u32_e64 v2, null, 0, 0, s1
	s_mov_b32 s1, exec_lo
	s_waitcnt lgkmcnt(0)
	s_delay_alu instid0(VALU_DEP_2) | instskip(NEXT) | instid1(VALU_DEP_2)
	v_add_co_u32 v1, vcc_lo, s44, v1
	v_add_co_ci_u32_e32 v2, vcc_lo, s45, v2, vcc_lo
	s_sub_u32 s12, s46, s20
	s_subb_u32 s13, s47, 0
	s_delay_alu instid0(VALU_DEP_1) | instid1(SALU_CYCLE_1)
	v_cmpx_gt_i64_e64 s[12:13], v[1:2]
	s_cbranch_execz .LBB125_33
; %bb.16:
	v_and_b32_e32 v3, 31, v0
	s_delay_alu instid0(VALU_DEP_1) | instskip(NEXT) | instid1(VALU_DEP_1)
	v_sub_co_u32 v11, s30, v3, s21
	v_sub_co_ci_u32_e64 v14, null, 0, 0, s30
	s_mov_b32 s30, 0
	s_branch .LBB125_18
.LBB125_17:                             ;   in Loop: Header=BB125_18 Depth=1
	s_or_b32 exec_lo, exec_lo, s31
	v_add_co_u32 v1, vcc_lo, v1, 8
	v_add_co_ci_u32_e32 v2, vcc_lo, 0, v2, vcc_lo
	s_delay_alu instid0(VALU_DEP_1) | instskip(SKIP_1) | instid1(SALU_CYCLE_1)
	v_cmp_le_i64_e32 vcc_lo, s[12:13], v[1:2]
	s_or_b32 s30, vcc_lo, s30
	s_and_not1_b32 exec_lo, exec_lo, s30
	s_cbranch_execz .LBB125_33
.LBB125_18:                             ; =>This Loop Header: Depth=1
                                        ;     Child Loop BB125_21 Depth 2
                                        ;       Child Loop BB125_23 Depth 3
	v_lshlrev_b64 v[7:8], 3, v[1:2]
	s_mov_b32 s31, exec_lo
	s_delay_alu instid0(VALU_DEP_1) | instskip(NEXT) | instid1(VALU_DEP_2)
	v_add_co_u32 v3, vcc_lo, s14, v7
	v_add_co_ci_u32_e32 v4, vcc_lo, s15, v8, vcc_lo
	global_load_b64 v[3:4], v[3:4], off
	s_waitcnt vmcnt(0)
	v_sub_co_u32 v3, vcc_lo, v3, s20
	v_subrev_co_ci_u32_e32 v4, vcc_lo, 0, v4, vcc_lo
	s_delay_alu instid0(VALU_DEP_1) | instskip(NEXT) | instid1(VALU_DEP_1)
	v_lshlrev_b64 v[3:4], 3, v[3:4]
	v_add_co_u32 v3, vcc_lo, s18, v3
	s_delay_alu instid0(VALU_DEP_2)
	v_add_co_ci_u32_e32 v4, vcc_lo, s19, v4, vcc_lo
	global_load_b128 v[15:18], v[3:4], off
	s_waitcnt vmcnt(0)
	v_sub_co_u32 v3, vcc_lo, v17, s21
	v_subrev_co_ci_u32_e32 v4, vcc_lo, 0, v18, vcc_lo
	v_add_co_u32 v5, vcc_lo, v15, v11
	v_add_co_ci_u32_e32 v6, vcc_lo, v16, v14, vcc_lo
	s_delay_alu instid0(VALU_DEP_1)
	v_cmpx_lt_i64_e64 v[5:6], v[3:4]
	s_cbranch_execz .LBB125_17
; %bb.19:                               ;   in Loop: Header=BB125_18 Depth=1
	v_add_co_u32 v7, vcc_lo, s16, v7
	v_add_co_ci_u32_e32 v8, vcc_lo, s17, v8, vcc_lo
	s_mov_b32 s38, 0
	global_load_b64 v[7:8], v[7:8], off
	s_waitcnt vmcnt(0)
	v_mul_f32_e64 v15, v8, -s3
	s_delay_alu instid0(VALU_DEP_1) | instskip(NEXT) | instid1(VALU_DEP_1)
	v_dual_mul_f32 v16, s41, v8 :: v_dual_fmac_f32 v15, s41, v7
	v_fmac_f32_e32 v16, s3, v7
	s_branch .LBB125_21
.LBB125_20:                             ;   in Loop: Header=BB125_21 Depth=2
	s_or_b32 exec_lo, exec_lo, s39
	v_add_co_u32 v5, vcc_lo, v5, 32
	v_add_co_ci_u32_e32 v6, vcc_lo, 0, v6, vcc_lo
	s_delay_alu instid0(VALU_DEP_1) | instskip(SKIP_1) | instid1(SALU_CYCLE_1)
	v_cmp_ge_i64_e32 vcc_lo, v[5:6], v[3:4]
	s_or_b32 s38, vcc_lo, s38
	s_and_not1_b32 exec_lo, exec_lo, s38
	s_cbranch_execz .LBB125_17
.LBB125_21:                             ;   Parent Loop BB125_18 Depth=1
                                        ; =>  This Loop Header: Depth=2
                                        ;       Child Loop BB125_23 Depth 3
	v_lshlrev_b64 v[7:8], 3, v[5:6]
	s_mov_b32 s39, 0
	s_delay_alu instid0(VALU_DEP_1) | instskip(NEXT) | instid1(VALU_DEP_2)
	v_add_co_u32 v9, vcc_lo, s4, v7
	v_add_co_ci_u32_e32 v10, vcc_lo, s5, v8, vcc_lo
	v_add_co_u32 v7, vcc_lo, s6, v7
	v_add_co_ci_u32_e32 v8, vcc_lo, s7, v8, vcc_lo
	global_load_b64 v[9:10], v[9:10], off
	global_load_b64 v[19:20], v[7:8], off
	s_waitcnt vmcnt(1)
	v_sub_co_u32 v7, vcc_lo, v9, s21
	v_subrev_co_ci_u32_e32 v8, vcc_lo, 0, v10, vcc_lo
	s_waitcnt vmcnt(0)
	v_mul_f32_e64 v17, v20, -v16
	s_delay_alu instid0(VALU_DEP_3) | instskip(SKIP_1) | instid1(VALU_DEP_3)
	v_mul_lo_u32 v9, 0x89, v7
	v_mul_f32_e32 v18, v15, v20
	v_fmac_f32_e32 v17, v15, v19
	s_delay_alu instid0(VALU_DEP_2)
	v_dual_fmac_f32 v18, v16, v19 :: v_dual_and_b32 v19, 0x1ff, v9
	s_branch .LBB125_23
.LBB125_22:                             ;   in Loop: Header=BB125_23 Depth=3
	s_or_b32 exec_lo, exec_lo, s42
	s_xor_b32 s42, s43, -1
	s_delay_alu instid0(SALU_CYCLE_1) | instskip(NEXT) | instid1(SALU_CYCLE_1)
	s_and_b32 s42, exec_lo, s42
	s_or_b32 s39, s42, s39
	s_delay_alu instid0(SALU_CYCLE_1)
	s_and_not1_b32 exec_lo, exec_lo, s39
	s_cbranch_execz .LBB125_20
.LBB125_23:                             ;   Parent Loop BB125_18 Depth=1
                                        ;     Parent Loop BB125_21 Depth=2
                                        ; =>    This Inner Loop Header: Depth=3
	s_delay_alu instid0(VALU_DEP_1)
	v_lshl_add_u32 v20, v19, 3, 0
	s_mov_b32 s42, exec_lo
                                        ; implicit-def: $sgpr43
	ds_load_b64 v[9:10], v20
	s_waitcnt lgkmcnt(0)
	v_cmpx_ne_u64_e64 v[9:10], v[7:8]
	s_xor_b32 s42, exec_lo, s42
	s_cbranch_execz .LBB125_31
; %bb.24:                               ;   in Loop: Header=BB125_23 Depth=3
	s_mov_b32 s44, exec_lo
                                        ; implicit-def: $sgpr43
	v_cmpx_ne_u64_e64 s[8:9], v[9:10]
	s_xor_b32 s44, exec_lo, s44
; %bb.25:                               ;   in Loop: Header=BB125_23 Depth=3
	v_add_nc_u32_e32 v9, 1, v19
	s_mov_b32 s43, -1
                                        ; implicit-def: $vgpr20
	s_delay_alu instid0(VALU_DEP_1)
	v_and_b32_e32 v19, 0x1ff, v9
; %bb.26:                               ;   in Loop: Header=BB125_23 Depth=3
	s_and_not1_saveexec_b32 s44, s44
	s_cbranch_execz .LBB125_30
; %bb.27:                               ;   in Loop: Header=BB125_23 Depth=3
	v_dual_mov_b32 v10, s9 :: v_dual_mov_b32 v9, s8
	s_mov_b32 s45, -1
	s_mov_b32 s46, exec_lo
	ds_cmpstore_rtn_b64 v[9:10], v20, v[7:8], v[9:10]
	s_waitcnt lgkmcnt(0)
	v_cmpx_eq_u64_e64 s[8:9], v[9:10]
	s_cbranch_execz .LBB125_29
; %bb.28:                               ;   in Loop: Header=BB125_23 Depth=3
	ds_add_f32 v20, v17 offset:4096
	ds_add_f32 v20, v18 offset:4100
	s_xor_b32 s45, exec_lo, -1
.LBB125_29:                             ;   in Loop: Header=BB125_23 Depth=3
	s_or_b32 exec_lo, exec_lo, s46
	s_delay_alu instid0(SALU_CYCLE_1) | instskip(SKIP_1) | instid1(SALU_CYCLE_1)
	s_and_not1_b32 s43, s43, exec_lo
	s_and_b32 s45, s45, exec_lo
	s_or_b32 s43, s43, s45
.LBB125_30:                             ;   in Loop: Header=BB125_23 Depth=3
	s_or_b32 exec_lo, exec_lo, s44
	s_delay_alu instid0(SALU_CYCLE_1)
	s_and_b32 s43, s43, exec_lo
                                        ; implicit-def: $vgpr20
.LBB125_31:                             ;   in Loop: Header=BB125_23 Depth=3
	s_and_not1_saveexec_b32 s42, s42
	s_cbranch_execz .LBB125_22
; %bb.32:                               ;   in Loop: Header=BB125_23 Depth=3
	ds_add_f32 v20, v17 offset:4096
	ds_add_f32 v20, v18 offset:4100
	s_and_not1_b32 s43, s43, exec_lo
	s_branch .LBB125_22
.LBB125_33:
	s_or_b32 exec_lo, exec_lo, s1
.LBB125_34:
	s_delay_alu instid0(SALU_CYCLE_1)
	s_and_not1_b32 vcc_lo, exec_lo, s2
	s_cbranch_vccnz .LBB125_51
; %bb.35:
	s_waitcnt lgkmcnt(0)
	s_lshl_b64 s[2:3], s[28:29], 3
	v_sub_co_u32 v1, s1, v0, s23
	s_add_u32 s2, s10, s2
	s_addc_u32 s3, s11, s3
	v_sub_co_ci_u32_e64 v2, null, 0, 0, s1
	s_load_b128 s[4:7], s[2:3], 0x0
	s_mov_b32 s1, 0
	s_waitcnt lgkmcnt(0)
	v_add_co_u32 v1, vcc_lo, s4, v1
	v_add_co_ci_u32_e32 v2, vcc_lo, s5, v2, vcc_lo
	s_sub_u32 s2, s6, s23
	s_subb_u32 s3, s7, 0
	s_mov_b32 s4, exec_lo
	s_delay_alu instid0(VALU_DEP_1)
	v_cmpx_gt_i64_e64 s[2:3], v[1:2]
	s_cbranch_execz .LBB125_50
; %bb.36:
	s_mov_b32 s5, s23
	s_branch .LBB125_38
.LBB125_37:                             ;   in Loop: Header=BB125_38 Depth=1
	s_or_b32 exec_lo, exec_lo, s6
	v_add_co_u32 v1, vcc_lo, 0x100, v1
	v_add_co_ci_u32_e32 v2, vcc_lo, 0, v2, vcc_lo
	s_delay_alu instid0(VALU_DEP_1) | instskip(SKIP_1) | instid1(SALU_CYCLE_1)
	v_cmp_le_i64_e32 vcc_lo, s[2:3], v[1:2]
	s_or_b32 s1, vcc_lo, s1
	s_and_not1_b32 exec_lo, exec_lo, s1
	s_cbranch_execz .LBB125_50
.LBB125_38:                             ; =>This Loop Header: Depth=1
                                        ;     Child Loop BB125_40 Depth 2
	v_lshlrev_b64 v[3:4], 3, v[1:2]
	s_mov_b32 s6, 0
	s_delay_alu instid0(VALU_DEP_1) | instskip(NEXT) | instid1(VALU_DEP_2)
	v_add_co_u32 v5, vcc_lo, s24, v3
	v_add_co_ci_u32_e32 v6, vcc_lo, s25, v4, vcc_lo
	v_add_co_u32 v3, vcc_lo, s26, v3
	v_add_co_ci_u32_e32 v4, vcc_lo, s27, v4, vcc_lo
	global_load_b64 v[5:6], v[5:6], off
	global_load_b64 v[9:10], v[3:4], off
	s_waitcnt vmcnt(1)
	v_sub_co_u32 v3, vcc_lo, v5, s5
	v_subrev_co_ci_u32_e32 v4, vcc_lo, 0, v6, vcc_lo
	s_waitcnt vmcnt(0)
	v_mul_f32_e64 v7, v10, -s40
	s_delay_alu instid0(VALU_DEP_3) | instskip(NEXT) | instid1(VALU_DEP_2)
	v_mul_lo_u32 v5, 0x89, v3
	v_dual_mul_f32 v8, s33, v10 :: v_dual_fmac_f32 v7, s33, v9
	s_delay_alu instid0(VALU_DEP_1) | instskip(NEXT) | instid1(VALU_DEP_3)
	v_fmac_f32_e32 v8, s40, v9
	v_and_b32_e32 v9, 0x1ff, v5
	s_branch .LBB125_40
.LBB125_39:                             ;   in Loop: Header=BB125_40 Depth=2
	s_or_b32 exec_lo, exec_lo, s7
	s_xor_b32 s7, s10, -1
	s_delay_alu instid0(SALU_CYCLE_1) | instskip(NEXT) | instid1(SALU_CYCLE_1)
	s_and_b32 s7, exec_lo, s7
	s_or_b32 s6, s7, s6
	s_delay_alu instid0(SALU_CYCLE_1)
	s_and_not1_b32 exec_lo, exec_lo, s6
	s_cbranch_execz .LBB125_37
.LBB125_40:                             ;   Parent Loop BB125_38 Depth=1
                                        ; =>  This Inner Loop Header: Depth=2
	s_delay_alu instid0(VALU_DEP_1)
	v_lshl_add_u32 v10, v9, 3, 0
	s_mov_b32 s7, exec_lo
                                        ; implicit-def: $sgpr10
	ds_load_b64 v[5:6], v10
	s_waitcnt lgkmcnt(0)
	v_cmpx_ne_u64_e64 v[5:6], v[3:4]
	s_xor_b32 s7, exec_lo, s7
	s_cbranch_execz .LBB125_48
; %bb.41:                               ;   in Loop: Header=BB125_40 Depth=2
	s_mov_b32 s11, exec_lo
                                        ; implicit-def: $sgpr10
	v_cmpx_ne_u64_e64 s[8:9], v[5:6]
	s_xor_b32 s11, exec_lo, s11
; %bb.42:                               ;   in Loop: Header=BB125_40 Depth=2
	v_add_nc_u32_e32 v5, 1, v9
	s_mov_b32 s10, -1
                                        ; implicit-def: $vgpr10
	s_delay_alu instid0(VALU_DEP_1)
	v_and_b32_e32 v9, 0x1ff, v5
; %bb.43:                               ;   in Loop: Header=BB125_40 Depth=2
	s_and_not1_saveexec_b32 s11, s11
	s_cbranch_execz .LBB125_47
; %bb.44:                               ;   in Loop: Header=BB125_40 Depth=2
	v_dual_mov_b32 v5, s8 :: v_dual_mov_b32 v6, s9
	s_mov_b32 s12, -1
	s_mov_b32 s13, exec_lo
	ds_cmpstore_rtn_b64 v[5:6], v10, v[3:4], v[5:6]
	s_waitcnt lgkmcnt(0)
	v_cmpx_eq_u64_e64 s[8:9], v[5:6]
	s_cbranch_execz .LBB125_46
; %bb.45:                               ;   in Loop: Header=BB125_40 Depth=2
	ds_add_f32 v10, v7 offset:4096
	ds_add_f32 v10, v8 offset:4100
	s_xor_b32 s12, exec_lo, -1
.LBB125_46:                             ;   in Loop: Header=BB125_40 Depth=2
	s_or_b32 exec_lo, exec_lo, s13
	s_delay_alu instid0(SALU_CYCLE_1) | instskip(SKIP_1) | instid1(SALU_CYCLE_1)
	s_and_not1_b32 s10, s10, exec_lo
	s_and_b32 s12, s12, exec_lo
	s_or_b32 s10, s10, s12
.LBB125_47:                             ;   in Loop: Header=BB125_40 Depth=2
	s_or_b32 exec_lo, exec_lo, s11
	s_delay_alu instid0(SALU_CYCLE_1)
	s_and_b32 s10, s10, exec_lo
                                        ; implicit-def: $vgpr10
.LBB125_48:                             ;   in Loop: Header=BB125_40 Depth=2
	s_and_not1_saveexec_b32 s7, s7
	s_cbranch_execz .LBB125_39
; %bb.49:                               ;   in Loop: Header=BB125_40 Depth=2
	ds_add_f32 v10, v7 offset:4096
	ds_add_f32 v10, v8 offset:4100
	s_and_not1_b32 s10, s10, exec_lo
	s_branch .LBB125_39
.LBB125_50:
	s_or_b32 exec_lo, exec_lo, s4
.LBB125_51:
	s_waitcnt lgkmcnt(0)
	s_barrier
	buffer_gl0_inv
	s_and_saveexec_b32 s4, s0
	s_cbranch_execz .LBB125_64
; %bb.52:
	v_mbcnt_lo_u32_b32 v1, -1, 0
	v_lshrrev_b32_e32 v2, 3, v0
	v_cmp_eq_u32_e32 vcc_lo, 0xff, v0
	v_cmp_lt_u32_e64 s0, 63, v0
	v_cmp_lt_u32_e64 s1, 0x7f, v0
	v_xor_b32_e32 v1, 63, v1
	v_and_b32_e32 v3, 24, v2
	v_cmp_lt_u32_e64 s2, 0xbf, v0
	s_mov_b32 s5, 0
	v_mov_b32_e32 v5, 0
	v_lshrrev_b64 v[1:2], v1, -1
	v_add_nc_u32_e32 v14, 0, v3
	v_mov_b32_e32 v2, 0
	v_mov_b32_e32 v3, 0
	s_branch .LBB125_54
.LBB125_53:                             ;   in Loop: Header=BB125_54 Depth=1
	s_or_b32 exec_lo, exec_lo, s3
	s_waitcnt lgkmcnt(0)
	s_barrier
	buffer_gl0_inv
	ds_load_b64 v[6:7], v5 offset:8216
	v_add_co_u32 v12, s3, 0x100, v12
	s_delay_alu instid0(VALU_DEP_1) | instskip(SKIP_3) | instid1(VALU_DEP_1)
	s_xor_b32 s6, s3, -1
	v_add_nc_u32_e32 v13, 0x800, v13
	s_waitcnt lgkmcnt(0)
	v_add_co_u32 v2, s3, v6, v2
	v_add_co_ci_u32_e64 v3, s3, v7, v3, s3
	s_and_b32 s3, exec_lo, s6
	s_delay_alu instid0(SALU_CYCLE_1) | instskip(NEXT) | instid1(SALU_CYCLE_1)
	s_or_b32 s5, s3, s5
	s_and_not1_b32 exec_lo, exec_lo, s5
	s_cbranch_execz .LBB125_64
.LBB125_54:                             ; =>This Inner Loop Header: Depth=1
	ds_load_b64 v[6:7], v13
	v_add_nc_u32_e32 v4, 0x1000, v13
	ds_load_2addr_b32 v[8:9], v4 offset1:1
	s_waitcnt lgkmcnt(0)
	s_barrier
	buffer_gl0_inv
	v_cmp_gt_i64_e64 s3, s[8:9], v[6:7]
	s_delay_alu instid0(VALU_DEP_1) | instskip(SKIP_1) | instid1(SALU_CYCLE_1)
	v_and_b32_e32 v10, s3, v1
	s_bcnt1_i32_b32 s6, s3
	v_mov_b32_e32 v4, s6
	s_delay_alu instid0(VALU_DEP_2)
	v_bcnt_u32_b32 v10, v10, 0
	ds_store_b64 v14, v[4:5] offset:8192
	s_waitcnt lgkmcnt(0)
	s_barrier
	buffer_gl0_inv
	s_and_saveexec_b32 s6, s0
	s_cbranch_execnz .LBB125_59
; %bb.55:                               ;   in Loop: Header=BB125_54 Depth=1
	s_or_b32 exec_lo, exec_lo, s6
	s_and_saveexec_b32 s6, s1
	s_cbranch_execnz .LBB125_60
.LBB125_56:                             ;   in Loop: Header=BB125_54 Depth=1
	s_or_b32 exec_lo, exec_lo, s6
	s_and_saveexec_b32 s6, s2
	s_cbranch_execnz .LBB125_61
.LBB125_57:                             ;   in Loop: Header=BB125_54 Depth=1
	s_or_b32 exec_lo, exec_lo, s6
	v_ashrrev_i32_e32 v11, 31, v10
	s_and_saveexec_b32 s6, s3
	s_cbranch_execnz .LBB125_62
.LBB125_58:                             ;   in Loop: Header=BB125_54 Depth=1
	s_or_b32 exec_lo, exec_lo, s6
	s_and_saveexec_b32 s3, vcc_lo
	s_cbranch_execz .LBB125_53
	s_branch .LBB125_63
.LBB125_59:                             ;   in Loop: Header=BB125_54 Depth=1
	ds_load_b32 v4, v5 offset:8192
	s_waitcnt lgkmcnt(0)
	v_add_nc_u32_e32 v10, v4, v10
	s_or_b32 exec_lo, exec_lo, s6
	s_and_saveexec_b32 s6, s1
	s_cbranch_execz .LBB125_56
.LBB125_60:                             ;   in Loop: Header=BB125_54 Depth=1
	ds_load_b32 v4, v5 offset:8200
	s_waitcnt lgkmcnt(0)
	v_add_nc_u32_e32 v10, v10, v4
	s_or_b32 exec_lo, exec_lo, s6
	s_and_saveexec_b32 s6, s2
	s_cbranch_execz .LBB125_57
.LBB125_61:                             ;   in Loop: Header=BB125_54 Depth=1
	ds_load_b32 v4, v5 offset:8208
	s_waitcnt lgkmcnt(0)
	v_add_nc_u32_e32 v10, v10, v4
	s_or_b32 exec_lo, exec_lo, s6
	s_delay_alu instid0(VALU_DEP_1)
	v_ashrrev_i32_e32 v11, 31, v10
	s_and_saveexec_b32 s6, s3
	s_cbranch_execz .LBB125_58
.LBB125_62:                             ;   in Loop: Header=BB125_54 Depth=1
	v_add3_u32 v4, v2, -1, v10
	s_delay_alu instid0(VALU_DEP_1) | instskip(NEXT) | instid1(VALU_DEP_1)
	v_lshl_add_u32 v4, v4, 3, 0
	v_add_nc_u32_e32 v15, 0x1000, v4
	ds_store_b64 v4, v[6:7]
	ds_store_2addr_b32 v15, v8, v9 offset1:1
	s_or_b32 exec_lo, exec_lo, s6
	s_and_saveexec_b32 s3, vcc_lo
	s_cbranch_execz .LBB125_53
.LBB125_63:                             ;   in Loop: Header=BB125_54 Depth=1
	ds_store_b64 v5, v[10:11] offset:8216
	s_branch .LBB125_53
.LBB125_64:
	s_or_b32 exec_lo, exec_lo, s4
	s_lshl_b64 s[0:1], s[28:29], 3
	v_mov_b32_e32 v1, 0
	s_add_u32 s0, s36, s0
	s_addc_u32 s1, s37, s1
	s_mov_b32 s6, exec_lo
	s_load_b128 s[0:3], s[0:1], 0x0
	s_waitcnt lgkmcnt(0)
	s_sub_u32 s4, s2, s0
	s_subb_u32 s5, s3, s1
	s_delay_alu instid0(SALU_CYCLE_1)
	v_cmpx_gt_i64_e64 s[4:5], v[0:1]
	s_cbranch_execz .LBB125_74
; %bb.65:
	s_sub_u32 s8, s0, s22
	s_subb_u32 s9, s1, 0
	s_and_b32 s6, s4, 7
	s_sub_u32 s0, s0, s2
	s_subb_u32 s1, s1, s3
	s_mov_b32 s7, 0
	v_cmp_lt_u64_e64 s12, s[0:1], -7
	s_and_b32 s2, s4, -8
	s_cmp_lg_u64 s[6:7], 0
	s_mov_b32 s3, s5
	s_cselect_b32 s13, -1, 0
	s_mov_b32 s14, s7
	s_branch .LBB125_67
.LBB125_66:                             ;   in Loop: Header=BB125_67 Depth=1
	v_add_co_u32 v0, vcc_lo, 0x100, v0
	v_add_co_ci_u32_e32 v1, vcc_lo, 0, v1, vcc_lo
	s_waitcnt lgkmcnt(1)
	v_lshlrev_b64 v[4:5], 3, v[6:7]
	s_delay_alu instid0(VALU_DEP_2) | instskip(NEXT) | instid1(VALU_DEP_2)
	v_cmp_le_i64_e32 vcc_lo, s[4:5], v[0:1]
	v_add_co_u32 v4, s0, s34, v4
	s_delay_alu instid0(VALU_DEP_1)
	v_add_co_ci_u32_e64 v5, s0, s35, v5, s0
	s_or_b32 s14, vcc_lo, s14
	s_waitcnt lgkmcnt(0)
	global_store_b64 v[4:5], v[2:3], off
	s_and_not1_b32 exec_lo, exec_lo, s14
	s_cbranch_execz .LBB125_74
.LBB125_67:                             ; =>This Loop Header: Depth=1
                                        ;     Child Loop BB125_69 Depth 2
                                        ;     Child Loop BB125_73 Depth 2
	v_lshl_add_u32 v2, v0, 3, 0
	s_and_not1_b32 vcc_lo, exec_lo, s12
	s_mov_b64 s[0:1], 0
	v_dual_mov_b32 v6, s8 :: v_dual_mov_b32 v7, s9
	s_delay_alu instid0(VALU_DEP_2)
	v_add_nc_u32_e32 v3, 0x1000, v2
	ds_load_b64 v[4:5], v2
	ds_load_2addr_b32 v[2:3], v3 offset1:1
	s_cbranch_vccnz .LBB125_71
; %bb.68:                               ;   in Loop: Header=BB125_67 Depth=1
	v_dual_mov_b32 v6, s8 :: v_dual_mov_b32 v7, s9
	s_mov_b64 s[10:11], 0
	s_mov_b32 s1, 0
.LBB125_69:                             ;   Parent Loop BB125_67 Depth=1
                                        ; =>  This Inner Loop Header: Depth=2
	s_delay_alu instid0(SALU_CYCLE_1)
	v_mov_b32_e32 v20, s1
	s_add_u32 s10, s10, 8
	s_addc_u32 s11, s11, 0
	s_add_i32 s1, s1, 64
	s_cmp_eq_u64 s[2:3], s[10:11]
	ds_load_2addr_b64 v[8:11], v20 offset1:1
	ds_load_2addr_b64 v[12:15], v20 offset0:2 offset1:3
	ds_load_2addr_b64 v[16:19], v20 offset0:4 offset1:5
	;; [unrolled: 1-line block ×3, first 2 shown]
	s_waitcnt lgkmcnt(3)
	v_cmp_gt_i64_e32 vcc_lo, v[4:5], v[8:9]
	v_cndmask_b32_e64 v8, 0, 1, vcc_lo
	v_cmp_gt_i64_e32 vcc_lo, v[4:5], v[10:11]
	v_cndmask_b32_e64 v9, 0, 1, vcc_lo
	s_waitcnt lgkmcnt(2)
	v_cmp_gt_i64_e32 vcc_lo, v[4:5], v[12:13]
	v_cndmask_b32_e64 v10, 0, 1, vcc_lo
	v_cmp_gt_i64_e32 vcc_lo, v[4:5], v[14:15]
	v_cndmask_b32_e64 v11, 0, 1, vcc_lo
	s_waitcnt lgkmcnt(1)
	v_cmp_gt_i64_e32 vcc_lo, v[4:5], v[16:17]
	v_cndmask_b32_e64 v12, 0, 1, vcc_lo
	v_add_co_u32 v6, vcc_lo, v6, v8
	v_add_co_ci_u32_e32 v7, vcc_lo, 0, v7, vcc_lo
	v_cmp_gt_i64_e32 vcc_lo, v[4:5], v[18:19]
	s_delay_alu instid0(VALU_DEP_3) | instskip(NEXT) | instid1(VALU_DEP_1)
	v_add_co_u32 v6, s0, v6, v9
	v_add_co_ci_u32_e64 v7, s0, 0, v7, s0
	v_cndmask_b32_e64 v8, 0, 1, vcc_lo
	s_delay_alu instid0(VALU_DEP_3) | instskip(NEXT) | instid1(VALU_DEP_3)
	v_add_co_u32 v6, vcc_lo, v6, v10
	v_add_co_ci_u32_e32 v7, vcc_lo, 0, v7, vcc_lo
	s_waitcnt lgkmcnt(0)
	v_cmp_gt_i64_e32 vcc_lo, v[4:5], v[20:21]
	s_delay_alu instid0(VALU_DEP_3) | instskip(NEXT) | instid1(VALU_DEP_1)
	v_add_co_u32 v6, s0, v6, v11
	v_add_co_ci_u32_e64 v7, s0, 0, v7, s0
	v_cndmask_b32_e64 v9, 0, 1, vcc_lo
	s_delay_alu instid0(VALU_DEP_3) | instskip(NEXT) | instid1(VALU_DEP_3)
	v_add_co_u32 v6, vcc_lo, v6, v12
	v_add_co_ci_u32_e32 v7, vcc_lo, 0, v7, vcc_lo
	v_cmp_gt_i64_e32 vcc_lo, v[4:5], v[22:23]
	s_delay_alu instid0(VALU_DEP_3) | instskip(NEXT) | instid1(VALU_DEP_1)
	v_add_co_u32 v6, s0, v6, v8
	v_add_co_ci_u32_e64 v7, s0, 0, v7, s0
	v_cndmask_b32_e64 v8, 0, 1, vcc_lo
	s_delay_alu instid0(VALU_DEP_3) | instskip(NEXT) | instid1(VALU_DEP_3)
	v_add_co_u32 v6, vcc_lo, v6, v9
	v_add_co_ci_u32_e32 v7, vcc_lo, 0, v7, vcc_lo
	s_delay_alu instid0(VALU_DEP_2) | instskip(NEXT) | instid1(VALU_DEP_2)
	v_add_co_u32 v6, vcc_lo, v6, v8
	v_add_co_ci_u32_e32 v7, vcc_lo, 0, v7, vcc_lo
	s_cbranch_scc0 .LBB125_69
; %bb.70:                               ;   in Loop: Header=BB125_67 Depth=1
	s_mov_b64 s[0:1], s[2:3]
.LBB125_71:                             ;   in Loop: Header=BB125_67 Depth=1
	s_and_not1_b32 vcc_lo, exec_lo, s13
	s_cbranch_vccnz .LBB125_66
; %bb.72:                               ;   in Loop: Header=BB125_67 Depth=1
	s_lshl_b32 s0, s0, 3
	s_delay_alu instid0(SALU_CYCLE_1)
	s_add_i32 s10, s0, 0
	s_mov_b64 s[0:1], s[6:7]
.LBB125_73:                             ;   Parent Loop BB125_67 Depth=1
                                        ; =>  This Inner Loop Header: Depth=2
	v_mov_b32_e32 v8, s10
	s_add_i32 s10, s10, 8
	s_add_u32 s0, s0, -1
	s_addc_u32 s1, s1, -1
	s_delay_alu instid0(SALU_CYCLE_1) | instskip(SKIP_4) | instid1(VALU_DEP_1)
	s_cmp_lg_u64 s[0:1], 0
	ds_load_b64 v[8:9], v8
	s_waitcnt lgkmcnt(0)
	v_cmp_gt_i64_e32 vcc_lo, v[4:5], v[8:9]
	v_cndmask_b32_e64 v8, 0, 1, vcc_lo
	v_add_co_u32 v6, vcc_lo, v6, v8
	v_add_co_ci_u32_e32 v7, vcc_lo, 0, v7, vcc_lo
	s_cbranch_scc1 .LBB125_73
	s_branch .LBB125_66
.LBB125_74:
	s_nop 0
	s_sendmsg sendmsg(MSG_DEALLOC_VGPRS)
	s_endpgm
	.section	.rodata,"a",@progbits
	.p2align	6, 0x0
	.amdhsa_kernel _ZN9rocsparseL41csrgemm_numeric_fill_block_per_row_kernelILj256ELj32ELj512ELj137ELj64Ell21rocsparse_complex_numIfEEEvT5_PKS3_S5_NS_24const_host_device_scalarIT6_EEPKT4_S5_PKS7_SB_S5_SD_S8_SB_S5_SD_SB_S5_PS7_21rocsparse_index_base_SF_SF_SF_bbb
		.amdhsa_group_segment_fixed_size 0
		.amdhsa_private_segment_fixed_size 0
		.amdhsa_kernarg_size 156
		.amdhsa_user_sgpr_count 15
		.amdhsa_user_sgpr_dispatch_ptr 0
		.amdhsa_user_sgpr_queue_ptr 0
		.amdhsa_user_sgpr_kernarg_segment_ptr 1
		.amdhsa_user_sgpr_dispatch_id 0
		.amdhsa_user_sgpr_private_segment_size 0
		.amdhsa_wavefront_size32 1
		.amdhsa_uses_dynamic_stack 0
		.amdhsa_enable_private_segment 0
		.amdhsa_system_sgpr_workgroup_id_x 1
		.amdhsa_system_sgpr_workgroup_id_y 0
		.amdhsa_system_sgpr_workgroup_id_z 0
		.amdhsa_system_sgpr_workgroup_info 0
		.amdhsa_system_vgpr_workitem_id 0
		.amdhsa_next_free_vgpr 24
		.amdhsa_next_free_sgpr 48
		.amdhsa_reserve_vcc 1
		.amdhsa_float_round_mode_32 0
		.amdhsa_float_round_mode_16_64 0
		.amdhsa_float_denorm_mode_32 3
		.amdhsa_float_denorm_mode_16_64 3
		.amdhsa_dx10_clamp 1
		.amdhsa_ieee_mode 1
		.amdhsa_fp16_overflow 0
		.amdhsa_workgroup_processor_mode 1
		.amdhsa_memory_ordered 1
		.amdhsa_forward_progress 0
		.amdhsa_shared_vgpr_count 0
		.amdhsa_exception_fp_ieee_invalid_op 0
		.amdhsa_exception_fp_denorm_src 0
		.amdhsa_exception_fp_ieee_div_zero 0
		.amdhsa_exception_fp_ieee_overflow 0
		.amdhsa_exception_fp_ieee_underflow 0
		.amdhsa_exception_fp_ieee_inexact 0
		.amdhsa_exception_int_div_zero 0
	.end_amdhsa_kernel
	.section	.text._ZN9rocsparseL41csrgemm_numeric_fill_block_per_row_kernelILj256ELj32ELj512ELj137ELj64Ell21rocsparse_complex_numIfEEEvT5_PKS3_S5_NS_24const_host_device_scalarIT6_EEPKT4_S5_PKS7_SB_S5_SD_S8_SB_S5_SD_SB_S5_PS7_21rocsparse_index_base_SF_SF_SF_bbb,"axG",@progbits,_ZN9rocsparseL41csrgemm_numeric_fill_block_per_row_kernelILj256ELj32ELj512ELj137ELj64Ell21rocsparse_complex_numIfEEEvT5_PKS3_S5_NS_24const_host_device_scalarIT6_EEPKT4_S5_PKS7_SB_S5_SD_S8_SB_S5_SD_SB_S5_PS7_21rocsparse_index_base_SF_SF_SF_bbb,comdat
.Lfunc_end125:
	.size	_ZN9rocsparseL41csrgemm_numeric_fill_block_per_row_kernelILj256ELj32ELj512ELj137ELj64Ell21rocsparse_complex_numIfEEEvT5_PKS3_S5_NS_24const_host_device_scalarIT6_EEPKT4_S5_PKS7_SB_S5_SD_S8_SB_S5_SD_SB_S5_PS7_21rocsparse_index_base_SF_SF_SF_bbb, .Lfunc_end125-_ZN9rocsparseL41csrgemm_numeric_fill_block_per_row_kernelILj256ELj32ELj512ELj137ELj64Ell21rocsparse_complex_numIfEEEvT5_PKS3_S5_NS_24const_host_device_scalarIT6_EEPKT4_S5_PKS7_SB_S5_SD_S8_SB_S5_SD_SB_S5_PS7_21rocsparse_index_base_SF_SF_SF_bbb
                                        ; -- End function
	.section	.AMDGPU.csdata,"",@progbits
; Kernel info:
; codeLenInByte = 3000
; NumSgprs: 50
; NumVgprs: 24
; ScratchSize: 0
; MemoryBound: 0
; FloatMode: 240
; IeeeMode: 1
; LDSByteSize: 0 bytes/workgroup (compile time only)
; SGPRBlocks: 6
; VGPRBlocks: 2
; NumSGPRsForWavesPerEU: 50
; NumVGPRsForWavesPerEU: 24
; Occupancy: 16
; WaveLimiterHint : 1
; COMPUTE_PGM_RSRC2:SCRATCH_EN: 0
; COMPUTE_PGM_RSRC2:USER_SGPR: 15
; COMPUTE_PGM_RSRC2:TRAP_HANDLER: 0
; COMPUTE_PGM_RSRC2:TGID_X_EN: 1
; COMPUTE_PGM_RSRC2:TGID_Y_EN: 0
; COMPUTE_PGM_RSRC2:TGID_Z_EN: 0
; COMPUTE_PGM_RSRC2:TIDIG_COMP_CNT: 0
	.section	.text._ZN9rocsparseL41csrgemm_numeric_fill_block_per_row_kernelILj512ELj32ELj1024ELj137ELj32Ell21rocsparse_complex_numIfEEEvT5_PKS3_S5_NS_24const_host_device_scalarIT6_EEPKT4_S5_PKS7_SB_S5_SD_S8_SB_S5_SD_SB_S5_PS7_21rocsparse_index_base_SF_SF_SF_bbb,"axG",@progbits,_ZN9rocsparseL41csrgemm_numeric_fill_block_per_row_kernelILj512ELj32ELj1024ELj137ELj32Ell21rocsparse_complex_numIfEEEvT5_PKS3_S5_NS_24const_host_device_scalarIT6_EEPKT4_S5_PKS7_SB_S5_SD_S8_SB_S5_SD_SB_S5_PS7_21rocsparse_index_base_SF_SF_SF_bbb,comdat
	.globl	_ZN9rocsparseL41csrgemm_numeric_fill_block_per_row_kernelILj512ELj32ELj1024ELj137ELj32Ell21rocsparse_complex_numIfEEEvT5_PKS3_S5_NS_24const_host_device_scalarIT6_EEPKT4_S5_PKS7_SB_S5_SD_S8_SB_S5_SD_SB_S5_PS7_21rocsparse_index_base_SF_SF_SF_bbb ; -- Begin function _ZN9rocsparseL41csrgemm_numeric_fill_block_per_row_kernelILj512ELj32ELj1024ELj137ELj32Ell21rocsparse_complex_numIfEEEvT5_PKS3_S5_NS_24const_host_device_scalarIT6_EEPKT4_S5_PKS7_SB_S5_SD_S8_SB_S5_SD_SB_S5_PS7_21rocsparse_index_base_SF_SF_SF_bbb
	.p2align	8
	.type	_ZN9rocsparseL41csrgemm_numeric_fill_block_per_row_kernelILj512ELj32ELj1024ELj137ELj32Ell21rocsparse_complex_numIfEEEvT5_PKS3_S5_NS_24const_host_device_scalarIT6_EEPKT4_S5_PKS7_SB_S5_SD_S8_SB_S5_SD_SB_S5_PS7_21rocsparse_index_base_SF_SF_SF_bbb,@function
_ZN9rocsparseL41csrgemm_numeric_fill_block_per_row_kernelILj512ELj32ELj1024ELj137ELj32Ell21rocsparse_complex_numIfEEEvT5_PKS3_S5_NS_24const_host_device_scalarIT6_EEPKT4_S5_PKS7_SB_S5_SD_S8_SB_S5_SD_SB_S5_PS7_21rocsparse_index_base_SF_SF_SF_bbb: ; @_ZN9rocsparseL41csrgemm_numeric_fill_block_per_row_kernelILj512ELj32ELj1024ELj137ELj32Ell21rocsparse_complex_numIfEEEvT5_PKS3_S5_NS_24const_host_device_scalarIT6_EEPKT4_S5_PKS7_SB_S5_SD_S8_SB_S5_SD_SB_S5_PS7_21rocsparse_index_base_SF_SF_SF_bbb
; %bb.0:
	s_mov_b32 s40, s15
	s_clause 0x7
	s_load_b32 s33, s[0:1], 0x98
	s_load_b64 s[36:37], s[0:1], 0x70
	s_load_b128 s[24:27], s[0:1], 0x60
	s_load_b256 s[4:11], s[0:1], 0x40
	s_load_b128 s[28:31], s[0:1], 0x8
	s_load_b256 s[12:19], s[0:1], 0x20
	s_load_b64 s[34:35], s[0:1], 0x80
	s_load_b128 s[20:23], s[0:1], 0x88
	s_mov_b32 s3, 0
	s_mov_b32 s42, 0
	s_waitcnt lgkmcnt(0)
	s_bitcmp1_b32 s33, 0
	s_cselect_b32 s44, -1, 0
	s_bitcmp1_b32 s33, 16
	s_cselect_b32 s2, -1, 0
	s_delay_alu instid0(SALU_CYCLE_1) | instskip(SKIP_2) | instid1(VALU_DEP_1)
	s_xor_b32 s38, s2, -1
	s_bitcmp0_b32 s33, 0
	v_cndmask_b32_e64 v1, 0, 1, s38
	v_cmp_ne_u32_e32 vcc_lo, 1, v1
	s_cbranch_scc1 .LBB126_5
; %bb.1:
	s_load_b64 s[2:3], s[0:1], 0x18
	s_and_b32 vcc_lo, exec_lo, vcc_lo
	s_waitcnt lgkmcnt(0)
	s_mov_b32 s42, s2
	s_cbranch_vccnz .LBB126_3
; %bb.2:
	s_load_b32 s42, s[2:3], 0x0
.LBB126_3:
	s_and_not1_b32 vcc_lo, exec_lo, s38
	s_cbranch_vccnz .LBB126_5
; %bb.4:
	s_load_b32 s3, s[2:3], 0x4
.LBB126_5:
	s_bitcmp1_b32 s33, 8
	s_cselect_b32 s43, -1, 0
	s_bfe_u32 s2, s33, 0x10008
	s_mov_b32 s33, 0
	s_cmp_eq_u32 s2, 0
	s_mov_b32 s2, 0
	s_cbranch_scc1 .LBB126_11
; %bb.6:
	v_cmp_ne_u32_e32 vcc_lo, 1, v1
	s_mov_b32 s2, s8
	s_cbranch_vccnz .LBB126_8
; %bb.7:
	s_load_b32 s2, s[8:9], 0x0
.LBB126_8:
	v_cmp_ne_u32_e32 vcc_lo, 1, v1
	s_cbranch_vccnz .LBB126_10
; %bb.9:
	s_load_b32 s9, s[8:9], 0x4
.LBB126_10:
	s_waitcnt lgkmcnt(0)
	s_mov_b32 s33, s9
.LBB126_11:
	s_load_b64 s[38:39], s[0:1], 0x0
	v_lshl_add_u32 v12, v0, 3, 0
	v_or_b32_e32 v13, 0xfffffe00, v0
	v_mov_b32_e32 v3, 0
	s_mov_b32 s0, 0
	s_delay_alu instid0(VALU_DEP_2)
	v_dual_mov_b32 v4, v12 :: v_dual_mov_b32 v5, v13
	s_waitcnt lgkmcnt(0)
	v_dual_mov_b32 v1, s38 :: v_dual_mov_b32 v2, s39
.LBB126_12:                             ; =>This Inner Loop Header: Depth=1
	s_delay_alu instid0(VALU_DEP_2) | instskip(NEXT) | instid1(VALU_DEP_1)
	v_add_co_u32 v5, s1, 0x200, v5
	s_xor_b32 s1, s1, -1
	v_add_nc_u32_e32 v6, 0x2000, v4
	ds_store_b64 v4, v[1:2]
	v_add_nc_u32_e32 v4, 0x1000, v4
	s_and_b32 s1, exec_lo, s1
	ds_store_2addr_b32 v6, v3, v3 offset1:1
	s_or_b32 s0, s1, s0
	s_delay_alu instid0(SALU_CYCLE_1)
	s_and_not1_b32 exec_lo, exec_lo, s0
	s_cbranch_execnz .LBB126_12
; %bb.13:
	s_or_b32 exec_lo, exec_lo, s0
	s_waitcnt lgkmcnt(0)
	s_barrier
	buffer_gl0_inv
	s_load_b64 s[0:1], s[28:29], 0x0
	s_mov_b32 s41, 0
	v_lshrrev_b32_e32 v11, 5, v0
	s_waitcnt lgkmcnt(0)
	s_lshl_b64 s[0:1], s[0:1], 3
	s_delay_alu instid0(SALU_CYCLE_1) | instskip(SKIP_2) | instid1(SALU_CYCLE_1)
	s_add_u32 s8, s30, s0
	s_addc_u32 s9, s31, s1
	s_lshl_b64 s[0:1], s[40:41], 3
	s_add_u32 s0, s8, s0
	s_addc_u32 s1, s9, s1
	s_and_b32 vcc_lo, exec_lo, s44
	s_load_b64 s[28:29], s[0:1], 0x0
	s_cbranch_vccz .LBB126_33
; %bb.14:
	s_waitcnt lgkmcnt(0)
	s_lshl_b64 s[0:1], s[28:29], 3
	s_mov_b32 s8, exec_lo
	s_add_u32 s0, s12, s0
	s_addc_u32 s1, s13, s1
	s_load_b128 s[44:47], s[0:1], 0x0
	v_sub_co_u32 v1, s0, v11, s20
	s_delay_alu instid0(VALU_DEP_1) | instskip(SKIP_1) | instid1(VALU_DEP_2)
	v_sub_co_ci_u32_e64 v2, null, 0, 0, s0
	s_waitcnt lgkmcnt(0)
	v_add_co_u32 v1, vcc_lo, s44, v1
	s_delay_alu instid0(VALU_DEP_2)
	v_add_co_ci_u32_e32 v2, vcc_lo, s45, v2, vcc_lo
	s_sub_u32 s0, s46, s20
	s_subb_u32 s1, s47, 0
	s_delay_alu instid0(VALU_DEP_1) | instid1(SALU_CYCLE_1)
	v_cmpx_gt_i64_e64 s[0:1], v[1:2]
	s_cbranch_execz .LBB126_32
; %bb.15:
	v_and_b32_e32 v3, 31, v0
	s_mov_b32 s12, s21
	s_delay_alu instid0(VALU_DEP_1) | instskip(NEXT) | instid1(VALU_DEP_1)
	v_sub_co_u32 v14, s9, v3, s21
	v_sub_co_ci_u32_e64 v15, null, 0, 0, s9
	s_mov_b32 s9, 0
	s_branch .LBB126_17
.LBB126_16:                             ;   in Loop: Header=BB126_17 Depth=1
	s_or_b32 exec_lo, exec_lo, s13
	v_add_co_u32 v1, vcc_lo, v1, 16
	v_add_co_ci_u32_e32 v2, vcc_lo, 0, v2, vcc_lo
	s_delay_alu instid0(VALU_DEP_1) | instskip(SKIP_1) | instid1(SALU_CYCLE_1)
	v_cmp_le_i64_e32 vcc_lo, s[0:1], v[1:2]
	s_or_b32 s9, vcc_lo, s9
	s_and_not1_b32 exec_lo, exec_lo, s9
	s_cbranch_execz .LBB126_32
.LBB126_17:                             ; =>This Loop Header: Depth=1
                                        ;     Child Loop BB126_20 Depth 2
                                        ;       Child Loop BB126_22 Depth 3
	v_lshlrev_b64 v[7:8], 3, v[1:2]
	s_mov_b32 s13, exec_lo
	s_delay_alu instid0(VALU_DEP_1) | instskip(NEXT) | instid1(VALU_DEP_2)
	v_add_co_u32 v3, vcc_lo, s14, v7
	v_add_co_ci_u32_e32 v4, vcc_lo, s15, v8, vcc_lo
	global_load_b64 v[3:4], v[3:4], off
	s_waitcnt vmcnt(0)
	v_sub_co_u32 v3, vcc_lo, v3, s20
	v_subrev_co_ci_u32_e32 v4, vcc_lo, 0, v4, vcc_lo
	s_delay_alu instid0(VALU_DEP_1) | instskip(NEXT) | instid1(VALU_DEP_1)
	v_lshlrev_b64 v[3:4], 3, v[3:4]
	v_add_co_u32 v3, vcc_lo, s18, v3
	s_delay_alu instid0(VALU_DEP_2)
	v_add_co_ci_u32_e32 v4, vcc_lo, s19, v4, vcc_lo
	global_load_b128 v[16:19], v[3:4], off
	s_waitcnt vmcnt(0)
	v_sub_co_u32 v3, vcc_lo, v18, s12
	v_subrev_co_ci_u32_e32 v4, vcc_lo, 0, v19, vcc_lo
	v_add_co_u32 v5, vcc_lo, v16, v14
	v_add_co_ci_u32_e32 v6, vcc_lo, v17, v15, vcc_lo
	s_delay_alu instid0(VALU_DEP_1)
	v_cmpx_lt_i64_e64 v[5:6], v[3:4]
	s_cbranch_execz .LBB126_16
; %bb.18:                               ;   in Loop: Header=BB126_17 Depth=1
	v_add_co_u32 v7, vcc_lo, s16, v7
	v_add_co_ci_u32_e32 v8, vcc_lo, s17, v8, vcc_lo
	s_mov_b32 s21, 0
	global_load_b64 v[7:8], v[7:8], off
	s_waitcnt vmcnt(0)
	v_mul_f32_e64 v16, v8, -s3
	s_delay_alu instid0(VALU_DEP_1) | instskip(NEXT) | instid1(VALU_DEP_1)
	v_dual_mul_f32 v17, s42, v8 :: v_dual_fmac_f32 v16, s42, v7
	v_fmac_f32_e32 v17, s3, v7
	s_branch .LBB126_20
.LBB126_19:                             ;   in Loop: Header=BB126_20 Depth=2
	s_or_b32 exec_lo, exec_lo, s30
	v_add_co_u32 v5, vcc_lo, v5, 32
	v_add_co_ci_u32_e32 v6, vcc_lo, 0, v6, vcc_lo
	s_delay_alu instid0(VALU_DEP_1) | instskip(SKIP_1) | instid1(SALU_CYCLE_1)
	v_cmp_ge_i64_e32 vcc_lo, v[5:6], v[3:4]
	s_or_b32 s21, vcc_lo, s21
	s_and_not1_b32 exec_lo, exec_lo, s21
	s_cbranch_execz .LBB126_16
.LBB126_20:                             ;   Parent Loop BB126_17 Depth=1
                                        ; =>  This Loop Header: Depth=2
                                        ;       Child Loop BB126_22 Depth 3
	v_lshlrev_b64 v[7:8], 3, v[5:6]
	s_mov_b32 s30, 0
	s_delay_alu instid0(VALU_DEP_1) | instskip(NEXT) | instid1(VALU_DEP_2)
	v_add_co_u32 v9, vcc_lo, s4, v7
	v_add_co_ci_u32_e32 v10, vcc_lo, s5, v8, vcc_lo
	v_add_co_u32 v7, vcc_lo, s6, v7
	v_add_co_ci_u32_e32 v8, vcc_lo, s7, v8, vcc_lo
	global_load_b64 v[9:10], v[9:10], off
	global_load_b64 v[20:21], v[7:8], off
	s_waitcnt vmcnt(1)
	v_sub_co_u32 v7, vcc_lo, v9, s12
	v_subrev_co_ci_u32_e32 v8, vcc_lo, 0, v10, vcc_lo
	s_waitcnt vmcnt(0)
	v_mul_f32_e64 v18, v21, -v17
	s_delay_alu instid0(VALU_DEP_3) | instskip(SKIP_1) | instid1(VALU_DEP_3)
	v_mul_lo_u32 v9, 0x89, v7
	v_mul_f32_e32 v19, v16, v21
	v_fmac_f32_e32 v18, v16, v20
	s_delay_alu instid0(VALU_DEP_2)
	v_dual_fmac_f32 v19, v17, v20 :: v_dual_and_b32 v20, 0x3ff, v9
	s_branch .LBB126_22
.LBB126_21:                             ;   in Loop: Header=BB126_22 Depth=3
	s_or_b32 exec_lo, exec_lo, s31
	s_xor_b32 s31, s40, -1
	s_delay_alu instid0(SALU_CYCLE_1) | instskip(NEXT) | instid1(SALU_CYCLE_1)
	s_and_b32 s31, exec_lo, s31
	s_or_b32 s30, s31, s30
	s_delay_alu instid0(SALU_CYCLE_1)
	s_and_not1_b32 exec_lo, exec_lo, s30
	s_cbranch_execz .LBB126_19
.LBB126_22:                             ;   Parent Loop BB126_17 Depth=1
                                        ;     Parent Loop BB126_20 Depth=2
                                        ; =>    This Inner Loop Header: Depth=3
	s_delay_alu instid0(VALU_DEP_1)
	v_lshl_add_u32 v21, v20, 3, 0
	s_mov_b32 s31, exec_lo
                                        ; implicit-def: $sgpr40
	ds_load_b64 v[9:10], v21
	s_waitcnt lgkmcnt(0)
	v_cmpx_ne_u64_e64 v[9:10], v[7:8]
	s_xor_b32 s31, exec_lo, s31
	s_cbranch_execz .LBB126_30
; %bb.23:                               ;   in Loop: Header=BB126_22 Depth=3
	s_mov_b32 s41, exec_lo
                                        ; implicit-def: $sgpr40
	v_cmpx_ne_u64_e64 s[38:39], v[9:10]
	s_xor_b32 s41, exec_lo, s41
; %bb.24:                               ;   in Loop: Header=BB126_22 Depth=3
	v_add_nc_u32_e32 v9, 1, v20
	s_mov_b32 s40, -1
                                        ; implicit-def: $vgpr21
	s_delay_alu instid0(VALU_DEP_1)
	v_and_b32_e32 v20, 0x3ff, v9
; %bb.25:                               ;   in Loop: Header=BB126_22 Depth=3
	s_and_not1_saveexec_b32 s41, s41
	s_cbranch_execz .LBB126_29
; %bb.26:                               ;   in Loop: Header=BB126_22 Depth=3
	v_dual_mov_b32 v9, s38 :: v_dual_mov_b32 v10, s39
	s_mov_b32 s44, -1
	s_mov_b32 s45, exec_lo
	ds_cmpstore_rtn_b64 v[9:10], v21, v[7:8], v[9:10]
	s_waitcnt lgkmcnt(0)
	v_cmpx_eq_u64_e64 s[38:39], v[9:10]
	s_cbranch_execz .LBB126_28
; %bb.27:                               ;   in Loop: Header=BB126_22 Depth=3
	ds_add_f32 v21, v18 offset:8192
	ds_add_f32 v21, v19 offset:8196
	s_xor_b32 s44, exec_lo, -1
.LBB126_28:                             ;   in Loop: Header=BB126_22 Depth=3
	s_or_b32 exec_lo, exec_lo, s45
	s_delay_alu instid0(SALU_CYCLE_1) | instskip(SKIP_1) | instid1(SALU_CYCLE_1)
	s_and_not1_b32 s40, s40, exec_lo
	s_and_b32 s44, s44, exec_lo
	s_or_b32 s40, s40, s44
.LBB126_29:                             ;   in Loop: Header=BB126_22 Depth=3
	s_or_b32 exec_lo, exec_lo, s41
	s_delay_alu instid0(SALU_CYCLE_1)
	s_and_b32 s40, s40, exec_lo
                                        ; implicit-def: $vgpr21
.LBB126_30:                             ;   in Loop: Header=BB126_22 Depth=3
	s_and_not1_saveexec_b32 s31, s31
	s_cbranch_execz .LBB126_21
; %bb.31:                               ;   in Loop: Header=BB126_22 Depth=3
	ds_add_f32 v21, v18 offset:8192
	ds_add_f32 v21, v19 offset:8196
	s_and_not1_b32 s40, s40, exec_lo
	s_branch .LBB126_21
.LBB126_32:
	s_or_b32 exec_lo, exec_lo, s8
.LBB126_33:
	s_delay_alu instid0(SALU_CYCLE_1)
	s_and_not1_b32 vcc_lo, exec_lo, s43
	s_cbranch_vccnz .LBB126_50
; %bb.34:
	s_waitcnt lgkmcnt(0)
	s_lshl_b64 s[0:1], s[28:29], 3
	s_mov_b32 s3, 0
	s_add_u32 s0, s10, s0
	s_addc_u32 s1, s11, s1
	s_load_b128 s[4:7], s[0:1], 0x0
	v_sub_co_u32 v1, s0, v0, s23
	s_delay_alu instid0(VALU_DEP_1) | instskip(SKIP_1) | instid1(VALU_DEP_2)
	v_sub_co_ci_u32_e64 v2, null, 0, 0, s0
	s_waitcnt lgkmcnt(0)
	v_add_co_u32 v1, vcc_lo, s4, v1
	s_delay_alu instid0(VALU_DEP_2) | instskip(SKIP_3) | instid1(VALU_DEP_1)
	v_add_co_ci_u32_e32 v2, vcc_lo, s5, v2, vcc_lo
	s_sub_u32 s0, s6, s23
	s_subb_u32 s1, s7, 0
	s_mov_b32 s4, exec_lo
	v_cmpx_gt_i64_e64 s[0:1], v[1:2]
	s_cbranch_execz .LBB126_49
; %bb.35:
	s_mov_b32 s5, s23
	s_branch .LBB126_37
.LBB126_36:                             ;   in Loop: Header=BB126_37 Depth=1
	s_or_b32 exec_lo, exec_lo, s6
	v_add_co_u32 v1, vcc_lo, 0x200, v1
	v_add_co_ci_u32_e32 v2, vcc_lo, 0, v2, vcc_lo
	s_delay_alu instid0(VALU_DEP_1) | instskip(SKIP_1) | instid1(SALU_CYCLE_1)
	v_cmp_le_i64_e32 vcc_lo, s[0:1], v[1:2]
	s_or_b32 s3, vcc_lo, s3
	s_and_not1_b32 exec_lo, exec_lo, s3
	s_cbranch_execz .LBB126_49
.LBB126_37:                             ; =>This Loop Header: Depth=1
                                        ;     Child Loop BB126_39 Depth 2
	v_lshlrev_b64 v[3:4], 3, v[1:2]
	s_mov_b32 s6, 0
	s_delay_alu instid0(VALU_DEP_1) | instskip(NEXT) | instid1(VALU_DEP_2)
	v_add_co_u32 v5, vcc_lo, s24, v3
	v_add_co_ci_u32_e32 v6, vcc_lo, s25, v4, vcc_lo
	v_add_co_u32 v3, vcc_lo, s26, v3
	v_add_co_ci_u32_e32 v4, vcc_lo, s27, v4, vcc_lo
	global_load_b64 v[5:6], v[5:6], off
	global_load_b64 v[9:10], v[3:4], off
	s_waitcnt vmcnt(1)
	v_sub_co_u32 v3, vcc_lo, v5, s5
	v_subrev_co_ci_u32_e32 v4, vcc_lo, 0, v6, vcc_lo
	s_waitcnt vmcnt(0)
	v_mul_f32_e64 v7, v10, -s33
	s_delay_alu instid0(VALU_DEP_3) | instskip(NEXT) | instid1(VALU_DEP_2)
	v_mul_lo_u32 v5, 0x89, v3
	v_dual_mul_f32 v8, s2, v10 :: v_dual_fmac_f32 v7, s2, v9
	s_delay_alu instid0(VALU_DEP_1) | instskip(NEXT) | instid1(VALU_DEP_3)
	v_fmac_f32_e32 v8, s33, v9
	v_and_b32_e32 v9, 0x3ff, v5
	s_branch .LBB126_39
.LBB126_38:                             ;   in Loop: Header=BB126_39 Depth=2
	s_or_b32 exec_lo, exec_lo, s7
	s_xor_b32 s7, s8, -1
	s_delay_alu instid0(SALU_CYCLE_1) | instskip(NEXT) | instid1(SALU_CYCLE_1)
	s_and_b32 s7, exec_lo, s7
	s_or_b32 s6, s7, s6
	s_delay_alu instid0(SALU_CYCLE_1)
	s_and_not1_b32 exec_lo, exec_lo, s6
	s_cbranch_execz .LBB126_36
.LBB126_39:                             ;   Parent Loop BB126_37 Depth=1
                                        ; =>  This Inner Loop Header: Depth=2
	s_delay_alu instid0(VALU_DEP_1)
	v_lshl_add_u32 v10, v9, 3, 0
	s_mov_b32 s7, exec_lo
                                        ; implicit-def: $sgpr8
	ds_load_b64 v[5:6], v10
	s_waitcnt lgkmcnt(0)
	v_cmpx_ne_u64_e64 v[5:6], v[3:4]
	s_xor_b32 s7, exec_lo, s7
	s_cbranch_execz .LBB126_47
; %bb.40:                               ;   in Loop: Header=BB126_39 Depth=2
	s_mov_b32 s9, exec_lo
                                        ; implicit-def: $sgpr8
	v_cmpx_ne_u64_e64 s[38:39], v[5:6]
	s_xor_b32 s9, exec_lo, s9
; %bb.41:                               ;   in Loop: Header=BB126_39 Depth=2
	v_add_nc_u32_e32 v5, 1, v9
	s_mov_b32 s8, -1
                                        ; implicit-def: $vgpr10
	s_delay_alu instid0(VALU_DEP_1)
	v_and_b32_e32 v9, 0x3ff, v5
; %bb.42:                               ;   in Loop: Header=BB126_39 Depth=2
	s_and_not1_saveexec_b32 s9, s9
	s_cbranch_execz .LBB126_46
; %bb.43:                               ;   in Loop: Header=BB126_39 Depth=2
	v_dual_mov_b32 v5, s38 :: v_dual_mov_b32 v6, s39
	s_mov_b32 s10, -1
	s_mov_b32 s11, exec_lo
	ds_cmpstore_rtn_b64 v[5:6], v10, v[3:4], v[5:6]
	s_waitcnt lgkmcnt(0)
	v_cmpx_eq_u64_e64 s[38:39], v[5:6]
	s_cbranch_execz .LBB126_45
; %bb.44:                               ;   in Loop: Header=BB126_39 Depth=2
	ds_add_f32 v10, v7 offset:8192
	ds_add_f32 v10, v8 offset:8196
	s_xor_b32 s10, exec_lo, -1
.LBB126_45:                             ;   in Loop: Header=BB126_39 Depth=2
	s_or_b32 exec_lo, exec_lo, s11
	s_delay_alu instid0(SALU_CYCLE_1) | instskip(SKIP_1) | instid1(SALU_CYCLE_1)
	s_and_not1_b32 s8, s8, exec_lo
	s_and_b32 s10, s10, exec_lo
	s_or_b32 s8, s8, s10
.LBB126_46:                             ;   in Loop: Header=BB126_39 Depth=2
	s_or_b32 exec_lo, exec_lo, s9
	s_delay_alu instid0(SALU_CYCLE_1)
	s_and_b32 s8, s8, exec_lo
                                        ; implicit-def: $vgpr10
.LBB126_47:                             ;   in Loop: Header=BB126_39 Depth=2
	s_and_not1_saveexec_b32 s7, s7
	s_cbranch_execz .LBB126_38
; %bb.48:                               ;   in Loop: Header=BB126_39 Depth=2
	ds_add_f32 v10, v7 offset:8192
	ds_add_f32 v10, v8 offset:8196
	s_and_not1_b32 s8, s8, exec_lo
	s_branch .LBB126_38
.LBB126_49:
	s_or_b32 exec_lo, exec_lo, s4
.LBB126_50:
	v_mbcnt_lo_u32_b32 v1, -1, 0
	v_lshl_add_u32 v14, v11, 3, 0
	v_cmp_eq_u32_e32 vcc_lo, 0x1ff, v0
	v_cmp_lt_u32_e64 s0, 31, v0
	v_cmp_lt_u32_e64 s1, 63, v0
	v_xor_b32_e32 v1, 63, v1
	v_cmp_lt_u32_e64 s2, 0x5f, v0
	v_cmp_lt_u32_e64 s3, 0x7f, v0
	;; [unrolled: 1-line block ×4, first 2 shown]
	v_lshrrev_b64 v[1:2], v1, -1
	v_dual_mov_b32 v2, 0 :: v_dual_mov_b32 v5, 0
	v_cmp_lt_u32_e64 s6, 0xdf, v0
	v_cmp_lt_u32_e64 s7, 0xff, v0
	v_cmp_lt_u32_e64 s8, 0x11f, v0
	v_cmp_lt_u32_e64 s9, 0x13f, v0
	v_cmp_lt_u32_e64 s10, 0x15f, v0
	v_cmp_lt_u32_e64 s11, 0x17f, v0
	v_cmp_lt_u32_e64 s12, 0x19f, v0
	v_cmp_lt_u32_e64 s13, 0x1bf, v0
	v_cmp_lt_u32_e64 s14, 0x1df, v0
	v_mov_b32_e32 v3, 0
	s_mov_b32 s16, 0
	s_waitcnt lgkmcnt(0)
	s_barrier
	buffer_gl0_inv
	s_branch .LBB126_52
.LBB126_51:                             ;   in Loop: Header=BB126_52 Depth=1
	s_or_b32 exec_lo, exec_lo, s15
	s_waitcnt lgkmcnt(0)
	s_barrier
	buffer_gl0_inv
	ds_load_b64 v[6:7], v5 offset:16504
	v_add_co_u32 v13, s15, 0x200, v13
	s_delay_alu instid0(VALU_DEP_1) | instskip(SKIP_3) | instid1(VALU_DEP_1)
	s_xor_b32 s17, s15, -1
	v_add_nc_u32_e32 v12, 0x1000, v12
	s_waitcnt lgkmcnt(0)
	v_add_co_u32 v2, s15, v6, v2
	v_add_co_ci_u32_e64 v3, s15, v7, v3, s15
	s_and_b32 s15, exec_lo, s17
	s_delay_alu instid0(SALU_CYCLE_1) | instskip(NEXT) | instid1(SALU_CYCLE_1)
	s_or_b32 s16, s15, s16
	s_and_not1_b32 exec_lo, exec_lo, s16
	s_cbranch_execz .LBB126_86
.LBB126_52:                             ; =>This Inner Loop Header: Depth=1
	ds_load_b64 v[6:7], v12
	v_add_nc_u32_e32 v4, 0x2000, v12
	ds_load_2addr_b32 v[8:9], v4 offset1:1
	s_waitcnt lgkmcnt(0)
	s_barrier
	buffer_gl0_inv
	v_cmp_gt_i64_e64 s15, s[38:39], v[6:7]
	s_delay_alu instid0(VALU_DEP_1) | instskip(SKIP_1) | instid1(SALU_CYCLE_1)
	v_and_b32_e32 v10, s15, v1
	s_bcnt1_i32_b32 s17, s15
	v_mov_b32_e32 v4, s17
	s_delay_alu instid0(VALU_DEP_2)
	v_bcnt_u32_b32 v10, v10, 0
	ds_store_b64 v14, v[4:5] offset:16384
	s_waitcnt lgkmcnt(0)
	s_barrier
	buffer_gl0_inv
	s_and_saveexec_b32 s17, s0
	s_cbranch_execnz .LBB126_69
; %bb.53:                               ;   in Loop: Header=BB126_52 Depth=1
	s_or_b32 exec_lo, exec_lo, s17
	s_and_saveexec_b32 s17, s1
	s_cbranch_execnz .LBB126_70
.LBB126_54:                             ;   in Loop: Header=BB126_52 Depth=1
	s_or_b32 exec_lo, exec_lo, s17
	s_and_saveexec_b32 s17, s2
	s_cbranch_execnz .LBB126_71
.LBB126_55:                             ;   in Loop: Header=BB126_52 Depth=1
	s_or_b32 exec_lo, exec_lo, s17
	s_and_saveexec_b32 s17, s3
	s_cbranch_execnz .LBB126_72
.LBB126_56:                             ;   in Loop: Header=BB126_52 Depth=1
	s_or_b32 exec_lo, exec_lo, s17
	s_and_saveexec_b32 s17, s4
	s_cbranch_execnz .LBB126_73
.LBB126_57:                             ;   in Loop: Header=BB126_52 Depth=1
	s_or_b32 exec_lo, exec_lo, s17
	s_and_saveexec_b32 s17, s5
	s_cbranch_execnz .LBB126_74
.LBB126_58:                             ;   in Loop: Header=BB126_52 Depth=1
	s_or_b32 exec_lo, exec_lo, s17
	s_and_saveexec_b32 s17, s6
	s_cbranch_execnz .LBB126_75
.LBB126_59:                             ;   in Loop: Header=BB126_52 Depth=1
	s_or_b32 exec_lo, exec_lo, s17
	s_and_saveexec_b32 s17, s7
	s_cbranch_execnz .LBB126_76
.LBB126_60:                             ;   in Loop: Header=BB126_52 Depth=1
	s_or_b32 exec_lo, exec_lo, s17
	s_and_saveexec_b32 s17, s8
	s_cbranch_execnz .LBB126_77
.LBB126_61:                             ;   in Loop: Header=BB126_52 Depth=1
	s_or_b32 exec_lo, exec_lo, s17
	s_and_saveexec_b32 s17, s9
	s_cbranch_execnz .LBB126_78
.LBB126_62:                             ;   in Loop: Header=BB126_52 Depth=1
	s_or_b32 exec_lo, exec_lo, s17
	s_and_saveexec_b32 s17, s10
	s_cbranch_execnz .LBB126_79
.LBB126_63:                             ;   in Loop: Header=BB126_52 Depth=1
	s_or_b32 exec_lo, exec_lo, s17
	s_and_saveexec_b32 s17, s11
	s_cbranch_execnz .LBB126_80
.LBB126_64:                             ;   in Loop: Header=BB126_52 Depth=1
	s_or_b32 exec_lo, exec_lo, s17
	s_and_saveexec_b32 s17, s12
	s_cbranch_execnz .LBB126_81
.LBB126_65:                             ;   in Loop: Header=BB126_52 Depth=1
	s_or_b32 exec_lo, exec_lo, s17
	s_and_saveexec_b32 s17, s13
	s_cbranch_execnz .LBB126_82
.LBB126_66:                             ;   in Loop: Header=BB126_52 Depth=1
	s_or_b32 exec_lo, exec_lo, s17
	s_and_saveexec_b32 s17, s14
	s_cbranch_execnz .LBB126_83
.LBB126_67:                             ;   in Loop: Header=BB126_52 Depth=1
	s_or_b32 exec_lo, exec_lo, s17
	v_ashrrev_i32_e32 v11, 31, v10
	s_and_saveexec_b32 s17, s15
	s_cbranch_execnz .LBB126_84
.LBB126_68:                             ;   in Loop: Header=BB126_52 Depth=1
	s_or_b32 exec_lo, exec_lo, s17
	s_and_saveexec_b32 s15, vcc_lo
	s_cbranch_execz .LBB126_51
	s_branch .LBB126_85
.LBB126_69:                             ;   in Loop: Header=BB126_52 Depth=1
	ds_load_b32 v4, v5 offset:16384
	s_waitcnt lgkmcnt(0)
	v_add_nc_u32_e32 v10, v4, v10
	s_or_b32 exec_lo, exec_lo, s17
	s_and_saveexec_b32 s17, s1
	s_cbranch_execz .LBB126_54
.LBB126_70:                             ;   in Loop: Header=BB126_52 Depth=1
	ds_load_b32 v4, v5 offset:16392
	s_waitcnt lgkmcnt(0)
	v_add_nc_u32_e32 v10, v10, v4
	s_or_b32 exec_lo, exec_lo, s17
	s_and_saveexec_b32 s17, s2
	s_cbranch_execz .LBB126_55
.LBB126_71:                             ;   in Loop: Header=BB126_52 Depth=1
	ds_load_b32 v4, v5 offset:16400
	s_waitcnt lgkmcnt(0)
	v_add_nc_u32_e32 v10, v10, v4
	s_or_b32 exec_lo, exec_lo, s17
	s_and_saveexec_b32 s17, s3
	s_cbranch_execz .LBB126_56
.LBB126_72:                             ;   in Loop: Header=BB126_52 Depth=1
	ds_load_b32 v4, v5 offset:16408
	s_waitcnt lgkmcnt(0)
	v_add_nc_u32_e32 v10, v10, v4
	s_or_b32 exec_lo, exec_lo, s17
	s_and_saveexec_b32 s17, s4
	s_cbranch_execz .LBB126_57
.LBB126_73:                             ;   in Loop: Header=BB126_52 Depth=1
	ds_load_b32 v4, v5 offset:16416
	s_waitcnt lgkmcnt(0)
	v_add_nc_u32_e32 v10, v10, v4
	s_or_b32 exec_lo, exec_lo, s17
	s_and_saveexec_b32 s17, s5
	s_cbranch_execz .LBB126_58
.LBB126_74:                             ;   in Loop: Header=BB126_52 Depth=1
	ds_load_b32 v4, v5 offset:16424
	s_waitcnt lgkmcnt(0)
	v_add_nc_u32_e32 v10, v10, v4
	s_or_b32 exec_lo, exec_lo, s17
	s_and_saveexec_b32 s17, s6
	s_cbranch_execz .LBB126_59
.LBB126_75:                             ;   in Loop: Header=BB126_52 Depth=1
	ds_load_b32 v4, v5 offset:16432
	s_waitcnt lgkmcnt(0)
	v_add_nc_u32_e32 v10, v10, v4
	s_or_b32 exec_lo, exec_lo, s17
	s_and_saveexec_b32 s17, s7
	s_cbranch_execz .LBB126_60
.LBB126_76:                             ;   in Loop: Header=BB126_52 Depth=1
	ds_load_b32 v4, v5 offset:16440
	s_waitcnt lgkmcnt(0)
	v_add_nc_u32_e32 v10, v10, v4
	s_or_b32 exec_lo, exec_lo, s17
	s_and_saveexec_b32 s17, s8
	s_cbranch_execz .LBB126_61
.LBB126_77:                             ;   in Loop: Header=BB126_52 Depth=1
	ds_load_b32 v4, v5 offset:16448
	s_waitcnt lgkmcnt(0)
	v_add_nc_u32_e32 v10, v10, v4
	s_or_b32 exec_lo, exec_lo, s17
	s_and_saveexec_b32 s17, s9
	s_cbranch_execz .LBB126_62
.LBB126_78:                             ;   in Loop: Header=BB126_52 Depth=1
	ds_load_b32 v4, v5 offset:16456
	s_waitcnt lgkmcnt(0)
	v_add_nc_u32_e32 v10, v10, v4
	s_or_b32 exec_lo, exec_lo, s17
	s_and_saveexec_b32 s17, s10
	s_cbranch_execz .LBB126_63
.LBB126_79:                             ;   in Loop: Header=BB126_52 Depth=1
	ds_load_b32 v4, v5 offset:16464
	s_waitcnt lgkmcnt(0)
	v_add_nc_u32_e32 v10, v10, v4
	s_or_b32 exec_lo, exec_lo, s17
	s_and_saveexec_b32 s17, s11
	s_cbranch_execz .LBB126_64
.LBB126_80:                             ;   in Loop: Header=BB126_52 Depth=1
	ds_load_b32 v4, v5 offset:16472
	s_waitcnt lgkmcnt(0)
	v_add_nc_u32_e32 v10, v10, v4
	s_or_b32 exec_lo, exec_lo, s17
	s_and_saveexec_b32 s17, s12
	s_cbranch_execz .LBB126_65
.LBB126_81:                             ;   in Loop: Header=BB126_52 Depth=1
	ds_load_b32 v4, v5 offset:16480
	s_waitcnt lgkmcnt(0)
	v_add_nc_u32_e32 v10, v10, v4
	s_or_b32 exec_lo, exec_lo, s17
	s_and_saveexec_b32 s17, s13
	s_cbranch_execz .LBB126_66
.LBB126_82:                             ;   in Loop: Header=BB126_52 Depth=1
	ds_load_b32 v4, v5 offset:16488
	s_waitcnt lgkmcnt(0)
	v_add_nc_u32_e32 v10, v10, v4
	s_or_b32 exec_lo, exec_lo, s17
	s_and_saveexec_b32 s17, s14
	s_cbranch_execz .LBB126_67
.LBB126_83:                             ;   in Loop: Header=BB126_52 Depth=1
	ds_load_b32 v4, v5 offset:16496
	s_waitcnt lgkmcnt(0)
	v_add_nc_u32_e32 v10, v10, v4
	s_or_b32 exec_lo, exec_lo, s17
	s_delay_alu instid0(VALU_DEP_1)
	v_ashrrev_i32_e32 v11, 31, v10
	s_and_saveexec_b32 s17, s15
	s_cbranch_execz .LBB126_68
.LBB126_84:                             ;   in Loop: Header=BB126_52 Depth=1
	v_add3_u32 v4, v2, -1, v10
	s_delay_alu instid0(VALU_DEP_1) | instskip(NEXT) | instid1(VALU_DEP_1)
	v_lshl_add_u32 v4, v4, 3, 0
	v_add_nc_u32_e32 v15, 0x2000, v4
	ds_store_b64 v4, v[6:7]
	ds_store_2addr_b32 v15, v8, v9 offset1:1
	s_or_b32 exec_lo, exec_lo, s17
	s_and_saveexec_b32 s15, vcc_lo
	s_cbranch_execz .LBB126_51
.LBB126_85:                             ;   in Loop: Header=BB126_52 Depth=1
	ds_store_b64 v5, v[10:11] offset:16504
	s_branch .LBB126_51
.LBB126_86:
	s_or_b32 exec_lo, exec_lo, s16
	s_lshl_b64 s[0:1], s[28:29], 3
	v_mov_b32_e32 v1, 0
	s_add_u32 s0, s36, s0
	s_addc_u32 s1, s37, s1
	s_mov_b32 s6, exec_lo
	s_load_b128 s[0:3], s[0:1], 0x0
	s_waitcnt lgkmcnt(0)
	s_sub_u32 s4, s2, s0
	s_subb_u32 s5, s3, s1
	s_delay_alu instid0(SALU_CYCLE_1)
	v_cmpx_gt_i64_e64 s[4:5], v[0:1]
	s_cbranch_execz .LBB126_96
; %bb.87:
	s_sub_u32 s8, s0, s22
	s_subb_u32 s9, s1, 0
	s_and_b32 s6, s4, 7
	s_sub_u32 s0, s0, s2
	s_subb_u32 s1, s1, s3
	s_mov_b32 s7, 0
	v_cmp_lt_u64_e64 s12, s[0:1], -7
	s_and_b32 s2, s4, -8
	s_cmp_lg_u64 s[6:7], 0
	s_mov_b32 s3, s5
	s_cselect_b32 s13, -1, 0
	s_mov_b32 s14, s7
	s_branch .LBB126_89
.LBB126_88:                             ;   in Loop: Header=BB126_89 Depth=1
	v_add_co_u32 v0, vcc_lo, 0x200, v0
	v_add_co_ci_u32_e32 v1, vcc_lo, 0, v1, vcc_lo
	s_waitcnt lgkmcnt(1)
	v_lshlrev_b64 v[4:5], 3, v[6:7]
	s_delay_alu instid0(VALU_DEP_2) | instskip(NEXT) | instid1(VALU_DEP_2)
	v_cmp_le_i64_e32 vcc_lo, s[4:5], v[0:1]
	v_add_co_u32 v4, s0, s34, v4
	s_delay_alu instid0(VALU_DEP_1)
	v_add_co_ci_u32_e64 v5, s0, s35, v5, s0
	s_or_b32 s14, vcc_lo, s14
	s_waitcnt lgkmcnt(0)
	global_store_b64 v[4:5], v[2:3], off
	s_and_not1_b32 exec_lo, exec_lo, s14
	s_cbranch_execz .LBB126_96
.LBB126_89:                             ; =>This Loop Header: Depth=1
                                        ;     Child Loop BB126_91 Depth 2
                                        ;     Child Loop BB126_95 Depth 2
	v_lshl_add_u32 v2, v0, 3, 0
	s_and_not1_b32 vcc_lo, exec_lo, s12
	s_mov_b64 s[0:1], 0
	v_dual_mov_b32 v6, s8 :: v_dual_mov_b32 v7, s9
	s_delay_alu instid0(VALU_DEP_2)
	v_add_nc_u32_e32 v3, 0x2000, v2
	ds_load_b64 v[4:5], v2
	ds_load_2addr_b32 v[2:3], v3 offset1:1
	s_cbranch_vccnz .LBB126_93
; %bb.90:                               ;   in Loop: Header=BB126_89 Depth=1
	v_dual_mov_b32 v6, s8 :: v_dual_mov_b32 v7, s9
	s_mov_b64 s[10:11], 0
	s_mov_b32 s1, 0
.LBB126_91:                             ;   Parent Loop BB126_89 Depth=1
                                        ; =>  This Inner Loop Header: Depth=2
	s_delay_alu instid0(SALU_CYCLE_1)
	v_mov_b32_e32 v20, s1
	s_add_u32 s10, s10, 8
	s_addc_u32 s11, s11, 0
	s_add_i32 s1, s1, 64
	s_cmp_eq_u64 s[2:3], s[10:11]
	ds_load_2addr_b64 v[8:11], v20 offset1:1
	ds_load_2addr_b64 v[12:15], v20 offset0:2 offset1:3
	ds_load_2addr_b64 v[16:19], v20 offset0:4 offset1:5
	;; [unrolled: 1-line block ×3, first 2 shown]
	s_waitcnt lgkmcnt(3)
	v_cmp_gt_i64_e32 vcc_lo, v[4:5], v[8:9]
	v_cndmask_b32_e64 v8, 0, 1, vcc_lo
	v_cmp_gt_i64_e32 vcc_lo, v[4:5], v[10:11]
	v_cndmask_b32_e64 v9, 0, 1, vcc_lo
	s_waitcnt lgkmcnt(2)
	v_cmp_gt_i64_e32 vcc_lo, v[4:5], v[12:13]
	v_cndmask_b32_e64 v10, 0, 1, vcc_lo
	v_cmp_gt_i64_e32 vcc_lo, v[4:5], v[14:15]
	v_cndmask_b32_e64 v11, 0, 1, vcc_lo
	s_waitcnt lgkmcnt(1)
	v_cmp_gt_i64_e32 vcc_lo, v[4:5], v[16:17]
	v_cndmask_b32_e64 v12, 0, 1, vcc_lo
	v_add_co_u32 v6, vcc_lo, v6, v8
	v_add_co_ci_u32_e32 v7, vcc_lo, 0, v7, vcc_lo
	v_cmp_gt_i64_e32 vcc_lo, v[4:5], v[18:19]
	s_delay_alu instid0(VALU_DEP_3) | instskip(NEXT) | instid1(VALU_DEP_1)
	v_add_co_u32 v6, s0, v6, v9
	v_add_co_ci_u32_e64 v7, s0, 0, v7, s0
	v_cndmask_b32_e64 v8, 0, 1, vcc_lo
	s_delay_alu instid0(VALU_DEP_3) | instskip(NEXT) | instid1(VALU_DEP_3)
	v_add_co_u32 v6, vcc_lo, v6, v10
	v_add_co_ci_u32_e32 v7, vcc_lo, 0, v7, vcc_lo
	s_waitcnt lgkmcnt(0)
	v_cmp_gt_i64_e32 vcc_lo, v[4:5], v[20:21]
	s_delay_alu instid0(VALU_DEP_3) | instskip(NEXT) | instid1(VALU_DEP_1)
	v_add_co_u32 v6, s0, v6, v11
	v_add_co_ci_u32_e64 v7, s0, 0, v7, s0
	v_cndmask_b32_e64 v9, 0, 1, vcc_lo
	s_delay_alu instid0(VALU_DEP_3) | instskip(NEXT) | instid1(VALU_DEP_3)
	v_add_co_u32 v6, vcc_lo, v6, v12
	v_add_co_ci_u32_e32 v7, vcc_lo, 0, v7, vcc_lo
	v_cmp_gt_i64_e32 vcc_lo, v[4:5], v[22:23]
	s_delay_alu instid0(VALU_DEP_3) | instskip(NEXT) | instid1(VALU_DEP_1)
	v_add_co_u32 v6, s0, v6, v8
	v_add_co_ci_u32_e64 v7, s0, 0, v7, s0
	v_cndmask_b32_e64 v8, 0, 1, vcc_lo
	s_delay_alu instid0(VALU_DEP_3) | instskip(NEXT) | instid1(VALU_DEP_3)
	v_add_co_u32 v6, vcc_lo, v6, v9
	v_add_co_ci_u32_e32 v7, vcc_lo, 0, v7, vcc_lo
	s_delay_alu instid0(VALU_DEP_2) | instskip(NEXT) | instid1(VALU_DEP_2)
	v_add_co_u32 v6, vcc_lo, v6, v8
	v_add_co_ci_u32_e32 v7, vcc_lo, 0, v7, vcc_lo
	s_cbranch_scc0 .LBB126_91
; %bb.92:                               ;   in Loop: Header=BB126_89 Depth=1
	s_mov_b64 s[0:1], s[2:3]
.LBB126_93:                             ;   in Loop: Header=BB126_89 Depth=1
	s_and_not1_b32 vcc_lo, exec_lo, s13
	s_cbranch_vccnz .LBB126_88
; %bb.94:                               ;   in Loop: Header=BB126_89 Depth=1
	s_lshl_b32 s0, s0, 3
	s_delay_alu instid0(SALU_CYCLE_1)
	s_add_i32 s10, s0, 0
	s_mov_b64 s[0:1], s[6:7]
.LBB126_95:                             ;   Parent Loop BB126_89 Depth=1
                                        ; =>  This Inner Loop Header: Depth=2
	v_mov_b32_e32 v8, s10
	s_add_i32 s10, s10, 8
	s_add_u32 s0, s0, -1
	s_addc_u32 s1, s1, -1
	s_delay_alu instid0(SALU_CYCLE_1) | instskip(SKIP_4) | instid1(VALU_DEP_1)
	s_cmp_lg_u64 s[0:1], 0
	ds_load_b64 v[8:9], v8
	s_waitcnt lgkmcnt(0)
	v_cmp_gt_i64_e32 vcc_lo, v[4:5], v[8:9]
	v_cndmask_b32_e64 v8, 0, 1, vcc_lo
	v_add_co_u32 v6, vcc_lo, v6, v8
	v_add_co_ci_u32_e32 v7, vcc_lo, 0, v7, vcc_lo
	s_cbranch_scc1 .LBB126_95
	s_branch .LBB126_88
.LBB126_96:
	s_nop 0
	s_sendmsg sendmsg(MSG_DEALLOC_VGPRS)
	s_endpgm
	.section	.rodata,"a",@progbits
	.p2align	6, 0x0
	.amdhsa_kernel _ZN9rocsparseL41csrgemm_numeric_fill_block_per_row_kernelILj512ELj32ELj1024ELj137ELj32Ell21rocsparse_complex_numIfEEEvT5_PKS3_S5_NS_24const_host_device_scalarIT6_EEPKT4_S5_PKS7_SB_S5_SD_S8_SB_S5_SD_SB_S5_PS7_21rocsparse_index_base_SF_SF_SF_bbb
		.amdhsa_group_segment_fixed_size 0
		.amdhsa_private_segment_fixed_size 0
		.amdhsa_kernarg_size 156
		.amdhsa_user_sgpr_count 15
		.amdhsa_user_sgpr_dispatch_ptr 0
		.amdhsa_user_sgpr_queue_ptr 0
		.amdhsa_user_sgpr_kernarg_segment_ptr 1
		.amdhsa_user_sgpr_dispatch_id 0
		.amdhsa_user_sgpr_private_segment_size 0
		.amdhsa_wavefront_size32 1
		.amdhsa_uses_dynamic_stack 0
		.amdhsa_enable_private_segment 0
		.amdhsa_system_sgpr_workgroup_id_x 1
		.amdhsa_system_sgpr_workgroup_id_y 0
		.amdhsa_system_sgpr_workgroup_id_z 0
		.amdhsa_system_sgpr_workgroup_info 0
		.amdhsa_system_vgpr_workitem_id 0
		.amdhsa_next_free_vgpr 24
		.amdhsa_next_free_sgpr 48
		.amdhsa_reserve_vcc 1
		.amdhsa_float_round_mode_32 0
		.amdhsa_float_round_mode_16_64 0
		.amdhsa_float_denorm_mode_32 3
		.amdhsa_float_denorm_mode_16_64 3
		.amdhsa_dx10_clamp 1
		.amdhsa_ieee_mode 1
		.amdhsa_fp16_overflow 0
		.amdhsa_workgroup_processor_mode 1
		.amdhsa_memory_ordered 1
		.amdhsa_forward_progress 0
		.amdhsa_shared_vgpr_count 0
		.amdhsa_exception_fp_ieee_invalid_op 0
		.amdhsa_exception_fp_denorm_src 0
		.amdhsa_exception_fp_ieee_div_zero 0
		.amdhsa_exception_fp_ieee_overflow 0
		.amdhsa_exception_fp_ieee_underflow 0
		.amdhsa_exception_fp_ieee_inexact 0
		.amdhsa_exception_int_div_zero 0
	.end_amdhsa_kernel
	.section	.text._ZN9rocsparseL41csrgemm_numeric_fill_block_per_row_kernelILj512ELj32ELj1024ELj137ELj32Ell21rocsparse_complex_numIfEEEvT5_PKS3_S5_NS_24const_host_device_scalarIT6_EEPKT4_S5_PKS7_SB_S5_SD_S8_SB_S5_SD_SB_S5_PS7_21rocsparse_index_base_SF_SF_SF_bbb,"axG",@progbits,_ZN9rocsparseL41csrgemm_numeric_fill_block_per_row_kernelILj512ELj32ELj1024ELj137ELj32Ell21rocsparse_complex_numIfEEEvT5_PKS3_S5_NS_24const_host_device_scalarIT6_EEPKT4_S5_PKS7_SB_S5_SD_S8_SB_S5_SD_SB_S5_PS7_21rocsparse_index_base_SF_SF_SF_bbb,comdat
.Lfunc_end126:
	.size	_ZN9rocsparseL41csrgemm_numeric_fill_block_per_row_kernelILj512ELj32ELj1024ELj137ELj32Ell21rocsparse_complex_numIfEEEvT5_PKS3_S5_NS_24const_host_device_scalarIT6_EEPKT4_S5_PKS7_SB_S5_SD_S8_SB_S5_SD_SB_S5_PS7_21rocsparse_index_base_SF_SF_SF_bbb, .Lfunc_end126-_ZN9rocsparseL41csrgemm_numeric_fill_block_per_row_kernelILj512ELj32ELj1024ELj137ELj32Ell21rocsparse_complex_numIfEEEvT5_PKS3_S5_NS_24const_host_device_scalarIT6_EEPKT4_S5_PKS7_SB_S5_SD_S8_SB_S5_SD_SB_S5_PS7_21rocsparse_index_base_SF_SF_SF_bbb
                                        ; -- End function
	.section	.AMDGPU.csdata,"",@progbits
; Kernel info:
; codeLenInByte = 3584
; NumSgprs: 50
; NumVgprs: 24
; ScratchSize: 0
; MemoryBound: 0
; FloatMode: 240
; IeeeMode: 1
; LDSByteSize: 0 bytes/workgroup (compile time only)
; SGPRBlocks: 6
; VGPRBlocks: 2
; NumSGPRsForWavesPerEU: 50
; NumVGPRsForWavesPerEU: 24
; Occupancy: 16
; WaveLimiterHint : 1
; COMPUTE_PGM_RSRC2:SCRATCH_EN: 0
; COMPUTE_PGM_RSRC2:USER_SGPR: 15
; COMPUTE_PGM_RSRC2:TRAP_HANDLER: 0
; COMPUTE_PGM_RSRC2:TGID_X_EN: 1
; COMPUTE_PGM_RSRC2:TGID_Y_EN: 0
; COMPUTE_PGM_RSRC2:TGID_Z_EN: 0
; COMPUTE_PGM_RSRC2:TIDIG_COMP_CNT: 0
	.section	.text._ZN9rocsparseL41csrgemm_numeric_fill_block_per_row_kernelILj512ELj32ELj1024ELj137ELj64Ell21rocsparse_complex_numIfEEEvT5_PKS3_S5_NS_24const_host_device_scalarIT6_EEPKT4_S5_PKS7_SB_S5_SD_S8_SB_S5_SD_SB_S5_PS7_21rocsparse_index_base_SF_SF_SF_bbb,"axG",@progbits,_ZN9rocsparseL41csrgemm_numeric_fill_block_per_row_kernelILj512ELj32ELj1024ELj137ELj64Ell21rocsparse_complex_numIfEEEvT5_PKS3_S5_NS_24const_host_device_scalarIT6_EEPKT4_S5_PKS7_SB_S5_SD_S8_SB_S5_SD_SB_S5_PS7_21rocsparse_index_base_SF_SF_SF_bbb,comdat
	.globl	_ZN9rocsparseL41csrgemm_numeric_fill_block_per_row_kernelILj512ELj32ELj1024ELj137ELj64Ell21rocsparse_complex_numIfEEEvT5_PKS3_S5_NS_24const_host_device_scalarIT6_EEPKT4_S5_PKS7_SB_S5_SD_S8_SB_S5_SD_SB_S5_PS7_21rocsparse_index_base_SF_SF_SF_bbb ; -- Begin function _ZN9rocsparseL41csrgemm_numeric_fill_block_per_row_kernelILj512ELj32ELj1024ELj137ELj64Ell21rocsparse_complex_numIfEEEvT5_PKS3_S5_NS_24const_host_device_scalarIT6_EEPKT4_S5_PKS7_SB_S5_SD_S8_SB_S5_SD_SB_S5_PS7_21rocsparse_index_base_SF_SF_SF_bbb
	.p2align	8
	.type	_ZN9rocsparseL41csrgemm_numeric_fill_block_per_row_kernelILj512ELj32ELj1024ELj137ELj64Ell21rocsparse_complex_numIfEEEvT5_PKS3_S5_NS_24const_host_device_scalarIT6_EEPKT4_S5_PKS7_SB_S5_SD_S8_SB_S5_SD_SB_S5_PS7_21rocsparse_index_base_SF_SF_SF_bbb,@function
_ZN9rocsparseL41csrgemm_numeric_fill_block_per_row_kernelILj512ELj32ELj1024ELj137ELj64Ell21rocsparse_complex_numIfEEEvT5_PKS3_S5_NS_24const_host_device_scalarIT6_EEPKT4_S5_PKS7_SB_S5_SD_S8_SB_S5_SD_SB_S5_PS7_21rocsparse_index_base_SF_SF_SF_bbb: ; @_ZN9rocsparseL41csrgemm_numeric_fill_block_per_row_kernelILj512ELj32ELj1024ELj137ELj64Ell21rocsparse_complex_numIfEEEvT5_PKS3_S5_NS_24const_host_device_scalarIT6_EEPKT4_S5_PKS7_SB_S5_SD_S8_SB_S5_SD_SB_S5_PS7_21rocsparse_index_base_SF_SF_SF_bbb
; %bb.0:
	s_mov_b32 s38, s15
	s_clause 0x7
	s_load_b32 s33, s[0:1], 0x98
	s_load_b64 s[36:37], s[0:1], 0x70
	s_load_b128 s[24:27], s[0:1], 0x60
	s_load_b256 s[4:11], s[0:1], 0x40
	s_load_b128 s[28:31], s[0:1], 0x8
	s_load_b256 s[12:19], s[0:1], 0x20
	s_load_b64 s[34:35], s[0:1], 0x80
	s_load_b128 s[20:23], s[0:1], 0x88
	s_mov_b32 s3, 0
	s_mov_b32 s40, 0
	s_waitcnt lgkmcnt(0)
	s_bitcmp1_b32 s33, 0
	s_cselect_b32 s42, -1, 0
	s_bitcmp1_b32 s33, 16
	s_cselect_b32 s2, -1, 0
	s_delay_alu instid0(SALU_CYCLE_1) | instskip(SKIP_2) | instid1(VALU_DEP_1)
	s_xor_b32 s39, s2, -1
	s_bitcmp0_b32 s33, 0
	v_cndmask_b32_e64 v1, 0, 1, s39
	v_cmp_ne_u32_e32 vcc_lo, 1, v1
	s_cbranch_scc1 .LBB127_5
; %bb.1:
	s_load_b64 s[2:3], s[0:1], 0x18
	s_and_b32 vcc_lo, exec_lo, vcc_lo
	s_waitcnt lgkmcnt(0)
	s_mov_b32 s40, s2
	s_cbranch_vccnz .LBB127_3
; %bb.2:
	s_load_b32 s40, s[2:3], 0x0
.LBB127_3:
	s_and_not1_b32 vcc_lo, exec_lo, s39
	s_cbranch_vccnz .LBB127_5
; %bb.4:
	s_load_b32 s3, s[2:3], 0x4
.LBB127_5:
	s_bitcmp1_b32 s33, 8
	s_cselect_b32 s41, -1, 0
	s_bfe_u32 s2, s33, 0x10008
	s_mov_b32 s33, 0
	s_cmp_eq_u32 s2, 0
	s_mov_b32 s2, 0
	s_cbranch_scc1 .LBB127_11
; %bb.6:
	v_cmp_ne_u32_e32 vcc_lo, 1, v1
	s_mov_b32 s2, s8
	s_cbranch_vccnz .LBB127_8
; %bb.7:
	s_load_b32 s2, s[8:9], 0x0
.LBB127_8:
	v_cmp_ne_u32_e32 vcc_lo, 1, v1
	s_cbranch_vccnz .LBB127_10
; %bb.9:
	s_load_b32 s9, s[8:9], 0x4
.LBB127_10:
	s_waitcnt lgkmcnt(0)
	s_mov_b32 s33, s9
.LBB127_11:
	s_load_b64 s[8:9], s[0:1], 0x0
	v_lshl_add_u32 v12, v0, 3, 0
	v_or_b32_e32 v13, 0xfffffe00, v0
	v_mov_b32_e32 v3, 0
	s_mov_b32 s0, 0
	s_delay_alu instid0(VALU_DEP_2)
	v_dual_mov_b32 v4, v12 :: v_dual_mov_b32 v5, v13
	s_waitcnt lgkmcnt(0)
	v_dual_mov_b32 v1, s8 :: v_dual_mov_b32 v2, s9
.LBB127_12:                             ; =>This Inner Loop Header: Depth=1
	s_delay_alu instid0(VALU_DEP_2) | instskip(NEXT) | instid1(VALU_DEP_1)
	v_add_co_u32 v5, s1, 0x200, v5
	s_xor_b32 s1, s1, -1
	v_add_nc_u32_e32 v6, 0x2000, v4
	ds_store_b64 v4, v[1:2]
	v_add_nc_u32_e32 v4, 0x1000, v4
	s_and_b32 s1, exec_lo, s1
	ds_store_2addr_b32 v6, v3, v3 offset1:1
	s_or_b32 s0, s1, s0
	s_delay_alu instid0(SALU_CYCLE_1)
	s_and_not1_b32 exec_lo, exec_lo, s0
	s_cbranch_execnz .LBB127_12
; %bb.13:
	s_or_b32 exec_lo, exec_lo, s0
	s_waitcnt lgkmcnt(0)
	s_barrier
	buffer_gl0_inv
	s_load_b64 s[0:1], s[28:29], 0x0
	s_mov_b32 s39, 0
	s_waitcnt lgkmcnt(0)
	s_lshl_b64 s[0:1], s[0:1], 3
	s_delay_alu instid0(SALU_CYCLE_1) | instskip(SKIP_2) | instid1(SALU_CYCLE_1)
	s_add_u32 s28, s30, s0
	s_addc_u32 s29, s31, s1
	s_lshl_b64 s[0:1], s[38:39], 3
	s_add_u32 s0, s28, s0
	s_addc_u32 s1, s29, s1
	s_and_b32 vcc_lo, exec_lo, s42
	s_load_b64 s[28:29], s[0:1], 0x0
	s_cbranch_vccz .LBB127_33
; %bb.14:
	s_waitcnt lgkmcnt(0)
	s_lshl_b64 s[0:1], s[28:29], 3
	v_lshrrev_b32_e32 v1, 5, v0
	s_add_u32 s0, s12, s0
	s_addc_u32 s1, s13, s1
	s_mov_b32 s12, exec_lo
	s_load_b128 s[44:47], s[0:1], 0x0
	v_sub_co_u32 v1, s0, v1, s20
	s_delay_alu instid0(VALU_DEP_1) | instskip(SKIP_1) | instid1(VALU_DEP_2)
	v_sub_co_ci_u32_e64 v2, null, 0, 0, s0
	s_waitcnt lgkmcnt(0)
	v_add_co_u32 v1, vcc_lo, s44, v1
	s_delay_alu instid0(VALU_DEP_2)
	v_add_co_ci_u32_e32 v2, vcc_lo, s45, v2, vcc_lo
	s_sub_u32 s0, s46, s20
	s_subb_u32 s1, s47, 0
	s_delay_alu instid0(VALU_DEP_1) | instid1(SALU_CYCLE_1)
	v_cmpx_gt_i64_e64 s[0:1], v[1:2]
	s_cbranch_execz .LBB127_32
; %bb.15:
	v_and_b32_e32 v3, 31, v0
	s_delay_alu instid0(VALU_DEP_1) | instskip(NEXT) | instid1(VALU_DEP_1)
	v_sub_co_u32 v11, s13, v3, s21
	v_sub_co_ci_u32_e64 v14, null, 0, 0, s13
	s_mov_b32 s13, 0
	s_branch .LBB127_17
.LBB127_16:                             ;   in Loop: Header=BB127_17 Depth=1
	s_or_b32 exec_lo, exec_lo, s30
	v_add_co_u32 v1, vcc_lo, v1, 16
	v_add_co_ci_u32_e32 v2, vcc_lo, 0, v2, vcc_lo
	s_delay_alu instid0(VALU_DEP_1) | instskip(SKIP_1) | instid1(SALU_CYCLE_1)
	v_cmp_le_i64_e32 vcc_lo, s[0:1], v[1:2]
	s_or_b32 s13, vcc_lo, s13
	s_and_not1_b32 exec_lo, exec_lo, s13
	s_cbranch_execz .LBB127_32
.LBB127_17:                             ; =>This Loop Header: Depth=1
                                        ;     Child Loop BB127_20 Depth 2
                                        ;       Child Loop BB127_22 Depth 3
	v_lshlrev_b64 v[7:8], 3, v[1:2]
	s_mov_b32 s30, exec_lo
	s_delay_alu instid0(VALU_DEP_1) | instskip(NEXT) | instid1(VALU_DEP_2)
	v_add_co_u32 v3, vcc_lo, s14, v7
	v_add_co_ci_u32_e32 v4, vcc_lo, s15, v8, vcc_lo
	global_load_b64 v[3:4], v[3:4], off
	s_waitcnt vmcnt(0)
	v_sub_co_u32 v3, vcc_lo, v3, s20
	v_subrev_co_ci_u32_e32 v4, vcc_lo, 0, v4, vcc_lo
	s_delay_alu instid0(VALU_DEP_1) | instskip(NEXT) | instid1(VALU_DEP_1)
	v_lshlrev_b64 v[3:4], 3, v[3:4]
	v_add_co_u32 v3, vcc_lo, s18, v3
	s_delay_alu instid0(VALU_DEP_2)
	v_add_co_ci_u32_e32 v4, vcc_lo, s19, v4, vcc_lo
	global_load_b128 v[15:18], v[3:4], off
	s_waitcnt vmcnt(0)
	v_sub_co_u32 v3, vcc_lo, v17, s21
	v_subrev_co_ci_u32_e32 v4, vcc_lo, 0, v18, vcc_lo
	v_add_co_u32 v5, vcc_lo, v15, v11
	v_add_co_ci_u32_e32 v6, vcc_lo, v16, v14, vcc_lo
	s_delay_alu instid0(VALU_DEP_1)
	v_cmpx_lt_i64_e64 v[5:6], v[3:4]
	s_cbranch_execz .LBB127_16
; %bb.18:                               ;   in Loop: Header=BB127_17 Depth=1
	v_add_co_u32 v7, vcc_lo, s16, v7
	v_add_co_ci_u32_e32 v8, vcc_lo, s17, v8, vcc_lo
	s_mov_b32 s31, 0
	global_load_b64 v[7:8], v[7:8], off
	s_waitcnt vmcnt(0)
	v_mul_f32_e64 v15, v8, -s3
	s_delay_alu instid0(VALU_DEP_1) | instskip(NEXT) | instid1(VALU_DEP_1)
	v_dual_mul_f32 v16, s40, v8 :: v_dual_fmac_f32 v15, s40, v7
	v_fmac_f32_e32 v16, s3, v7
	s_branch .LBB127_20
.LBB127_19:                             ;   in Loop: Header=BB127_20 Depth=2
	s_or_b32 exec_lo, exec_lo, s38
	v_add_co_u32 v5, vcc_lo, v5, 32
	v_add_co_ci_u32_e32 v6, vcc_lo, 0, v6, vcc_lo
	s_delay_alu instid0(VALU_DEP_1) | instskip(SKIP_1) | instid1(SALU_CYCLE_1)
	v_cmp_ge_i64_e32 vcc_lo, v[5:6], v[3:4]
	s_or_b32 s31, vcc_lo, s31
	s_and_not1_b32 exec_lo, exec_lo, s31
	s_cbranch_execz .LBB127_16
.LBB127_20:                             ;   Parent Loop BB127_17 Depth=1
                                        ; =>  This Loop Header: Depth=2
                                        ;       Child Loop BB127_22 Depth 3
	v_lshlrev_b64 v[7:8], 3, v[5:6]
	s_mov_b32 s38, 0
	s_delay_alu instid0(VALU_DEP_1) | instskip(NEXT) | instid1(VALU_DEP_2)
	v_add_co_u32 v9, vcc_lo, s4, v7
	v_add_co_ci_u32_e32 v10, vcc_lo, s5, v8, vcc_lo
	v_add_co_u32 v7, vcc_lo, s6, v7
	v_add_co_ci_u32_e32 v8, vcc_lo, s7, v8, vcc_lo
	global_load_b64 v[9:10], v[9:10], off
	global_load_b64 v[19:20], v[7:8], off
	s_waitcnt vmcnt(1)
	v_sub_co_u32 v7, vcc_lo, v9, s21
	v_subrev_co_ci_u32_e32 v8, vcc_lo, 0, v10, vcc_lo
	s_waitcnt vmcnt(0)
	v_mul_f32_e64 v17, v20, -v16
	s_delay_alu instid0(VALU_DEP_3) | instskip(SKIP_1) | instid1(VALU_DEP_3)
	v_mul_lo_u32 v9, 0x89, v7
	v_mul_f32_e32 v18, v15, v20
	v_fmac_f32_e32 v17, v15, v19
	s_delay_alu instid0(VALU_DEP_2)
	v_dual_fmac_f32 v18, v16, v19 :: v_dual_and_b32 v19, 0x3ff, v9
	s_branch .LBB127_22
.LBB127_21:                             ;   in Loop: Header=BB127_22 Depth=3
	s_or_b32 exec_lo, exec_lo, s39
	s_xor_b32 s39, s42, -1
	s_delay_alu instid0(SALU_CYCLE_1) | instskip(NEXT) | instid1(SALU_CYCLE_1)
	s_and_b32 s39, exec_lo, s39
	s_or_b32 s38, s39, s38
	s_delay_alu instid0(SALU_CYCLE_1)
	s_and_not1_b32 exec_lo, exec_lo, s38
	s_cbranch_execz .LBB127_19
.LBB127_22:                             ;   Parent Loop BB127_17 Depth=1
                                        ;     Parent Loop BB127_20 Depth=2
                                        ; =>    This Inner Loop Header: Depth=3
	s_delay_alu instid0(VALU_DEP_1)
	v_lshl_add_u32 v20, v19, 3, 0
	s_mov_b32 s39, exec_lo
                                        ; implicit-def: $sgpr42
	ds_load_b64 v[9:10], v20
	s_waitcnt lgkmcnt(0)
	v_cmpx_ne_u64_e64 v[9:10], v[7:8]
	s_xor_b32 s39, exec_lo, s39
	s_cbranch_execz .LBB127_30
; %bb.23:                               ;   in Loop: Header=BB127_22 Depth=3
	s_mov_b32 s43, exec_lo
                                        ; implicit-def: $sgpr42
	v_cmpx_ne_u64_e64 s[8:9], v[9:10]
	s_xor_b32 s43, exec_lo, s43
; %bb.24:                               ;   in Loop: Header=BB127_22 Depth=3
	v_add_nc_u32_e32 v9, 1, v19
	s_mov_b32 s42, -1
                                        ; implicit-def: $vgpr20
	s_delay_alu instid0(VALU_DEP_1)
	v_and_b32_e32 v19, 0x3ff, v9
; %bb.25:                               ;   in Loop: Header=BB127_22 Depth=3
	s_and_not1_saveexec_b32 s43, s43
	s_cbranch_execz .LBB127_29
; %bb.26:                               ;   in Loop: Header=BB127_22 Depth=3
	v_dual_mov_b32 v10, s9 :: v_dual_mov_b32 v9, s8
	s_mov_b32 s44, -1
	s_mov_b32 s45, exec_lo
	ds_cmpstore_rtn_b64 v[9:10], v20, v[7:8], v[9:10]
	s_waitcnt lgkmcnt(0)
	v_cmpx_eq_u64_e64 s[8:9], v[9:10]
	s_cbranch_execz .LBB127_28
; %bb.27:                               ;   in Loop: Header=BB127_22 Depth=3
	ds_add_f32 v20, v17 offset:8192
	ds_add_f32 v20, v18 offset:8196
	s_xor_b32 s44, exec_lo, -1
.LBB127_28:                             ;   in Loop: Header=BB127_22 Depth=3
	s_or_b32 exec_lo, exec_lo, s45
	s_delay_alu instid0(SALU_CYCLE_1) | instskip(SKIP_1) | instid1(SALU_CYCLE_1)
	s_and_not1_b32 s42, s42, exec_lo
	s_and_b32 s44, s44, exec_lo
	s_or_b32 s42, s42, s44
.LBB127_29:                             ;   in Loop: Header=BB127_22 Depth=3
	s_or_b32 exec_lo, exec_lo, s43
	s_delay_alu instid0(SALU_CYCLE_1)
	s_and_b32 s42, s42, exec_lo
                                        ; implicit-def: $vgpr20
.LBB127_30:                             ;   in Loop: Header=BB127_22 Depth=3
	s_and_not1_saveexec_b32 s39, s39
	s_cbranch_execz .LBB127_21
; %bb.31:                               ;   in Loop: Header=BB127_22 Depth=3
	ds_add_f32 v20, v17 offset:8192
	ds_add_f32 v20, v18 offset:8196
	s_and_not1_b32 s42, s42, exec_lo
	s_branch .LBB127_21
.LBB127_32:
	s_or_b32 exec_lo, exec_lo, s12
.LBB127_33:
	s_delay_alu instid0(SALU_CYCLE_1)
	s_and_not1_b32 vcc_lo, exec_lo, s41
	s_cbranch_vccnz .LBB127_50
; %bb.34:
	s_waitcnt lgkmcnt(0)
	s_lshl_b64 s[0:1], s[28:29], 3
	s_mov_b32 s3, 0
	s_add_u32 s0, s10, s0
	s_addc_u32 s1, s11, s1
	s_load_b128 s[4:7], s[0:1], 0x0
	v_sub_co_u32 v1, s0, v0, s23
	s_delay_alu instid0(VALU_DEP_1) | instskip(SKIP_1) | instid1(VALU_DEP_2)
	v_sub_co_ci_u32_e64 v2, null, 0, 0, s0
	s_waitcnt lgkmcnt(0)
	v_add_co_u32 v1, vcc_lo, s4, v1
	s_delay_alu instid0(VALU_DEP_2) | instskip(SKIP_3) | instid1(VALU_DEP_1)
	v_add_co_ci_u32_e32 v2, vcc_lo, s5, v2, vcc_lo
	s_sub_u32 s0, s6, s23
	s_subb_u32 s1, s7, 0
	s_mov_b32 s4, exec_lo
	v_cmpx_gt_i64_e64 s[0:1], v[1:2]
	s_cbranch_execz .LBB127_49
; %bb.35:
	s_mov_b32 s5, s23
	s_branch .LBB127_37
.LBB127_36:                             ;   in Loop: Header=BB127_37 Depth=1
	s_or_b32 exec_lo, exec_lo, s6
	v_add_co_u32 v1, vcc_lo, 0x200, v1
	v_add_co_ci_u32_e32 v2, vcc_lo, 0, v2, vcc_lo
	s_delay_alu instid0(VALU_DEP_1) | instskip(SKIP_1) | instid1(SALU_CYCLE_1)
	v_cmp_le_i64_e32 vcc_lo, s[0:1], v[1:2]
	s_or_b32 s3, vcc_lo, s3
	s_and_not1_b32 exec_lo, exec_lo, s3
	s_cbranch_execz .LBB127_49
.LBB127_37:                             ; =>This Loop Header: Depth=1
                                        ;     Child Loop BB127_39 Depth 2
	v_lshlrev_b64 v[3:4], 3, v[1:2]
	s_mov_b32 s6, 0
	s_delay_alu instid0(VALU_DEP_1) | instskip(NEXT) | instid1(VALU_DEP_2)
	v_add_co_u32 v5, vcc_lo, s24, v3
	v_add_co_ci_u32_e32 v6, vcc_lo, s25, v4, vcc_lo
	v_add_co_u32 v3, vcc_lo, s26, v3
	v_add_co_ci_u32_e32 v4, vcc_lo, s27, v4, vcc_lo
	global_load_b64 v[5:6], v[5:6], off
	global_load_b64 v[9:10], v[3:4], off
	s_waitcnt vmcnt(1)
	v_sub_co_u32 v3, vcc_lo, v5, s5
	v_subrev_co_ci_u32_e32 v4, vcc_lo, 0, v6, vcc_lo
	s_waitcnt vmcnt(0)
	v_mul_f32_e64 v7, v10, -s33
	s_delay_alu instid0(VALU_DEP_3) | instskip(NEXT) | instid1(VALU_DEP_2)
	v_mul_lo_u32 v5, 0x89, v3
	v_dual_mul_f32 v8, s2, v10 :: v_dual_fmac_f32 v7, s2, v9
	s_delay_alu instid0(VALU_DEP_1) | instskip(NEXT) | instid1(VALU_DEP_3)
	v_fmac_f32_e32 v8, s33, v9
	v_and_b32_e32 v9, 0x3ff, v5
	s_branch .LBB127_39
.LBB127_38:                             ;   in Loop: Header=BB127_39 Depth=2
	s_or_b32 exec_lo, exec_lo, s7
	s_xor_b32 s7, s10, -1
	s_delay_alu instid0(SALU_CYCLE_1) | instskip(NEXT) | instid1(SALU_CYCLE_1)
	s_and_b32 s7, exec_lo, s7
	s_or_b32 s6, s7, s6
	s_delay_alu instid0(SALU_CYCLE_1)
	s_and_not1_b32 exec_lo, exec_lo, s6
	s_cbranch_execz .LBB127_36
.LBB127_39:                             ;   Parent Loop BB127_37 Depth=1
                                        ; =>  This Inner Loop Header: Depth=2
	s_delay_alu instid0(VALU_DEP_1)
	v_lshl_add_u32 v10, v9, 3, 0
	s_mov_b32 s7, exec_lo
                                        ; implicit-def: $sgpr10
	ds_load_b64 v[5:6], v10
	s_waitcnt lgkmcnt(0)
	v_cmpx_ne_u64_e64 v[5:6], v[3:4]
	s_xor_b32 s7, exec_lo, s7
	s_cbranch_execz .LBB127_47
; %bb.40:                               ;   in Loop: Header=BB127_39 Depth=2
	s_mov_b32 s11, exec_lo
                                        ; implicit-def: $sgpr10
	v_cmpx_ne_u64_e64 s[8:9], v[5:6]
	s_xor_b32 s11, exec_lo, s11
; %bb.41:                               ;   in Loop: Header=BB127_39 Depth=2
	v_add_nc_u32_e32 v5, 1, v9
	s_mov_b32 s10, -1
                                        ; implicit-def: $vgpr10
	s_delay_alu instid0(VALU_DEP_1)
	v_and_b32_e32 v9, 0x3ff, v5
; %bb.42:                               ;   in Loop: Header=BB127_39 Depth=2
	s_and_not1_saveexec_b32 s11, s11
	s_cbranch_execz .LBB127_46
; %bb.43:                               ;   in Loop: Header=BB127_39 Depth=2
	v_dual_mov_b32 v5, s8 :: v_dual_mov_b32 v6, s9
	s_mov_b32 s12, -1
	s_mov_b32 s13, exec_lo
	ds_cmpstore_rtn_b64 v[5:6], v10, v[3:4], v[5:6]
	s_waitcnt lgkmcnt(0)
	v_cmpx_eq_u64_e64 s[8:9], v[5:6]
	s_cbranch_execz .LBB127_45
; %bb.44:                               ;   in Loop: Header=BB127_39 Depth=2
	ds_add_f32 v10, v7 offset:8192
	ds_add_f32 v10, v8 offset:8196
	s_xor_b32 s12, exec_lo, -1
.LBB127_45:                             ;   in Loop: Header=BB127_39 Depth=2
	s_or_b32 exec_lo, exec_lo, s13
	s_delay_alu instid0(SALU_CYCLE_1) | instskip(SKIP_1) | instid1(SALU_CYCLE_1)
	s_and_not1_b32 s10, s10, exec_lo
	s_and_b32 s12, s12, exec_lo
	s_or_b32 s10, s10, s12
.LBB127_46:                             ;   in Loop: Header=BB127_39 Depth=2
	s_or_b32 exec_lo, exec_lo, s11
	s_delay_alu instid0(SALU_CYCLE_1)
	s_and_b32 s10, s10, exec_lo
                                        ; implicit-def: $vgpr10
.LBB127_47:                             ;   in Loop: Header=BB127_39 Depth=2
	s_and_not1_saveexec_b32 s7, s7
	s_cbranch_execz .LBB127_38
; %bb.48:                               ;   in Loop: Header=BB127_39 Depth=2
	ds_add_f32 v10, v7 offset:8192
	ds_add_f32 v10, v8 offset:8196
	s_and_not1_b32 s10, s10, exec_lo
	s_branch .LBB127_38
.LBB127_49:
	s_or_b32 exec_lo, exec_lo, s4
.LBB127_50:
	v_mbcnt_lo_u32_b32 v1, -1, 0
	v_lshrrev_b32_e32 v2, 3, v0
	v_cmp_eq_u32_e32 vcc_lo, 0x1ff, v0
	v_cmp_lt_u32_e64 s0, 63, v0
	v_cmp_lt_u32_e64 s1, 0x7f, v0
	v_xor_b32_e32 v1, 63, v1
	v_and_b32_e32 v3, 56, v2
	v_cmp_lt_u32_e64 s2, 0xbf, v0
	v_cmp_lt_u32_e64 s3, 0xff, v0
	v_cmp_lt_u32_e64 s4, 0x13f, v0
	v_lshrrev_b64 v[1:2], v1, -1
	v_add_nc_u32_e32 v14, 0, v3
	v_dual_mov_b32 v2, 0 :: v_dual_mov_b32 v5, 0
	v_cmp_lt_u32_e64 s5, 0x17f, v0
	v_cmp_lt_u32_e64 s6, 0x1bf, v0
	v_mov_b32_e32 v3, 0
	s_mov_b32 s10, 0
	s_waitcnt lgkmcnt(0)
	s_barrier
	buffer_gl0_inv
	s_branch .LBB127_52
.LBB127_51:                             ;   in Loop: Header=BB127_52 Depth=1
	s_or_b32 exec_lo, exec_lo, s7
	s_waitcnt lgkmcnt(0)
	s_barrier
	buffer_gl0_inv
	ds_load_b64 v[6:7], v5 offset:16440
	v_add_co_u32 v13, s7, 0x200, v13
	s_delay_alu instid0(VALU_DEP_1) | instskip(SKIP_3) | instid1(VALU_DEP_1)
	s_xor_b32 s11, s7, -1
	v_add_nc_u32_e32 v12, 0x1000, v12
	s_waitcnt lgkmcnt(0)
	v_add_co_u32 v2, s7, v6, v2
	v_add_co_ci_u32_e64 v3, s7, v7, v3, s7
	s_and_b32 s7, exec_lo, s11
	s_delay_alu instid0(SALU_CYCLE_1) | instskip(NEXT) | instid1(SALU_CYCLE_1)
	s_or_b32 s10, s7, s10
	s_and_not1_b32 exec_lo, exec_lo, s10
	s_cbranch_execz .LBB127_70
.LBB127_52:                             ; =>This Inner Loop Header: Depth=1
	ds_load_b64 v[6:7], v12
	v_add_nc_u32_e32 v4, 0x2000, v12
	ds_load_2addr_b32 v[8:9], v4 offset1:1
	s_waitcnt lgkmcnt(0)
	s_barrier
	buffer_gl0_inv
	v_cmp_gt_i64_e64 s7, s[8:9], v[6:7]
	s_delay_alu instid0(VALU_DEP_1) | instskip(SKIP_1) | instid1(SALU_CYCLE_1)
	v_and_b32_e32 v10, s7, v1
	s_bcnt1_i32_b32 s11, s7
	v_mov_b32_e32 v4, s11
	s_delay_alu instid0(VALU_DEP_2)
	v_bcnt_u32_b32 v10, v10, 0
	ds_store_b64 v14, v[4:5] offset:16384
	s_waitcnt lgkmcnt(0)
	s_barrier
	buffer_gl0_inv
	s_and_saveexec_b32 s11, s0
	s_cbranch_execnz .LBB127_61
; %bb.53:                               ;   in Loop: Header=BB127_52 Depth=1
	s_or_b32 exec_lo, exec_lo, s11
	s_and_saveexec_b32 s11, s1
	s_cbranch_execnz .LBB127_62
.LBB127_54:                             ;   in Loop: Header=BB127_52 Depth=1
	s_or_b32 exec_lo, exec_lo, s11
	s_and_saveexec_b32 s11, s2
	s_cbranch_execnz .LBB127_63
.LBB127_55:                             ;   in Loop: Header=BB127_52 Depth=1
	s_or_b32 exec_lo, exec_lo, s11
	s_and_saveexec_b32 s11, s3
	s_cbranch_execnz .LBB127_64
.LBB127_56:                             ;   in Loop: Header=BB127_52 Depth=1
	s_or_b32 exec_lo, exec_lo, s11
	s_and_saveexec_b32 s11, s4
	s_cbranch_execnz .LBB127_65
.LBB127_57:                             ;   in Loop: Header=BB127_52 Depth=1
	s_or_b32 exec_lo, exec_lo, s11
	s_and_saveexec_b32 s11, s5
	s_cbranch_execnz .LBB127_66
.LBB127_58:                             ;   in Loop: Header=BB127_52 Depth=1
	s_or_b32 exec_lo, exec_lo, s11
	s_and_saveexec_b32 s11, s6
	s_cbranch_execnz .LBB127_67
.LBB127_59:                             ;   in Loop: Header=BB127_52 Depth=1
	s_or_b32 exec_lo, exec_lo, s11
	v_ashrrev_i32_e32 v11, 31, v10
	s_and_saveexec_b32 s11, s7
	s_cbranch_execnz .LBB127_68
.LBB127_60:                             ;   in Loop: Header=BB127_52 Depth=1
	s_or_b32 exec_lo, exec_lo, s11
	s_and_saveexec_b32 s7, vcc_lo
	s_cbranch_execz .LBB127_51
	s_branch .LBB127_69
.LBB127_61:                             ;   in Loop: Header=BB127_52 Depth=1
	ds_load_b32 v4, v5 offset:16384
	s_waitcnt lgkmcnt(0)
	v_add_nc_u32_e32 v10, v4, v10
	s_or_b32 exec_lo, exec_lo, s11
	s_and_saveexec_b32 s11, s1
	s_cbranch_execz .LBB127_54
.LBB127_62:                             ;   in Loop: Header=BB127_52 Depth=1
	ds_load_b32 v4, v5 offset:16392
	s_waitcnt lgkmcnt(0)
	v_add_nc_u32_e32 v10, v10, v4
	s_or_b32 exec_lo, exec_lo, s11
	s_and_saveexec_b32 s11, s2
	s_cbranch_execz .LBB127_55
.LBB127_63:                             ;   in Loop: Header=BB127_52 Depth=1
	ds_load_b32 v4, v5 offset:16400
	s_waitcnt lgkmcnt(0)
	v_add_nc_u32_e32 v10, v10, v4
	s_or_b32 exec_lo, exec_lo, s11
	s_and_saveexec_b32 s11, s3
	s_cbranch_execz .LBB127_56
.LBB127_64:                             ;   in Loop: Header=BB127_52 Depth=1
	ds_load_b32 v4, v5 offset:16408
	s_waitcnt lgkmcnt(0)
	v_add_nc_u32_e32 v10, v10, v4
	s_or_b32 exec_lo, exec_lo, s11
	s_and_saveexec_b32 s11, s4
	s_cbranch_execz .LBB127_57
.LBB127_65:                             ;   in Loop: Header=BB127_52 Depth=1
	ds_load_b32 v4, v5 offset:16416
	s_waitcnt lgkmcnt(0)
	v_add_nc_u32_e32 v10, v10, v4
	s_or_b32 exec_lo, exec_lo, s11
	s_and_saveexec_b32 s11, s5
	s_cbranch_execz .LBB127_58
.LBB127_66:                             ;   in Loop: Header=BB127_52 Depth=1
	ds_load_b32 v4, v5 offset:16424
	s_waitcnt lgkmcnt(0)
	v_add_nc_u32_e32 v10, v10, v4
	s_or_b32 exec_lo, exec_lo, s11
	s_and_saveexec_b32 s11, s6
	s_cbranch_execz .LBB127_59
.LBB127_67:                             ;   in Loop: Header=BB127_52 Depth=1
	ds_load_b32 v4, v5 offset:16432
	s_waitcnt lgkmcnt(0)
	v_add_nc_u32_e32 v10, v10, v4
	s_or_b32 exec_lo, exec_lo, s11
	s_delay_alu instid0(VALU_DEP_1)
	v_ashrrev_i32_e32 v11, 31, v10
	s_and_saveexec_b32 s11, s7
	s_cbranch_execz .LBB127_60
.LBB127_68:                             ;   in Loop: Header=BB127_52 Depth=1
	v_add3_u32 v4, v2, -1, v10
	s_delay_alu instid0(VALU_DEP_1) | instskip(NEXT) | instid1(VALU_DEP_1)
	v_lshl_add_u32 v4, v4, 3, 0
	v_add_nc_u32_e32 v15, 0x2000, v4
	ds_store_b64 v4, v[6:7]
	ds_store_2addr_b32 v15, v8, v9 offset1:1
	s_or_b32 exec_lo, exec_lo, s11
	s_and_saveexec_b32 s7, vcc_lo
	s_cbranch_execz .LBB127_51
.LBB127_69:                             ;   in Loop: Header=BB127_52 Depth=1
	ds_store_b64 v5, v[10:11] offset:16440
	s_branch .LBB127_51
.LBB127_70:
	s_or_b32 exec_lo, exec_lo, s10
	s_lshl_b64 s[0:1], s[28:29], 3
	v_mov_b32_e32 v1, 0
	s_add_u32 s0, s36, s0
	s_addc_u32 s1, s37, s1
	s_mov_b32 s6, exec_lo
	s_load_b128 s[0:3], s[0:1], 0x0
	s_waitcnt lgkmcnt(0)
	s_sub_u32 s4, s2, s0
	s_subb_u32 s5, s3, s1
	s_delay_alu instid0(SALU_CYCLE_1)
	v_cmpx_gt_i64_e64 s[4:5], v[0:1]
	s_cbranch_execz .LBB127_80
; %bb.71:
	s_sub_u32 s8, s0, s22
	s_subb_u32 s9, s1, 0
	s_and_b32 s6, s4, 7
	s_sub_u32 s0, s0, s2
	s_subb_u32 s1, s1, s3
	s_mov_b32 s7, 0
	v_cmp_lt_u64_e64 s12, s[0:1], -7
	s_and_b32 s2, s4, -8
	s_cmp_lg_u64 s[6:7], 0
	s_mov_b32 s3, s5
	s_cselect_b32 s13, -1, 0
	s_mov_b32 s14, s7
	s_branch .LBB127_73
.LBB127_72:                             ;   in Loop: Header=BB127_73 Depth=1
	v_add_co_u32 v0, vcc_lo, 0x200, v0
	v_add_co_ci_u32_e32 v1, vcc_lo, 0, v1, vcc_lo
	s_waitcnt lgkmcnt(1)
	v_lshlrev_b64 v[4:5], 3, v[6:7]
	s_delay_alu instid0(VALU_DEP_2) | instskip(NEXT) | instid1(VALU_DEP_2)
	v_cmp_le_i64_e32 vcc_lo, s[4:5], v[0:1]
	v_add_co_u32 v4, s0, s34, v4
	s_delay_alu instid0(VALU_DEP_1)
	v_add_co_ci_u32_e64 v5, s0, s35, v5, s0
	s_or_b32 s14, vcc_lo, s14
	s_waitcnt lgkmcnt(0)
	global_store_b64 v[4:5], v[2:3], off
	s_and_not1_b32 exec_lo, exec_lo, s14
	s_cbranch_execz .LBB127_80
.LBB127_73:                             ; =>This Loop Header: Depth=1
                                        ;     Child Loop BB127_75 Depth 2
                                        ;     Child Loop BB127_79 Depth 2
	v_lshl_add_u32 v2, v0, 3, 0
	s_and_not1_b32 vcc_lo, exec_lo, s12
	s_mov_b64 s[0:1], 0
	v_dual_mov_b32 v6, s8 :: v_dual_mov_b32 v7, s9
	s_delay_alu instid0(VALU_DEP_2)
	v_add_nc_u32_e32 v3, 0x2000, v2
	ds_load_b64 v[4:5], v2
	ds_load_2addr_b32 v[2:3], v3 offset1:1
	s_cbranch_vccnz .LBB127_77
; %bb.74:                               ;   in Loop: Header=BB127_73 Depth=1
	v_dual_mov_b32 v6, s8 :: v_dual_mov_b32 v7, s9
	s_mov_b64 s[10:11], 0
	s_mov_b32 s1, 0
.LBB127_75:                             ;   Parent Loop BB127_73 Depth=1
                                        ; =>  This Inner Loop Header: Depth=2
	s_delay_alu instid0(SALU_CYCLE_1)
	v_mov_b32_e32 v20, s1
	s_add_u32 s10, s10, 8
	s_addc_u32 s11, s11, 0
	s_add_i32 s1, s1, 64
	s_cmp_eq_u64 s[2:3], s[10:11]
	ds_load_2addr_b64 v[8:11], v20 offset1:1
	ds_load_2addr_b64 v[12:15], v20 offset0:2 offset1:3
	ds_load_2addr_b64 v[16:19], v20 offset0:4 offset1:5
	ds_load_2addr_b64 v[20:23], v20 offset0:6 offset1:7
	s_waitcnt lgkmcnt(3)
	v_cmp_gt_i64_e32 vcc_lo, v[4:5], v[8:9]
	v_cndmask_b32_e64 v8, 0, 1, vcc_lo
	v_cmp_gt_i64_e32 vcc_lo, v[4:5], v[10:11]
	v_cndmask_b32_e64 v9, 0, 1, vcc_lo
	s_waitcnt lgkmcnt(2)
	v_cmp_gt_i64_e32 vcc_lo, v[4:5], v[12:13]
	v_cndmask_b32_e64 v10, 0, 1, vcc_lo
	v_cmp_gt_i64_e32 vcc_lo, v[4:5], v[14:15]
	v_cndmask_b32_e64 v11, 0, 1, vcc_lo
	s_waitcnt lgkmcnt(1)
	v_cmp_gt_i64_e32 vcc_lo, v[4:5], v[16:17]
	v_cndmask_b32_e64 v12, 0, 1, vcc_lo
	v_add_co_u32 v6, vcc_lo, v6, v8
	v_add_co_ci_u32_e32 v7, vcc_lo, 0, v7, vcc_lo
	v_cmp_gt_i64_e32 vcc_lo, v[4:5], v[18:19]
	s_delay_alu instid0(VALU_DEP_3) | instskip(NEXT) | instid1(VALU_DEP_1)
	v_add_co_u32 v6, s0, v6, v9
	v_add_co_ci_u32_e64 v7, s0, 0, v7, s0
	v_cndmask_b32_e64 v8, 0, 1, vcc_lo
	s_delay_alu instid0(VALU_DEP_3) | instskip(NEXT) | instid1(VALU_DEP_3)
	v_add_co_u32 v6, vcc_lo, v6, v10
	v_add_co_ci_u32_e32 v7, vcc_lo, 0, v7, vcc_lo
	s_waitcnt lgkmcnt(0)
	v_cmp_gt_i64_e32 vcc_lo, v[4:5], v[20:21]
	s_delay_alu instid0(VALU_DEP_3) | instskip(NEXT) | instid1(VALU_DEP_1)
	v_add_co_u32 v6, s0, v6, v11
	v_add_co_ci_u32_e64 v7, s0, 0, v7, s0
	v_cndmask_b32_e64 v9, 0, 1, vcc_lo
	s_delay_alu instid0(VALU_DEP_3) | instskip(NEXT) | instid1(VALU_DEP_3)
	v_add_co_u32 v6, vcc_lo, v6, v12
	v_add_co_ci_u32_e32 v7, vcc_lo, 0, v7, vcc_lo
	v_cmp_gt_i64_e32 vcc_lo, v[4:5], v[22:23]
	s_delay_alu instid0(VALU_DEP_3) | instskip(NEXT) | instid1(VALU_DEP_1)
	v_add_co_u32 v6, s0, v6, v8
	v_add_co_ci_u32_e64 v7, s0, 0, v7, s0
	v_cndmask_b32_e64 v8, 0, 1, vcc_lo
	s_delay_alu instid0(VALU_DEP_3) | instskip(NEXT) | instid1(VALU_DEP_3)
	v_add_co_u32 v6, vcc_lo, v6, v9
	v_add_co_ci_u32_e32 v7, vcc_lo, 0, v7, vcc_lo
	s_delay_alu instid0(VALU_DEP_2) | instskip(NEXT) | instid1(VALU_DEP_2)
	v_add_co_u32 v6, vcc_lo, v6, v8
	v_add_co_ci_u32_e32 v7, vcc_lo, 0, v7, vcc_lo
	s_cbranch_scc0 .LBB127_75
; %bb.76:                               ;   in Loop: Header=BB127_73 Depth=1
	s_mov_b64 s[0:1], s[2:3]
.LBB127_77:                             ;   in Loop: Header=BB127_73 Depth=1
	s_and_not1_b32 vcc_lo, exec_lo, s13
	s_cbranch_vccnz .LBB127_72
; %bb.78:                               ;   in Loop: Header=BB127_73 Depth=1
	s_lshl_b32 s0, s0, 3
	s_delay_alu instid0(SALU_CYCLE_1)
	s_add_i32 s10, s0, 0
	s_mov_b64 s[0:1], s[6:7]
.LBB127_79:                             ;   Parent Loop BB127_73 Depth=1
                                        ; =>  This Inner Loop Header: Depth=2
	v_mov_b32_e32 v8, s10
	s_add_i32 s10, s10, 8
	s_add_u32 s0, s0, -1
	s_addc_u32 s1, s1, -1
	s_delay_alu instid0(SALU_CYCLE_1) | instskip(SKIP_4) | instid1(VALU_DEP_1)
	s_cmp_lg_u64 s[0:1], 0
	ds_load_b64 v[8:9], v8
	s_waitcnt lgkmcnt(0)
	v_cmp_gt_i64_e32 vcc_lo, v[4:5], v[8:9]
	v_cndmask_b32_e64 v8, 0, 1, vcc_lo
	v_add_co_u32 v6, vcc_lo, v6, v8
	v_add_co_ci_u32_e32 v7, vcc_lo, 0, v7, vcc_lo
	s_cbranch_scc1 .LBB127_79
	s_branch .LBB127_72
.LBB127_80:
	s_nop 0
	s_sendmsg sendmsg(MSG_DEALLOC_VGPRS)
	s_endpgm
	.section	.rodata,"a",@progbits
	.p2align	6, 0x0
	.amdhsa_kernel _ZN9rocsparseL41csrgemm_numeric_fill_block_per_row_kernelILj512ELj32ELj1024ELj137ELj64Ell21rocsparse_complex_numIfEEEvT5_PKS3_S5_NS_24const_host_device_scalarIT6_EEPKT4_S5_PKS7_SB_S5_SD_S8_SB_S5_SD_SB_S5_PS7_21rocsparse_index_base_SF_SF_SF_bbb
		.amdhsa_group_segment_fixed_size 0
		.amdhsa_private_segment_fixed_size 0
		.amdhsa_kernarg_size 156
		.amdhsa_user_sgpr_count 15
		.amdhsa_user_sgpr_dispatch_ptr 0
		.amdhsa_user_sgpr_queue_ptr 0
		.amdhsa_user_sgpr_kernarg_segment_ptr 1
		.amdhsa_user_sgpr_dispatch_id 0
		.amdhsa_user_sgpr_private_segment_size 0
		.amdhsa_wavefront_size32 1
		.amdhsa_uses_dynamic_stack 0
		.amdhsa_enable_private_segment 0
		.amdhsa_system_sgpr_workgroup_id_x 1
		.amdhsa_system_sgpr_workgroup_id_y 0
		.amdhsa_system_sgpr_workgroup_id_z 0
		.amdhsa_system_sgpr_workgroup_info 0
		.amdhsa_system_vgpr_workitem_id 0
		.amdhsa_next_free_vgpr 24
		.amdhsa_next_free_sgpr 48
		.amdhsa_reserve_vcc 1
		.amdhsa_float_round_mode_32 0
		.amdhsa_float_round_mode_16_64 0
		.amdhsa_float_denorm_mode_32 3
		.amdhsa_float_denorm_mode_16_64 3
		.amdhsa_dx10_clamp 1
		.amdhsa_ieee_mode 1
		.amdhsa_fp16_overflow 0
		.amdhsa_workgroup_processor_mode 1
		.amdhsa_memory_ordered 1
		.amdhsa_forward_progress 0
		.amdhsa_shared_vgpr_count 0
		.amdhsa_exception_fp_ieee_invalid_op 0
		.amdhsa_exception_fp_denorm_src 0
		.amdhsa_exception_fp_ieee_div_zero 0
		.amdhsa_exception_fp_ieee_overflow 0
		.amdhsa_exception_fp_ieee_underflow 0
		.amdhsa_exception_fp_ieee_inexact 0
		.amdhsa_exception_int_div_zero 0
	.end_amdhsa_kernel
	.section	.text._ZN9rocsparseL41csrgemm_numeric_fill_block_per_row_kernelILj512ELj32ELj1024ELj137ELj64Ell21rocsparse_complex_numIfEEEvT5_PKS3_S5_NS_24const_host_device_scalarIT6_EEPKT4_S5_PKS7_SB_S5_SD_S8_SB_S5_SD_SB_S5_PS7_21rocsparse_index_base_SF_SF_SF_bbb,"axG",@progbits,_ZN9rocsparseL41csrgemm_numeric_fill_block_per_row_kernelILj512ELj32ELj1024ELj137ELj64Ell21rocsparse_complex_numIfEEEvT5_PKS3_S5_NS_24const_host_device_scalarIT6_EEPKT4_S5_PKS7_SB_S5_SD_S8_SB_S5_SD_SB_S5_PS7_21rocsparse_index_base_SF_SF_SF_bbb,comdat
.Lfunc_end127:
	.size	_ZN9rocsparseL41csrgemm_numeric_fill_block_per_row_kernelILj512ELj32ELj1024ELj137ELj64Ell21rocsparse_complex_numIfEEEvT5_PKS3_S5_NS_24const_host_device_scalarIT6_EEPKT4_S5_PKS7_SB_S5_SD_S8_SB_S5_SD_SB_S5_PS7_21rocsparse_index_base_SF_SF_SF_bbb, .Lfunc_end127-_ZN9rocsparseL41csrgemm_numeric_fill_block_per_row_kernelILj512ELj32ELj1024ELj137ELj64Ell21rocsparse_complex_numIfEEEvT5_PKS3_S5_NS_24const_host_device_scalarIT6_EEPKT4_S5_PKS7_SB_S5_SD_S8_SB_S5_SD_SB_S5_PS7_21rocsparse_index_base_SF_SF_SF_bbb
                                        ; -- End function
	.section	.AMDGPU.csdata,"",@progbits
; Kernel info:
; codeLenInByte = 3172
; NumSgprs: 50
; NumVgprs: 24
; ScratchSize: 0
; MemoryBound: 0
; FloatMode: 240
; IeeeMode: 1
; LDSByteSize: 0 bytes/workgroup (compile time only)
; SGPRBlocks: 6
; VGPRBlocks: 2
; NumSGPRsForWavesPerEU: 50
; NumVGPRsForWavesPerEU: 24
; Occupancy: 16
; WaveLimiterHint : 1
; COMPUTE_PGM_RSRC2:SCRATCH_EN: 0
; COMPUTE_PGM_RSRC2:USER_SGPR: 15
; COMPUTE_PGM_RSRC2:TRAP_HANDLER: 0
; COMPUTE_PGM_RSRC2:TGID_X_EN: 1
; COMPUTE_PGM_RSRC2:TGID_Y_EN: 0
; COMPUTE_PGM_RSRC2:TGID_Z_EN: 0
; COMPUTE_PGM_RSRC2:TIDIG_COMP_CNT: 0
	.section	.text._ZN9rocsparseL41csrgemm_numeric_fill_block_per_row_kernelILj1024ELj32ELj2048ELj137ELj32Ell21rocsparse_complex_numIfEEEvT5_PKS3_S5_NS_24const_host_device_scalarIT6_EEPKT4_S5_PKS7_SB_S5_SD_S8_SB_S5_SD_SB_S5_PS7_21rocsparse_index_base_SF_SF_SF_bbb,"axG",@progbits,_ZN9rocsparseL41csrgemm_numeric_fill_block_per_row_kernelILj1024ELj32ELj2048ELj137ELj32Ell21rocsparse_complex_numIfEEEvT5_PKS3_S5_NS_24const_host_device_scalarIT6_EEPKT4_S5_PKS7_SB_S5_SD_S8_SB_S5_SD_SB_S5_PS7_21rocsparse_index_base_SF_SF_SF_bbb,comdat
	.globl	_ZN9rocsparseL41csrgemm_numeric_fill_block_per_row_kernelILj1024ELj32ELj2048ELj137ELj32Ell21rocsparse_complex_numIfEEEvT5_PKS3_S5_NS_24const_host_device_scalarIT6_EEPKT4_S5_PKS7_SB_S5_SD_S8_SB_S5_SD_SB_S5_PS7_21rocsparse_index_base_SF_SF_SF_bbb ; -- Begin function _ZN9rocsparseL41csrgemm_numeric_fill_block_per_row_kernelILj1024ELj32ELj2048ELj137ELj32Ell21rocsparse_complex_numIfEEEvT5_PKS3_S5_NS_24const_host_device_scalarIT6_EEPKT4_S5_PKS7_SB_S5_SD_S8_SB_S5_SD_SB_S5_PS7_21rocsparse_index_base_SF_SF_SF_bbb
	.p2align	8
	.type	_ZN9rocsparseL41csrgemm_numeric_fill_block_per_row_kernelILj1024ELj32ELj2048ELj137ELj32Ell21rocsparse_complex_numIfEEEvT5_PKS3_S5_NS_24const_host_device_scalarIT6_EEPKT4_S5_PKS7_SB_S5_SD_S8_SB_S5_SD_SB_S5_PS7_21rocsparse_index_base_SF_SF_SF_bbb,@function
_ZN9rocsparseL41csrgemm_numeric_fill_block_per_row_kernelILj1024ELj32ELj2048ELj137ELj32Ell21rocsparse_complex_numIfEEEvT5_PKS3_S5_NS_24const_host_device_scalarIT6_EEPKT4_S5_PKS7_SB_S5_SD_S8_SB_S5_SD_SB_S5_PS7_21rocsparse_index_base_SF_SF_SF_bbb: ; @_ZN9rocsparseL41csrgemm_numeric_fill_block_per_row_kernelILj1024ELj32ELj2048ELj137ELj32Ell21rocsparse_complex_numIfEEEvT5_PKS3_S5_NS_24const_host_device_scalarIT6_EEPKT4_S5_PKS7_SB_S5_SD_S8_SB_S5_SD_SB_S5_PS7_21rocsparse_index_base_SF_SF_SF_bbb
; %bb.0:
	s_mov_b32 s28, s15
	s_clause 0x7
	s_load_b32 s29, s[0:1], 0x98
	s_load_b64 s[40:41], s[0:1], 0x70
	s_load_b128 s[20:23], s[0:1], 0x60
	s_load_b256 s[4:11], s[0:1], 0x40
	s_load_b128 s[24:27], s[0:1], 0x8
	s_load_b256 s[12:19], s[0:1], 0x20
	s_load_b64 s[34:35], s[0:1], 0x80
	s_load_b128 s[36:39], s[0:1], 0x88
	s_mov_b32 s3, 0
	s_mov_b32 s31, 0
	s_waitcnt lgkmcnt(0)
	s_bitcmp1_b32 s29, 0
	s_cselect_b32 s46, -1, 0
	s_bitcmp1_b32 s29, 16
	s_cselect_b32 s2, -1, 0
	s_delay_alu instid0(SALU_CYCLE_1) | instskip(SKIP_2) | instid1(VALU_DEP_1)
	s_xor_b32 s30, s2, -1
	s_bitcmp0_b32 s29, 0
	v_cndmask_b32_e64 v1, 0, 1, s30
	v_cmp_ne_u32_e32 vcc_lo, 1, v1
	s_cbranch_scc1 .LBB128_5
; %bb.1:
	s_load_b64 s[2:3], s[0:1], 0x18
	s_and_b32 vcc_lo, exec_lo, vcc_lo
	s_waitcnt lgkmcnt(0)
	s_mov_b32 s31, s2
	s_cbranch_vccnz .LBB128_3
; %bb.2:
	s_load_b32 s31, s[2:3], 0x0
.LBB128_3:
	s_and_not1_b32 vcc_lo, exec_lo, s30
	s_cbranch_vccnz .LBB128_5
; %bb.4:
	s_load_b32 s3, s[2:3], 0x4
.LBB128_5:
	s_bitcmp1_b32 s29, 8
	s_mov_b32 s30, 0
	s_cselect_b32 s33, -1, 0
	s_bfe_u32 s2, s29, 0x10008
	s_delay_alu instid0(SALU_CYCLE_1)
	s_cmp_eq_u32 s2, 0
	s_mov_b32 s2, 0
	s_cbranch_scc1 .LBB128_11
; %bb.6:
	v_cmp_ne_u32_e32 vcc_lo, 1, v1
	s_mov_b32 s2, s8
	s_cbranch_vccnz .LBB128_8
; %bb.7:
	s_load_b32 s2, s[8:9], 0x0
.LBB128_8:
	v_cmp_ne_u32_e32 vcc_lo, 1, v1
	s_cbranch_vccnz .LBB128_10
; %bb.9:
	s_load_b32 s9, s[8:9], 0x4
.LBB128_10:
	s_waitcnt lgkmcnt(0)
	s_mov_b32 s30, s9
.LBB128_11:
	s_load_b64 s[42:43], s[0:1], 0x0
	v_lshl_add_u32 v12, v0, 3, 0
	v_or_b32_e32 v13, 0xfffffc00, v0
	v_mov_b32_e32 v3, 0
	s_mov_b32 s0, 0
	s_delay_alu instid0(VALU_DEP_2)
	v_dual_mov_b32 v4, v12 :: v_dual_mov_b32 v5, v13
	s_waitcnt lgkmcnt(0)
	v_dual_mov_b32 v1, s42 :: v_dual_mov_b32 v2, s43
.LBB128_12:                             ; =>This Inner Loop Header: Depth=1
	s_delay_alu instid0(VALU_DEP_2) | instskip(NEXT) | instid1(VALU_DEP_1)
	v_add_co_u32 v5, s1, 0x400, v5
	s_xor_b32 s1, s1, -1
	v_add_nc_u32_e32 v6, 0x4000, v4
	ds_store_b64 v4, v[1:2]
	v_add_nc_u32_e32 v4, 0x2000, v4
	s_and_b32 s1, exec_lo, s1
	ds_store_2addr_b32 v6, v3, v3 offset1:1
	s_or_b32 s0, s1, s0
	s_delay_alu instid0(SALU_CYCLE_1)
	s_and_not1_b32 exec_lo, exec_lo, s0
	s_cbranch_execnz .LBB128_12
; %bb.13:
	s_or_b32 exec_lo, exec_lo, s0
	s_waitcnt lgkmcnt(0)
	s_barrier
	buffer_gl0_inv
	s_load_b64 s[0:1], s[24:25], 0x0
	s_mov_b32 s29, 0
	v_lshrrev_b32_e32 v11, 5, v0
	s_waitcnt lgkmcnt(0)
	s_lshl_b64 s[0:1], s[0:1], 3
	s_delay_alu instid0(SALU_CYCLE_1) | instskip(SKIP_2) | instid1(SALU_CYCLE_1)
	s_add_u32 s8, s26, s0
	s_addc_u32 s9, s27, s1
	s_lshl_b64 s[0:1], s[28:29], 3
	s_add_u32 s0, s8, s0
	s_addc_u32 s1, s9, s1
	s_and_b32 vcc_lo, exec_lo, s46
	s_load_b64 s[44:45], s[0:1], 0x0
	s_cbranch_vccz .LBB128_33
; %bb.14:
	s_waitcnt lgkmcnt(0)
	s_lshl_b64 s[0:1], s[44:45], 3
	s_mov_b32 s8, exec_lo
	s_add_u32 s0, s12, s0
	s_addc_u32 s1, s13, s1
	s_load_b128 s[24:27], s[0:1], 0x0
	v_sub_co_u32 v1, s0, v11, s36
	s_delay_alu instid0(VALU_DEP_1) | instskip(SKIP_1) | instid1(VALU_DEP_2)
	v_sub_co_ci_u32_e64 v2, null, 0, 0, s0
	s_waitcnt lgkmcnt(0)
	v_add_co_u32 v1, vcc_lo, s24, v1
	s_delay_alu instid0(VALU_DEP_2)
	v_add_co_ci_u32_e32 v2, vcc_lo, s25, v2, vcc_lo
	s_sub_u32 s0, s26, s36
	s_subb_u32 s1, s27, 0
	s_delay_alu instid0(VALU_DEP_1) | instid1(SALU_CYCLE_1)
	v_cmpx_gt_i64_e64 s[0:1], v[1:2]
	s_cbranch_execz .LBB128_32
; %bb.15:
	v_and_b32_e32 v3, 31, v0
	s_mov_b32 s12, s37
	s_delay_alu instid0(VALU_DEP_1) | instskip(NEXT) | instid1(VALU_DEP_1)
	v_sub_co_u32 v14, s9, v3, s37
	v_sub_co_ci_u32_e64 v15, null, 0, 0, s9
	s_mov_b32 s9, 0
	s_branch .LBB128_17
.LBB128_16:                             ;   in Loop: Header=BB128_17 Depth=1
	s_or_b32 exec_lo, exec_lo, s13
	v_add_co_u32 v1, vcc_lo, v1, 32
	v_add_co_ci_u32_e32 v2, vcc_lo, 0, v2, vcc_lo
	s_delay_alu instid0(VALU_DEP_1) | instskip(SKIP_1) | instid1(SALU_CYCLE_1)
	v_cmp_le_i64_e32 vcc_lo, s[0:1], v[1:2]
	s_or_b32 s9, vcc_lo, s9
	s_and_not1_b32 exec_lo, exec_lo, s9
	s_cbranch_execz .LBB128_32
.LBB128_17:                             ; =>This Loop Header: Depth=1
                                        ;     Child Loop BB128_20 Depth 2
                                        ;       Child Loop BB128_22 Depth 3
	v_lshlrev_b64 v[7:8], 3, v[1:2]
	s_mov_b32 s13, exec_lo
	s_delay_alu instid0(VALU_DEP_1) | instskip(NEXT) | instid1(VALU_DEP_2)
	v_add_co_u32 v3, vcc_lo, s14, v7
	v_add_co_ci_u32_e32 v4, vcc_lo, s15, v8, vcc_lo
	global_load_b64 v[3:4], v[3:4], off
	s_waitcnt vmcnt(0)
	v_sub_co_u32 v3, vcc_lo, v3, s36
	v_subrev_co_ci_u32_e32 v4, vcc_lo, 0, v4, vcc_lo
	s_delay_alu instid0(VALU_DEP_1) | instskip(NEXT) | instid1(VALU_DEP_1)
	v_lshlrev_b64 v[3:4], 3, v[3:4]
	v_add_co_u32 v3, vcc_lo, s18, v3
	s_delay_alu instid0(VALU_DEP_2)
	v_add_co_ci_u32_e32 v4, vcc_lo, s19, v4, vcc_lo
	global_load_b128 v[16:19], v[3:4], off
	s_waitcnt vmcnt(0)
	v_sub_co_u32 v3, vcc_lo, v18, s12
	v_subrev_co_ci_u32_e32 v4, vcc_lo, 0, v19, vcc_lo
	v_add_co_u32 v5, vcc_lo, v16, v14
	v_add_co_ci_u32_e32 v6, vcc_lo, v17, v15, vcc_lo
	s_delay_alu instid0(VALU_DEP_1)
	v_cmpx_lt_i64_e64 v[5:6], v[3:4]
	s_cbranch_execz .LBB128_16
; %bb.18:                               ;   in Loop: Header=BB128_17 Depth=1
	v_add_co_u32 v7, vcc_lo, s16, v7
	v_add_co_ci_u32_e32 v8, vcc_lo, s17, v8, vcc_lo
	s_mov_b32 s24, 0
	global_load_b64 v[7:8], v[7:8], off
	s_waitcnt vmcnt(0)
	v_mul_f32_e64 v16, v8, -s3
	s_delay_alu instid0(VALU_DEP_1) | instskip(NEXT) | instid1(VALU_DEP_1)
	v_dual_mul_f32 v17, s31, v8 :: v_dual_fmac_f32 v16, s31, v7
	v_fmac_f32_e32 v17, s3, v7
	s_branch .LBB128_20
.LBB128_19:                             ;   in Loop: Header=BB128_20 Depth=2
	s_or_b32 exec_lo, exec_lo, s25
	v_add_co_u32 v5, vcc_lo, v5, 32
	v_add_co_ci_u32_e32 v6, vcc_lo, 0, v6, vcc_lo
	s_delay_alu instid0(VALU_DEP_1) | instskip(SKIP_1) | instid1(SALU_CYCLE_1)
	v_cmp_ge_i64_e32 vcc_lo, v[5:6], v[3:4]
	s_or_b32 s24, vcc_lo, s24
	s_and_not1_b32 exec_lo, exec_lo, s24
	s_cbranch_execz .LBB128_16
.LBB128_20:                             ;   Parent Loop BB128_17 Depth=1
                                        ; =>  This Loop Header: Depth=2
                                        ;       Child Loop BB128_22 Depth 3
	v_lshlrev_b64 v[7:8], 3, v[5:6]
	s_mov_b32 s25, 0
	s_delay_alu instid0(VALU_DEP_1) | instskip(NEXT) | instid1(VALU_DEP_2)
	v_add_co_u32 v9, vcc_lo, s4, v7
	v_add_co_ci_u32_e32 v10, vcc_lo, s5, v8, vcc_lo
	v_add_co_u32 v7, vcc_lo, s6, v7
	v_add_co_ci_u32_e32 v8, vcc_lo, s7, v8, vcc_lo
	global_load_b64 v[9:10], v[9:10], off
	global_load_b64 v[20:21], v[7:8], off
	s_waitcnt vmcnt(1)
	v_sub_co_u32 v7, vcc_lo, v9, s12
	v_subrev_co_ci_u32_e32 v8, vcc_lo, 0, v10, vcc_lo
	s_waitcnt vmcnt(0)
	v_mul_f32_e64 v18, v21, -v17
	s_delay_alu instid0(VALU_DEP_3) | instskip(SKIP_1) | instid1(VALU_DEP_3)
	v_mul_lo_u32 v9, 0x89, v7
	v_mul_f32_e32 v19, v16, v21
	v_fmac_f32_e32 v18, v16, v20
	s_delay_alu instid0(VALU_DEP_2)
	v_dual_fmac_f32 v19, v17, v20 :: v_dual_and_b32 v20, 0x7ff, v9
	s_branch .LBB128_22
.LBB128_21:                             ;   in Loop: Header=BB128_22 Depth=3
	s_or_b32 exec_lo, exec_lo, s26
	s_xor_b32 s26, s27, -1
	s_delay_alu instid0(SALU_CYCLE_1) | instskip(NEXT) | instid1(SALU_CYCLE_1)
	s_and_b32 s26, exec_lo, s26
	s_or_b32 s25, s26, s25
	s_delay_alu instid0(SALU_CYCLE_1)
	s_and_not1_b32 exec_lo, exec_lo, s25
	s_cbranch_execz .LBB128_19
.LBB128_22:                             ;   Parent Loop BB128_17 Depth=1
                                        ;     Parent Loop BB128_20 Depth=2
                                        ; =>    This Inner Loop Header: Depth=3
	s_delay_alu instid0(VALU_DEP_1)
	v_lshl_add_u32 v21, v20, 3, 0
	s_mov_b32 s26, exec_lo
                                        ; implicit-def: $sgpr27
	ds_load_b64 v[9:10], v21
	s_waitcnt lgkmcnt(0)
	v_cmpx_ne_u64_e64 v[9:10], v[7:8]
	s_xor_b32 s26, exec_lo, s26
	s_cbranch_execz .LBB128_30
; %bb.23:                               ;   in Loop: Header=BB128_22 Depth=3
	s_mov_b32 s28, exec_lo
                                        ; implicit-def: $sgpr27
	v_cmpx_ne_u64_e64 s[42:43], v[9:10]
	s_xor_b32 s28, exec_lo, s28
; %bb.24:                               ;   in Loop: Header=BB128_22 Depth=3
	v_add_nc_u32_e32 v9, 1, v20
	s_mov_b32 s27, -1
                                        ; implicit-def: $vgpr21
	s_delay_alu instid0(VALU_DEP_1)
	v_and_b32_e32 v20, 0x7ff, v9
; %bb.25:                               ;   in Loop: Header=BB128_22 Depth=3
	s_and_not1_saveexec_b32 s28, s28
	s_cbranch_execz .LBB128_29
; %bb.26:                               ;   in Loop: Header=BB128_22 Depth=3
	v_dual_mov_b32 v9, s42 :: v_dual_mov_b32 v10, s43
	s_mov_b32 s29, -1
	s_mov_b32 s37, exec_lo
	ds_cmpstore_rtn_b64 v[9:10], v21, v[7:8], v[9:10]
	s_waitcnt lgkmcnt(0)
	v_cmpx_eq_u64_e64 s[42:43], v[9:10]
	s_cbranch_execz .LBB128_28
; %bb.27:                               ;   in Loop: Header=BB128_22 Depth=3
	ds_add_f32 v21, v18 offset:16384
	ds_add_f32 v21, v19 offset:16388
	s_xor_b32 s29, exec_lo, -1
.LBB128_28:                             ;   in Loop: Header=BB128_22 Depth=3
	s_or_b32 exec_lo, exec_lo, s37
	s_delay_alu instid0(SALU_CYCLE_1) | instskip(SKIP_1) | instid1(SALU_CYCLE_1)
	s_and_not1_b32 s27, s27, exec_lo
	s_and_b32 s29, s29, exec_lo
	s_or_b32 s27, s27, s29
.LBB128_29:                             ;   in Loop: Header=BB128_22 Depth=3
	s_or_b32 exec_lo, exec_lo, s28
	s_delay_alu instid0(SALU_CYCLE_1)
	s_and_b32 s27, s27, exec_lo
                                        ; implicit-def: $vgpr21
.LBB128_30:                             ;   in Loop: Header=BB128_22 Depth=3
	s_and_not1_saveexec_b32 s26, s26
	s_cbranch_execz .LBB128_21
; %bb.31:                               ;   in Loop: Header=BB128_22 Depth=3
	ds_add_f32 v21, v18 offset:16384
	ds_add_f32 v21, v19 offset:16388
	s_and_not1_b32 s27, s27, exec_lo
	s_branch .LBB128_21
.LBB128_32:
	s_or_b32 exec_lo, exec_lo, s8
.LBB128_33:
	s_delay_alu instid0(SALU_CYCLE_1)
	s_and_not1_b32 vcc_lo, exec_lo, s33
	s_cbranch_vccnz .LBB128_50
; %bb.34:
	s_waitcnt lgkmcnt(0)
	s_lshl_b64 s[0:1], s[44:45], 3
	s_mov_b32 s3, 0
	s_add_u32 s0, s10, s0
	s_addc_u32 s1, s11, s1
	s_load_b128 s[4:7], s[0:1], 0x0
	v_sub_co_u32 v1, s0, v0, s39
	s_delay_alu instid0(VALU_DEP_1) | instskip(SKIP_1) | instid1(VALU_DEP_2)
	v_sub_co_ci_u32_e64 v2, null, 0, 0, s0
	s_waitcnt lgkmcnt(0)
	v_add_co_u32 v1, vcc_lo, s4, v1
	s_delay_alu instid0(VALU_DEP_2) | instskip(SKIP_3) | instid1(VALU_DEP_1)
	v_add_co_ci_u32_e32 v2, vcc_lo, s5, v2, vcc_lo
	s_sub_u32 s0, s6, s39
	s_subb_u32 s1, s7, 0
	s_mov_b32 s4, exec_lo
	v_cmpx_gt_i64_e64 s[0:1], v[1:2]
	s_cbranch_execz .LBB128_49
; %bb.35:
	s_mov_b32 s5, s39
	s_branch .LBB128_37
.LBB128_36:                             ;   in Loop: Header=BB128_37 Depth=1
	s_or_b32 exec_lo, exec_lo, s6
	v_add_co_u32 v1, vcc_lo, 0x400, v1
	v_add_co_ci_u32_e32 v2, vcc_lo, 0, v2, vcc_lo
	s_delay_alu instid0(VALU_DEP_1) | instskip(SKIP_1) | instid1(SALU_CYCLE_1)
	v_cmp_le_i64_e32 vcc_lo, s[0:1], v[1:2]
	s_or_b32 s3, vcc_lo, s3
	s_and_not1_b32 exec_lo, exec_lo, s3
	s_cbranch_execz .LBB128_49
.LBB128_37:                             ; =>This Loop Header: Depth=1
                                        ;     Child Loop BB128_39 Depth 2
	v_lshlrev_b64 v[3:4], 3, v[1:2]
	s_mov_b32 s6, 0
	s_delay_alu instid0(VALU_DEP_1) | instskip(NEXT) | instid1(VALU_DEP_2)
	v_add_co_u32 v5, vcc_lo, s20, v3
	v_add_co_ci_u32_e32 v6, vcc_lo, s21, v4, vcc_lo
	v_add_co_u32 v3, vcc_lo, s22, v3
	v_add_co_ci_u32_e32 v4, vcc_lo, s23, v4, vcc_lo
	global_load_b64 v[5:6], v[5:6], off
	global_load_b64 v[9:10], v[3:4], off
	s_waitcnt vmcnt(1)
	v_sub_co_u32 v3, vcc_lo, v5, s5
	v_subrev_co_ci_u32_e32 v4, vcc_lo, 0, v6, vcc_lo
	s_waitcnt vmcnt(0)
	v_mul_f32_e64 v7, v10, -s30
	s_delay_alu instid0(VALU_DEP_3) | instskip(NEXT) | instid1(VALU_DEP_2)
	v_mul_lo_u32 v5, 0x89, v3
	v_dual_mul_f32 v8, s2, v10 :: v_dual_fmac_f32 v7, s2, v9
	s_delay_alu instid0(VALU_DEP_1) | instskip(NEXT) | instid1(VALU_DEP_3)
	v_fmac_f32_e32 v8, s30, v9
	v_and_b32_e32 v9, 0x7ff, v5
	s_branch .LBB128_39
.LBB128_38:                             ;   in Loop: Header=BB128_39 Depth=2
	s_or_b32 exec_lo, exec_lo, s7
	s_xor_b32 s7, s8, -1
	s_delay_alu instid0(SALU_CYCLE_1) | instskip(NEXT) | instid1(SALU_CYCLE_1)
	s_and_b32 s7, exec_lo, s7
	s_or_b32 s6, s7, s6
	s_delay_alu instid0(SALU_CYCLE_1)
	s_and_not1_b32 exec_lo, exec_lo, s6
	s_cbranch_execz .LBB128_36
.LBB128_39:                             ;   Parent Loop BB128_37 Depth=1
                                        ; =>  This Inner Loop Header: Depth=2
	s_delay_alu instid0(VALU_DEP_1)
	v_lshl_add_u32 v10, v9, 3, 0
	s_mov_b32 s7, exec_lo
                                        ; implicit-def: $sgpr8
	ds_load_b64 v[5:6], v10
	s_waitcnt lgkmcnt(0)
	v_cmpx_ne_u64_e64 v[5:6], v[3:4]
	s_xor_b32 s7, exec_lo, s7
	s_cbranch_execz .LBB128_47
; %bb.40:                               ;   in Loop: Header=BB128_39 Depth=2
	s_mov_b32 s9, exec_lo
                                        ; implicit-def: $sgpr8
	v_cmpx_ne_u64_e64 s[42:43], v[5:6]
	s_xor_b32 s9, exec_lo, s9
; %bb.41:                               ;   in Loop: Header=BB128_39 Depth=2
	v_add_nc_u32_e32 v5, 1, v9
	s_mov_b32 s8, -1
                                        ; implicit-def: $vgpr10
	s_delay_alu instid0(VALU_DEP_1)
	v_and_b32_e32 v9, 0x7ff, v5
; %bb.42:                               ;   in Loop: Header=BB128_39 Depth=2
	s_and_not1_saveexec_b32 s9, s9
	s_cbranch_execz .LBB128_46
; %bb.43:                               ;   in Loop: Header=BB128_39 Depth=2
	v_dual_mov_b32 v5, s42 :: v_dual_mov_b32 v6, s43
	s_mov_b32 s10, -1
	s_mov_b32 s11, exec_lo
	ds_cmpstore_rtn_b64 v[5:6], v10, v[3:4], v[5:6]
	s_waitcnt lgkmcnt(0)
	v_cmpx_eq_u64_e64 s[42:43], v[5:6]
	s_cbranch_execz .LBB128_45
; %bb.44:                               ;   in Loop: Header=BB128_39 Depth=2
	ds_add_f32 v10, v7 offset:16384
	ds_add_f32 v10, v8 offset:16388
	s_xor_b32 s10, exec_lo, -1
.LBB128_45:                             ;   in Loop: Header=BB128_39 Depth=2
	s_or_b32 exec_lo, exec_lo, s11
	s_delay_alu instid0(SALU_CYCLE_1) | instskip(SKIP_1) | instid1(SALU_CYCLE_1)
	s_and_not1_b32 s8, s8, exec_lo
	s_and_b32 s10, s10, exec_lo
	s_or_b32 s8, s8, s10
.LBB128_46:                             ;   in Loop: Header=BB128_39 Depth=2
	s_or_b32 exec_lo, exec_lo, s9
	s_delay_alu instid0(SALU_CYCLE_1)
	s_and_b32 s8, s8, exec_lo
                                        ; implicit-def: $vgpr10
.LBB128_47:                             ;   in Loop: Header=BB128_39 Depth=2
	s_and_not1_saveexec_b32 s7, s7
	s_cbranch_execz .LBB128_38
; %bb.48:                               ;   in Loop: Header=BB128_39 Depth=2
	ds_add_f32 v10, v7 offset:16384
	ds_add_f32 v10, v8 offset:16388
	s_and_not1_b32 s8, s8, exec_lo
	s_branch .LBB128_38
.LBB128_49:
	s_or_b32 exec_lo, exec_lo, s4
.LBB128_50:
	v_mbcnt_lo_u32_b32 v1, -1, 0
	v_lshl_add_u32 v14, v11, 3, 0
	v_cmp_eq_u32_e32 vcc_lo, 0x3ff, v0
	v_cmp_lt_u32_e64 s0, 31, v0
	v_cmp_lt_u32_e64 s1, 63, v0
	v_xor_b32_e32 v1, 63, v1
	v_cmp_lt_u32_e64 s2, 0x5f, v0
	v_cmp_lt_u32_e64 s3, 0x7f, v0
	;; [unrolled: 1-line block ×4, first 2 shown]
	v_lshrrev_b64 v[1:2], v1, -1
	v_dual_mov_b32 v2, 0 :: v_dual_mov_b32 v5, 0
	v_cmp_lt_u32_e64 s6, 0xdf, v0
	v_cmp_lt_u32_e64 s7, 0xff, v0
	;; [unrolled: 1-line block ×25, first 2 shown]
	v_mov_b32_e32 v3, 0
	s_mov_b32 s33, 0
	s_waitcnt lgkmcnt(0)
	s_barrier
	buffer_gl0_inv
	s_branch .LBB128_52
.LBB128_51:                             ;   in Loop: Header=BB128_52 Depth=1
	s_or_b32 exec_lo, exec_lo, s31
	s_waitcnt lgkmcnt(0)
	s_barrier
	buffer_gl0_inv
	ds_load_b64 v[6:7], v5 offset:33016
	v_add_co_u32 v13, s31, 0x400, v13
	s_delay_alu instid0(VALU_DEP_1) | instskip(SKIP_3) | instid1(VALU_DEP_1)
	s_xor_b32 s36, s31, -1
	v_add_nc_u32_e32 v12, 0x2000, v12
	s_waitcnt lgkmcnt(0)
	v_add_co_u32 v2, s31, v6, v2
	v_add_co_ci_u32_e64 v3, s31, v7, v3, s31
	s_and_b32 s31, exec_lo, s36
	s_delay_alu instid0(SALU_CYCLE_1) | instskip(NEXT) | instid1(SALU_CYCLE_1)
	s_or_b32 s33, s31, s33
	s_and_not1_b32 exec_lo, exec_lo, s33
	s_cbranch_execz .LBB128_118
.LBB128_52:                             ; =>This Inner Loop Header: Depth=1
	ds_load_b64 v[6:7], v12
	v_add_nc_u32_e32 v4, 0x4000, v12
	ds_load_2addr_b32 v[8:9], v4 offset1:1
	s_waitcnt lgkmcnt(0)
	s_barrier
	buffer_gl0_inv
	v_cmp_gt_i64_e64 s31, s[42:43], v[6:7]
	s_delay_alu instid0(VALU_DEP_1) | instskip(SKIP_1) | instid1(SALU_CYCLE_1)
	v_and_b32_e32 v10, s31, v1
	s_bcnt1_i32_b32 s36, s31
	v_mov_b32_e32 v4, s36
	s_delay_alu instid0(VALU_DEP_2)
	v_bcnt_u32_b32 v10, v10, 0
	ds_store_b64 v14, v[4:5] offset:32768
	s_waitcnt lgkmcnt(0)
	s_barrier
	buffer_gl0_inv
	s_and_saveexec_b32 s36, s0
	s_cbranch_execnz .LBB128_85
; %bb.53:                               ;   in Loop: Header=BB128_52 Depth=1
	s_or_b32 exec_lo, exec_lo, s36
	s_and_saveexec_b32 s36, s1
	s_cbranch_execnz .LBB128_86
.LBB128_54:                             ;   in Loop: Header=BB128_52 Depth=1
	s_or_b32 exec_lo, exec_lo, s36
	s_and_saveexec_b32 s36, s2
	s_cbranch_execnz .LBB128_87
.LBB128_55:                             ;   in Loop: Header=BB128_52 Depth=1
	s_or_b32 exec_lo, exec_lo, s36
	s_and_saveexec_b32 s36, s3
	s_cbranch_execnz .LBB128_88
.LBB128_56:                             ;   in Loop: Header=BB128_52 Depth=1
	s_or_b32 exec_lo, exec_lo, s36
	s_and_saveexec_b32 s36, s4
	s_cbranch_execnz .LBB128_89
.LBB128_57:                             ;   in Loop: Header=BB128_52 Depth=1
	s_or_b32 exec_lo, exec_lo, s36
	s_and_saveexec_b32 s36, s5
	s_cbranch_execnz .LBB128_90
.LBB128_58:                             ;   in Loop: Header=BB128_52 Depth=1
	s_or_b32 exec_lo, exec_lo, s36
	s_and_saveexec_b32 s36, s6
	s_cbranch_execnz .LBB128_91
.LBB128_59:                             ;   in Loop: Header=BB128_52 Depth=1
	s_or_b32 exec_lo, exec_lo, s36
	s_and_saveexec_b32 s36, s7
	s_cbranch_execnz .LBB128_92
.LBB128_60:                             ;   in Loop: Header=BB128_52 Depth=1
	s_or_b32 exec_lo, exec_lo, s36
	s_and_saveexec_b32 s36, s8
	s_cbranch_execnz .LBB128_93
.LBB128_61:                             ;   in Loop: Header=BB128_52 Depth=1
	s_or_b32 exec_lo, exec_lo, s36
	s_and_saveexec_b32 s36, s9
	s_cbranch_execnz .LBB128_94
.LBB128_62:                             ;   in Loop: Header=BB128_52 Depth=1
	s_or_b32 exec_lo, exec_lo, s36
	s_and_saveexec_b32 s36, s10
	s_cbranch_execnz .LBB128_95
.LBB128_63:                             ;   in Loop: Header=BB128_52 Depth=1
	s_or_b32 exec_lo, exec_lo, s36
	s_and_saveexec_b32 s36, s11
	s_cbranch_execnz .LBB128_96
.LBB128_64:                             ;   in Loop: Header=BB128_52 Depth=1
	s_or_b32 exec_lo, exec_lo, s36
	s_and_saveexec_b32 s36, s12
	s_cbranch_execnz .LBB128_97
.LBB128_65:                             ;   in Loop: Header=BB128_52 Depth=1
	s_or_b32 exec_lo, exec_lo, s36
	s_and_saveexec_b32 s36, s13
	s_cbranch_execnz .LBB128_98
.LBB128_66:                             ;   in Loop: Header=BB128_52 Depth=1
	s_or_b32 exec_lo, exec_lo, s36
	s_and_saveexec_b32 s36, s14
	s_cbranch_execnz .LBB128_99
.LBB128_67:                             ;   in Loop: Header=BB128_52 Depth=1
	s_or_b32 exec_lo, exec_lo, s36
	s_and_saveexec_b32 s36, s15
	s_cbranch_execnz .LBB128_100
.LBB128_68:                             ;   in Loop: Header=BB128_52 Depth=1
	s_or_b32 exec_lo, exec_lo, s36
	s_and_saveexec_b32 s36, s16
	s_cbranch_execnz .LBB128_101
.LBB128_69:                             ;   in Loop: Header=BB128_52 Depth=1
	s_or_b32 exec_lo, exec_lo, s36
	s_and_saveexec_b32 s36, s17
	s_cbranch_execnz .LBB128_102
.LBB128_70:                             ;   in Loop: Header=BB128_52 Depth=1
	s_or_b32 exec_lo, exec_lo, s36
	s_and_saveexec_b32 s36, s18
	s_cbranch_execnz .LBB128_103
.LBB128_71:                             ;   in Loop: Header=BB128_52 Depth=1
	s_or_b32 exec_lo, exec_lo, s36
	s_and_saveexec_b32 s36, s19
	s_cbranch_execnz .LBB128_104
.LBB128_72:                             ;   in Loop: Header=BB128_52 Depth=1
	s_or_b32 exec_lo, exec_lo, s36
	s_and_saveexec_b32 s36, s20
	s_cbranch_execnz .LBB128_105
.LBB128_73:                             ;   in Loop: Header=BB128_52 Depth=1
	s_or_b32 exec_lo, exec_lo, s36
	s_and_saveexec_b32 s36, s21
	s_cbranch_execnz .LBB128_106
.LBB128_74:                             ;   in Loop: Header=BB128_52 Depth=1
	s_or_b32 exec_lo, exec_lo, s36
	s_and_saveexec_b32 s36, s22
	s_cbranch_execnz .LBB128_107
.LBB128_75:                             ;   in Loop: Header=BB128_52 Depth=1
	s_or_b32 exec_lo, exec_lo, s36
	s_and_saveexec_b32 s36, s23
	s_cbranch_execnz .LBB128_108
.LBB128_76:                             ;   in Loop: Header=BB128_52 Depth=1
	s_or_b32 exec_lo, exec_lo, s36
	s_and_saveexec_b32 s36, s24
	s_cbranch_execnz .LBB128_109
.LBB128_77:                             ;   in Loop: Header=BB128_52 Depth=1
	s_or_b32 exec_lo, exec_lo, s36
	s_and_saveexec_b32 s36, s25
	s_cbranch_execnz .LBB128_110
.LBB128_78:                             ;   in Loop: Header=BB128_52 Depth=1
	s_or_b32 exec_lo, exec_lo, s36
	s_and_saveexec_b32 s36, s26
	s_cbranch_execnz .LBB128_111
.LBB128_79:                             ;   in Loop: Header=BB128_52 Depth=1
	s_or_b32 exec_lo, exec_lo, s36
	s_and_saveexec_b32 s36, s27
	s_cbranch_execnz .LBB128_112
.LBB128_80:                             ;   in Loop: Header=BB128_52 Depth=1
	s_or_b32 exec_lo, exec_lo, s36
	s_and_saveexec_b32 s36, s28
	s_cbranch_execnz .LBB128_113
.LBB128_81:                             ;   in Loop: Header=BB128_52 Depth=1
	s_or_b32 exec_lo, exec_lo, s36
	s_and_saveexec_b32 s36, s29
	s_cbranch_execnz .LBB128_114
.LBB128_82:                             ;   in Loop: Header=BB128_52 Depth=1
	s_or_b32 exec_lo, exec_lo, s36
	s_and_saveexec_b32 s36, s30
	s_cbranch_execnz .LBB128_115
.LBB128_83:                             ;   in Loop: Header=BB128_52 Depth=1
	s_or_b32 exec_lo, exec_lo, s36
	v_ashrrev_i32_e32 v11, 31, v10
	s_and_saveexec_b32 s36, s31
	s_cbranch_execnz .LBB128_116
.LBB128_84:                             ;   in Loop: Header=BB128_52 Depth=1
	s_or_b32 exec_lo, exec_lo, s36
	s_and_saveexec_b32 s31, vcc_lo
	s_cbranch_execz .LBB128_51
	s_branch .LBB128_117
.LBB128_85:                             ;   in Loop: Header=BB128_52 Depth=1
	ds_load_b32 v4, v5 offset:32768
	s_waitcnt lgkmcnt(0)
	v_add_nc_u32_e32 v10, v4, v10
	s_or_b32 exec_lo, exec_lo, s36
	s_and_saveexec_b32 s36, s1
	s_cbranch_execz .LBB128_54
.LBB128_86:                             ;   in Loop: Header=BB128_52 Depth=1
	ds_load_b32 v4, v5 offset:32776
	s_waitcnt lgkmcnt(0)
	v_add_nc_u32_e32 v10, v10, v4
	s_or_b32 exec_lo, exec_lo, s36
	s_and_saveexec_b32 s36, s2
	s_cbranch_execz .LBB128_55
.LBB128_87:                             ;   in Loop: Header=BB128_52 Depth=1
	ds_load_b32 v4, v5 offset:32784
	s_waitcnt lgkmcnt(0)
	v_add_nc_u32_e32 v10, v10, v4
	s_or_b32 exec_lo, exec_lo, s36
	s_and_saveexec_b32 s36, s3
	s_cbranch_execz .LBB128_56
.LBB128_88:                             ;   in Loop: Header=BB128_52 Depth=1
	ds_load_b32 v4, v5 offset:32792
	s_waitcnt lgkmcnt(0)
	v_add_nc_u32_e32 v10, v10, v4
	s_or_b32 exec_lo, exec_lo, s36
	s_and_saveexec_b32 s36, s4
	s_cbranch_execz .LBB128_57
.LBB128_89:                             ;   in Loop: Header=BB128_52 Depth=1
	ds_load_b32 v4, v5 offset:32800
	s_waitcnt lgkmcnt(0)
	v_add_nc_u32_e32 v10, v10, v4
	s_or_b32 exec_lo, exec_lo, s36
	s_and_saveexec_b32 s36, s5
	s_cbranch_execz .LBB128_58
.LBB128_90:                             ;   in Loop: Header=BB128_52 Depth=1
	ds_load_b32 v4, v5 offset:32808
	s_waitcnt lgkmcnt(0)
	v_add_nc_u32_e32 v10, v10, v4
	s_or_b32 exec_lo, exec_lo, s36
	s_and_saveexec_b32 s36, s6
	s_cbranch_execz .LBB128_59
.LBB128_91:                             ;   in Loop: Header=BB128_52 Depth=1
	ds_load_b32 v4, v5 offset:32816
	s_waitcnt lgkmcnt(0)
	v_add_nc_u32_e32 v10, v10, v4
	s_or_b32 exec_lo, exec_lo, s36
	s_and_saveexec_b32 s36, s7
	s_cbranch_execz .LBB128_60
.LBB128_92:                             ;   in Loop: Header=BB128_52 Depth=1
	ds_load_b32 v4, v5 offset:32824
	s_waitcnt lgkmcnt(0)
	v_add_nc_u32_e32 v10, v10, v4
	s_or_b32 exec_lo, exec_lo, s36
	s_and_saveexec_b32 s36, s8
	s_cbranch_execz .LBB128_61
.LBB128_93:                             ;   in Loop: Header=BB128_52 Depth=1
	ds_load_b32 v4, v5 offset:32832
	s_waitcnt lgkmcnt(0)
	v_add_nc_u32_e32 v10, v10, v4
	s_or_b32 exec_lo, exec_lo, s36
	s_and_saveexec_b32 s36, s9
	s_cbranch_execz .LBB128_62
.LBB128_94:                             ;   in Loop: Header=BB128_52 Depth=1
	ds_load_b32 v4, v5 offset:32840
	s_waitcnt lgkmcnt(0)
	v_add_nc_u32_e32 v10, v10, v4
	s_or_b32 exec_lo, exec_lo, s36
	s_and_saveexec_b32 s36, s10
	s_cbranch_execz .LBB128_63
.LBB128_95:                             ;   in Loop: Header=BB128_52 Depth=1
	ds_load_b32 v4, v5 offset:32848
	s_waitcnt lgkmcnt(0)
	v_add_nc_u32_e32 v10, v10, v4
	s_or_b32 exec_lo, exec_lo, s36
	s_and_saveexec_b32 s36, s11
	s_cbranch_execz .LBB128_64
.LBB128_96:                             ;   in Loop: Header=BB128_52 Depth=1
	ds_load_b32 v4, v5 offset:32856
	s_waitcnt lgkmcnt(0)
	v_add_nc_u32_e32 v10, v10, v4
	s_or_b32 exec_lo, exec_lo, s36
	s_and_saveexec_b32 s36, s12
	s_cbranch_execz .LBB128_65
.LBB128_97:                             ;   in Loop: Header=BB128_52 Depth=1
	ds_load_b32 v4, v5 offset:32864
	s_waitcnt lgkmcnt(0)
	v_add_nc_u32_e32 v10, v10, v4
	s_or_b32 exec_lo, exec_lo, s36
	s_and_saveexec_b32 s36, s13
	s_cbranch_execz .LBB128_66
.LBB128_98:                             ;   in Loop: Header=BB128_52 Depth=1
	ds_load_b32 v4, v5 offset:32872
	s_waitcnt lgkmcnt(0)
	v_add_nc_u32_e32 v10, v10, v4
	s_or_b32 exec_lo, exec_lo, s36
	s_and_saveexec_b32 s36, s14
	s_cbranch_execz .LBB128_67
.LBB128_99:                             ;   in Loop: Header=BB128_52 Depth=1
	ds_load_b32 v4, v5 offset:32880
	s_waitcnt lgkmcnt(0)
	v_add_nc_u32_e32 v10, v10, v4
	s_or_b32 exec_lo, exec_lo, s36
	s_and_saveexec_b32 s36, s15
	s_cbranch_execz .LBB128_68
.LBB128_100:                            ;   in Loop: Header=BB128_52 Depth=1
	ds_load_b32 v4, v5 offset:32888
	s_waitcnt lgkmcnt(0)
	v_add_nc_u32_e32 v10, v10, v4
	s_or_b32 exec_lo, exec_lo, s36
	s_and_saveexec_b32 s36, s16
	s_cbranch_execz .LBB128_69
.LBB128_101:                            ;   in Loop: Header=BB128_52 Depth=1
	ds_load_b32 v4, v5 offset:32896
	s_waitcnt lgkmcnt(0)
	v_add_nc_u32_e32 v10, v10, v4
	s_or_b32 exec_lo, exec_lo, s36
	s_and_saveexec_b32 s36, s17
	s_cbranch_execz .LBB128_70
.LBB128_102:                            ;   in Loop: Header=BB128_52 Depth=1
	ds_load_b32 v4, v5 offset:32904
	s_waitcnt lgkmcnt(0)
	v_add_nc_u32_e32 v10, v10, v4
	s_or_b32 exec_lo, exec_lo, s36
	s_and_saveexec_b32 s36, s18
	s_cbranch_execz .LBB128_71
.LBB128_103:                            ;   in Loop: Header=BB128_52 Depth=1
	ds_load_b32 v4, v5 offset:32912
	s_waitcnt lgkmcnt(0)
	v_add_nc_u32_e32 v10, v10, v4
	s_or_b32 exec_lo, exec_lo, s36
	s_and_saveexec_b32 s36, s19
	s_cbranch_execz .LBB128_72
.LBB128_104:                            ;   in Loop: Header=BB128_52 Depth=1
	ds_load_b32 v4, v5 offset:32920
	s_waitcnt lgkmcnt(0)
	v_add_nc_u32_e32 v10, v10, v4
	s_or_b32 exec_lo, exec_lo, s36
	s_and_saveexec_b32 s36, s20
	s_cbranch_execz .LBB128_73
.LBB128_105:                            ;   in Loop: Header=BB128_52 Depth=1
	ds_load_b32 v4, v5 offset:32928
	s_waitcnt lgkmcnt(0)
	v_add_nc_u32_e32 v10, v10, v4
	s_or_b32 exec_lo, exec_lo, s36
	s_and_saveexec_b32 s36, s21
	s_cbranch_execz .LBB128_74
.LBB128_106:                            ;   in Loop: Header=BB128_52 Depth=1
	ds_load_b32 v4, v5 offset:32936
	s_waitcnt lgkmcnt(0)
	v_add_nc_u32_e32 v10, v10, v4
	s_or_b32 exec_lo, exec_lo, s36
	s_and_saveexec_b32 s36, s22
	s_cbranch_execz .LBB128_75
.LBB128_107:                            ;   in Loop: Header=BB128_52 Depth=1
	ds_load_b32 v4, v5 offset:32944
	s_waitcnt lgkmcnt(0)
	v_add_nc_u32_e32 v10, v10, v4
	s_or_b32 exec_lo, exec_lo, s36
	s_and_saveexec_b32 s36, s23
	s_cbranch_execz .LBB128_76
.LBB128_108:                            ;   in Loop: Header=BB128_52 Depth=1
	ds_load_b32 v4, v5 offset:32952
	s_waitcnt lgkmcnt(0)
	v_add_nc_u32_e32 v10, v10, v4
	s_or_b32 exec_lo, exec_lo, s36
	s_and_saveexec_b32 s36, s24
	s_cbranch_execz .LBB128_77
.LBB128_109:                            ;   in Loop: Header=BB128_52 Depth=1
	ds_load_b32 v4, v5 offset:32960
	s_waitcnt lgkmcnt(0)
	v_add_nc_u32_e32 v10, v10, v4
	s_or_b32 exec_lo, exec_lo, s36
	s_and_saveexec_b32 s36, s25
	s_cbranch_execz .LBB128_78
.LBB128_110:                            ;   in Loop: Header=BB128_52 Depth=1
	ds_load_b32 v4, v5 offset:32968
	s_waitcnt lgkmcnt(0)
	v_add_nc_u32_e32 v10, v10, v4
	s_or_b32 exec_lo, exec_lo, s36
	s_and_saveexec_b32 s36, s26
	s_cbranch_execz .LBB128_79
.LBB128_111:                            ;   in Loop: Header=BB128_52 Depth=1
	ds_load_b32 v4, v5 offset:32976
	s_waitcnt lgkmcnt(0)
	v_add_nc_u32_e32 v10, v10, v4
	s_or_b32 exec_lo, exec_lo, s36
	s_and_saveexec_b32 s36, s27
	s_cbranch_execz .LBB128_80
.LBB128_112:                            ;   in Loop: Header=BB128_52 Depth=1
	ds_load_b32 v4, v5 offset:32984
	s_waitcnt lgkmcnt(0)
	v_add_nc_u32_e32 v10, v10, v4
	s_or_b32 exec_lo, exec_lo, s36
	s_and_saveexec_b32 s36, s28
	s_cbranch_execz .LBB128_81
.LBB128_113:                            ;   in Loop: Header=BB128_52 Depth=1
	ds_load_b32 v4, v5 offset:32992
	s_waitcnt lgkmcnt(0)
	v_add_nc_u32_e32 v10, v10, v4
	s_or_b32 exec_lo, exec_lo, s36
	s_and_saveexec_b32 s36, s29
	s_cbranch_execz .LBB128_82
.LBB128_114:                            ;   in Loop: Header=BB128_52 Depth=1
	ds_load_b32 v4, v5 offset:33000
	s_waitcnt lgkmcnt(0)
	v_add_nc_u32_e32 v10, v10, v4
	s_or_b32 exec_lo, exec_lo, s36
	s_and_saveexec_b32 s36, s30
	s_cbranch_execz .LBB128_83
.LBB128_115:                            ;   in Loop: Header=BB128_52 Depth=1
	ds_load_b32 v4, v5 offset:33008
	s_waitcnt lgkmcnt(0)
	v_add_nc_u32_e32 v10, v10, v4
	s_or_b32 exec_lo, exec_lo, s36
	s_delay_alu instid0(VALU_DEP_1)
	v_ashrrev_i32_e32 v11, 31, v10
	s_and_saveexec_b32 s36, s31
	s_cbranch_execz .LBB128_84
.LBB128_116:                            ;   in Loop: Header=BB128_52 Depth=1
	v_add3_u32 v4, v2, -1, v10
	s_delay_alu instid0(VALU_DEP_1) | instskip(NEXT) | instid1(VALU_DEP_1)
	v_lshl_add_u32 v4, v4, 3, 0
	v_add_nc_u32_e32 v15, 0x4000, v4
	ds_store_b64 v4, v[6:7]
	ds_store_2addr_b32 v15, v8, v9 offset1:1
	s_or_b32 exec_lo, exec_lo, s36
	s_and_saveexec_b32 s31, vcc_lo
	s_cbranch_execz .LBB128_51
.LBB128_117:                            ;   in Loop: Header=BB128_52 Depth=1
	ds_store_b64 v5, v[10:11] offset:33016
	s_branch .LBB128_51
.LBB128_118:
	s_or_b32 exec_lo, exec_lo, s33
	s_lshl_b64 s[0:1], s[44:45], 3
	v_mov_b32_e32 v1, 0
	s_add_u32 s0, s40, s0
	s_addc_u32 s1, s41, s1
	s_mov_b32 s6, exec_lo
	s_load_b128 s[0:3], s[0:1], 0x0
	s_waitcnt lgkmcnt(0)
	s_sub_u32 s4, s2, s0
	s_subb_u32 s5, s3, s1
	s_delay_alu instid0(SALU_CYCLE_1)
	v_cmpx_gt_i64_e64 s[4:5], v[0:1]
	s_cbranch_execz .LBB128_128
; %bb.119:
	s_sub_u32 s8, s0, s38
	s_subb_u32 s9, s1, 0
	s_and_b32 s6, s4, 7
	s_sub_u32 s0, s0, s2
	s_subb_u32 s1, s1, s3
	s_mov_b32 s7, 0
	v_cmp_lt_u64_e64 s12, s[0:1], -7
	s_and_b32 s2, s4, -8
	s_cmp_lg_u64 s[6:7], 0
	s_mov_b32 s3, s5
	s_cselect_b32 s13, -1, 0
	s_mov_b32 s14, s7
	s_branch .LBB128_121
.LBB128_120:                            ;   in Loop: Header=BB128_121 Depth=1
	v_add_co_u32 v0, vcc_lo, 0x400, v0
	v_add_co_ci_u32_e32 v1, vcc_lo, 0, v1, vcc_lo
	s_waitcnt lgkmcnt(1)
	v_lshlrev_b64 v[4:5], 3, v[6:7]
	s_delay_alu instid0(VALU_DEP_2) | instskip(NEXT) | instid1(VALU_DEP_2)
	v_cmp_le_i64_e32 vcc_lo, s[4:5], v[0:1]
	v_add_co_u32 v4, s0, s34, v4
	s_delay_alu instid0(VALU_DEP_1)
	v_add_co_ci_u32_e64 v5, s0, s35, v5, s0
	s_or_b32 s14, vcc_lo, s14
	s_waitcnt lgkmcnt(0)
	global_store_b64 v[4:5], v[2:3], off
	s_and_not1_b32 exec_lo, exec_lo, s14
	s_cbranch_execz .LBB128_128
.LBB128_121:                            ; =>This Loop Header: Depth=1
                                        ;     Child Loop BB128_123 Depth 2
                                        ;     Child Loop BB128_127 Depth 2
	v_lshl_add_u32 v2, v0, 3, 0
	s_and_not1_b32 vcc_lo, exec_lo, s12
	s_mov_b64 s[0:1], 0
	v_dual_mov_b32 v6, s8 :: v_dual_mov_b32 v7, s9
	s_delay_alu instid0(VALU_DEP_2)
	v_add_nc_u32_e32 v3, 0x4000, v2
	ds_load_b64 v[4:5], v2
	ds_load_2addr_b32 v[2:3], v3 offset1:1
	s_cbranch_vccnz .LBB128_125
; %bb.122:                              ;   in Loop: Header=BB128_121 Depth=1
	v_dual_mov_b32 v6, s8 :: v_dual_mov_b32 v7, s9
	s_mov_b64 s[10:11], 0
	s_mov_b32 s1, 0
.LBB128_123:                            ;   Parent Loop BB128_121 Depth=1
                                        ; =>  This Inner Loop Header: Depth=2
	s_delay_alu instid0(SALU_CYCLE_1)
	v_mov_b32_e32 v20, s1
	s_add_u32 s10, s10, 8
	s_addc_u32 s11, s11, 0
	s_add_i32 s1, s1, 64
	s_cmp_eq_u64 s[2:3], s[10:11]
	ds_load_2addr_b64 v[8:11], v20 offset1:1
	ds_load_2addr_b64 v[12:15], v20 offset0:2 offset1:3
	ds_load_2addr_b64 v[16:19], v20 offset0:4 offset1:5
	;; [unrolled: 1-line block ×3, first 2 shown]
	s_waitcnt lgkmcnt(3)
	v_cmp_gt_i64_e32 vcc_lo, v[4:5], v[8:9]
	v_cndmask_b32_e64 v8, 0, 1, vcc_lo
	v_cmp_gt_i64_e32 vcc_lo, v[4:5], v[10:11]
	v_cndmask_b32_e64 v9, 0, 1, vcc_lo
	s_waitcnt lgkmcnt(2)
	v_cmp_gt_i64_e32 vcc_lo, v[4:5], v[12:13]
	v_cndmask_b32_e64 v10, 0, 1, vcc_lo
	v_cmp_gt_i64_e32 vcc_lo, v[4:5], v[14:15]
	v_cndmask_b32_e64 v11, 0, 1, vcc_lo
	s_waitcnt lgkmcnt(1)
	v_cmp_gt_i64_e32 vcc_lo, v[4:5], v[16:17]
	v_cndmask_b32_e64 v12, 0, 1, vcc_lo
	v_add_co_u32 v6, vcc_lo, v6, v8
	v_add_co_ci_u32_e32 v7, vcc_lo, 0, v7, vcc_lo
	v_cmp_gt_i64_e32 vcc_lo, v[4:5], v[18:19]
	s_delay_alu instid0(VALU_DEP_3) | instskip(NEXT) | instid1(VALU_DEP_1)
	v_add_co_u32 v6, s0, v6, v9
	v_add_co_ci_u32_e64 v7, s0, 0, v7, s0
	v_cndmask_b32_e64 v8, 0, 1, vcc_lo
	s_delay_alu instid0(VALU_DEP_3) | instskip(NEXT) | instid1(VALU_DEP_3)
	v_add_co_u32 v6, vcc_lo, v6, v10
	v_add_co_ci_u32_e32 v7, vcc_lo, 0, v7, vcc_lo
	s_waitcnt lgkmcnt(0)
	v_cmp_gt_i64_e32 vcc_lo, v[4:5], v[20:21]
	s_delay_alu instid0(VALU_DEP_3) | instskip(NEXT) | instid1(VALU_DEP_1)
	v_add_co_u32 v6, s0, v6, v11
	v_add_co_ci_u32_e64 v7, s0, 0, v7, s0
	v_cndmask_b32_e64 v9, 0, 1, vcc_lo
	s_delay_alu instid0(VALU_DEP_3) | instskip(NEXT) | instid1(VALU_DEP_3)
	v_add_co_u32 v6, vcc_lo, v6, v12
	v_add_co_ci_u32_e32 v7, vcc_lo, 0, v7, vcc_lo
	v_cmp_gt_i64_e32 vcc_lo, v[4:5], v[22:23]
	s_delay_alu instid0(VALU_DEP_3) | instskip(NEXT) | instid1(VALU_DEP_1)
	v_add_co_u32 v6, s0, v6, v8
	v_add_co_ci_u32_e64 v7, s0, 0, v7, s0
	v_cndmask_b32_e64 v8, 0, 1, vcc_lo
	s_delay_alu instid0(VALU_DEP_3) | instskip(NEXT) | instid1(VALU_DEP_3)
	v_add_co_u32 v6, vcc_lo, v6, v9
	v_add_co_ci_u32_e32 v7, vcc_lo, 0, v7, vcc_lo
	s_delay_alu instid0(VALU_DEP_2) | instskip(NEXT) | instid1(VALU_DEP_2)
	v_add_co_u32 v6, vcc_lo, v6, v8
	v_add_co_ci_u32_e32 v7, vcc_lo, 0, v7, vcc_lo
	s_cbranch_scc0 .LBB128_123
; %bb.124:                              ;   in Loop: Header=BB128_121 Depth=1
	s_mov_b64 s[0:1], s[2:3]
.LBB128_125:                            ;   in Loop: Header=BB128_121 Depth=1
	s_and_not1_b32 vcc_lo, exec_lo, s13
	s_cbranch_vccnz .LBB128_120
; %bb.126:                              ;   in Loop: Header=BB128_121 Depth=1
	s_lshl_b32 s0, s0, 3
	s_delay_alu instid0(SALU_CYCLE_1)
	s_add_i32 s10, s0, 0
	s_mov_b64 s[0:1], s[6:7]
.LBB128_127:                            ;   Parent Loop BB128_121 Depth=1
                                        ; =>  This Inner Loop Header: Depth=2
	v_mov_b32_e32 v8, s10
	s_add_i32 s10, s10, 8
	s_add_u32 s0, s0, -1
	s_addc_u32 s1, s1, -1
	s_delay_alu instid0(SALU_CYCLE_1) | instskip(SKIP_4) | instid1(VALU_DEP_1)
	s_cmp_lg_u64 s[0:1], 0
	ds_load_b64 v[8:9], v8
	s_waitcnt lgkmcnt(0)
	v_cmp_gt_i64_e32 vcc_lo, v[4:5], v[8:9]
	v_cndmask_b32_e64 v8, 0, 1, vcc_lo
	v_add_co_u32 v6, vcc_lo, v6, v8
	v_add_co_ci_u32_e32 v7, vcc_lo, 0, v7, vcc_lo
	s_cbranch_scc1 .LBB128_127
	s_branch .LBB128_120
.LBB128_128:
	s_nop 0
	s_sendmsg sendmsg(MSG_DEALLOC_VGPRS)
	s_endpgm
	.section	.rodata,"a",@progbits
	.p2align	6, 0x0
	.amdhsa_kernel _ZN9rocsparseL41csrgemm_numeric_fill_block_per_row_kernelILj1024ELj32ELj2048ELj137ELj32Ell21rocsparse_complex_numIfEEEvT5_PKS3_S5_NS_24const_host_device_scalarIT6_EEPKT4_S5_PKS7_SB_S5_SD_S8_SB_S5_SD_SB_S5_PS7_21rocsparse_index_base_SF_SF_SF_bbb
		.amdhsa_group_segment_fixed_size 0
		.amdhsa_private_segment_fixed_size 0
		.amdhsa_kernarg_size 156
		.amdhsa_user_sgpr_count 15
		.amdhsa_user_sgpr_dispatch_ptr 0
		.amdhsa_user_sgpr_queue_ptr 0
		.amdhsa_user_sgpr_kernarg_segment_ptr 1
		.amdhsa_user_sgpr_dispatch_id 0
		.amdhsa_user_sgpr_private_segment_size 0
		.amdhsa_wavefront_size32 1
		.amdhsa_uses_dynamic_stack 0
		.amdhsa_enable_private_segment 0
		.amdhsa_system_sgpr_workgroup_id_x 1
		.amdhsa_system_sgpr_workgroup_id_y 0
		.amdhsa_system_sgpr_workgroup_id_z 0
		.amdhsa_system_sgpr_workgroup_info 0
		.amdhsa_system_vgpr_workitem_id 0
		.amdhsa_next_free_vgpr 24
		.amdhsa_next_free_sgpr 47
		.amdhsa_reserve_vcc 1
		.amdhsa_float_round_mode_32 0
		.amdhsa_float_round_mode_16_64 0
		.amdhsa_float_denorm_mode_32 3
		.amdhsa_float_denorm_mode_16_64 3
		.amdhsa_dx10_clamp 1
		.amdhsa_ieee_mode 1
		.amdhsa_fp16_overflow 0
		.amdhsa_workgroup_processor_mode 1
		.amdhsa_memory_ordered 1
		.amdhsa_forward_progress 0
		.amdhsa_shared_vgpr_count 0
		.amdhsa_exception_fp_ieee_invalid_op 0
		.amdhsa_exception_fp_denorm_src 0
		.amdhsa_exception_fp_ieee_div_zero 0
		.amdhsa_exception_fp_ieee_overflow 0
		.amdhsa_exception_fp_ieee_underflow 0
		.amdhsa_exception_fp_ieee_inexact 0
		.amdhsa_exception_int_div_zero 0
	.end_amdhsa_kernel
	.section	.text._ZN9rocsparseL41csrgemm_numeric_fill_block_per_row_kernelILj1024ELj32ELj2048ELj137ELj32Ell21rocsparse_complex_numIfEEEvT5_PKS3_S5_NS_24const_host_device_scalarIT6_EEPKT4_S5_PKS7_SB_S5_SD_S8_SB_S5_SD_SB_S5_PS7_21rocsparse_index_base_SF_SF_SF_bbb,"axG",@progbits,_ZN9rocsparseL41csrgemm_numeric_fill_block_per_row_kernelILj1024ELj32ELj2048ELj137ELj32Ell21rocsparse_complex_numIfEEEvT5_PKS3_S5_NS_24const_host_device_scalarIT6_EEPKT4_S5_PKS7_SB_S5_SD_S8_SB_S5_SD_SB_S5_PS7_21rocsparse_index_base_SF_SF_SF_bbb,comdat
.Lfunc_end128:
	.size	_ZN9rocsparseL41csrgemm_numeric_fill_block_per_row_kernelILj1024ELj32ELj2048ELj137ELj32Ell21rocsparse_complex_numIfEEEvT5_PKS3_S5_NS_24const_host_device_scalarIT6_EEPKT4_S5_PKS7_SB_S5_SD_S8_SB_S5_SD_SB_S5_PS7_21rocsparse_index_base_SF_SF_SF_bbb, .Lfunc_end128-_ZN9rocsparseL41csrgemm_numeric_fill_block_per_row_kernelILj1024ELj32ELj2048ELj137ELj32Ell21rocsparse_complex_numIfEEEvT5_PKS3_S5_NS_24const_host_device_scalarIT6_EEPKT4_S5_PKS7_SB_S5_SD_S8_SB_S5_SD_SB_S5_PS7_21rocsparse_index_base_SF_SF_SF_bbb
                                        ; -- End function
	.section	.AMDGPU.csdata,"",@progbits
; Kernel info:
; codeLenInByte = 4420
; NumSgprs: 49
; NumVgprs: 24
; ScratchSize: 0
; MemoryBound: 0
; FloatMode: 240
; IeeeMode: 1
; LDSByteSize: 0 bytes/workgroup (compile time only)
; SGPRBlocks: 6
; VGPRBlocks: 2
; NumSGPRsForWavesPerEU: 49
; NumVGPRsForWavesPerEU: 24
; Occupancy: 16
; WaveLimiterHint : 1
; COMPUTE_PGM_RSRC2:SCRATCH_EN: 0
; COMPUTE_PGM_RSRC2:USER_SGPR: 15
; COMPUTE_PGM_RSRC2:TRAP_HANDLER: 0
; COMPUTE_PGM_RSRC2:TGID_X_EN: 1
; COMPUTE_PGM_RSRC2:TGID_Y_EN: 0
; COMPUTE_PGM_RSRC2:TGID_Z_EN: 0
; COMPUTE_PGM_RSRC2:TIDIG_COMP_CNT: 0
	.section	.text._ZN9rocsparseL41csrgemm_numeric_fill_block_per_row_kernelILj1024ELj32ELj2048ELj137ELj64Ell21rocsparse_complex_numIfEEEvT5_PKS3_S5_NS_24const_host_device_scalarIT6_EEPKT4_S5_PKS7_SB_S5_SD_S8_SB_S5_SD_SB_S5_PS7_21rocsparse_index_base_SF_SF_SF_bbb,"axG",@progbits,_ZN9rocsparseL41csrgemm_numeric_fill_block_per_row_kernelILj1024ELj32ELj2048ELj137ELj64Ell21rocsparse_complex_numIfEEEvT5_PKS3_S5_NS_24const_host_device_scalarIT6_EEPKT4_S5_PKS7_SB_S5_SD_S8_SB_S5_SD_SB_S5_PS7_21rocsparse_index_base_SF_SF_SF_bbb,comdat
	.globl	_ZN9rocsparseL41csrgemm_numeric_fill_block_per_row_kernelILj1024ELj32ELj2048ELj137ELj64Ell21rocsparse_complex_numIfEEEvT5_PKS3_S5_NS_24const_host_device_scalarIT6_EEPKT4_S5_PKS7_SB_S5_SD_S8_SB_S5_SD_SB_S5_PS7_21rocsparse_index_base_SF_SF_SF_bbb ; -- Begin function _ZN9rocsparseL41csrgemm_numeric_fill_block_per_row_kernelILj1024ELj32ELj2048ELj137ELj64Ell21rocsparse_complex_numIfEEEvT5_PKS3_S5_NS_24const_host_device_scalarIT6_EEPKT4_S5_PKS7_SB_S5_SD_S8_SB_S5_SD_SB_S5_PS7_21rocsparse_index_base_SF_SF_SF_bbb
	.p2align	8
	.type	_ZN9rocsparseL41csrgemm_numeric_fill_block_per_row_kernelILj1024ELj32ELj2048ELj137ELj64Ell21rocsparse_complex_numIfEEEvT5_PKS3_S5_NS_24const_host_device_scalarIT6_EEPKT4_S5_PKS7_SB_S5_SD_S8_SB_S5_SD_SB_S5_PS7_21rocsparse_index_base_SF_SF_SF_bbb,@function
_ZN9rocsparseL41csrgemm_numeric_fill_block_per_row_kernelILj1024ELj32ELj2048ELj137ELj64Ell21rocsparse_complex_numIfEEEvT5_PKS3_S5_NS_24const_host_device_scalarIT6_EEPKT4_S5_PKS7_SB_S5_SD_S8_SB_S5_SD_SB_S5_PS7_21rocsparse_index_base_SF_SF_SF_bbb: ; @_ZN9rocsparseL41csrgemm_numeric_fill_block_per_row_kernelILj1024ELj32ELj2048ELj137ELj64Ell21rocsparse_complex_numIfEEEvT5_PKS3_S5_NS_24const_host_device_scalarIT6_EEPKT4_S5_PKS7_SB_S5_SD_S8_SB_S5_SD_SB_S5_PS7_21rocsparse_index_base_SF_SF_SF_bbb
; %bb.0:
	s_mov_b32 s40, s15
	s_clause 0x7
	s_load_b32 s33, s[0:1], 0x98
	s_load_b64 s[36:37], s[0:1], 0x70
	s_load_b128 s[24:27], s[0:1], 0x60
	s_load_b256 s[4:11], s[0:1], 0x40
	s_load_b128 s[28:31], s[0:1], 0x8
	s_load_b256 s[12:19], s[0:1], 0x20
	s_load_b64 s[34:35], s[0:1], 0x80
	s_load_b128 s[20:23], s[0:1], 0x88
	s_mov_b32 s3, 0
	s_mov_b32 s42, 0
	s_waitcnt lgkmcnt(0)
	s_bitcmp1_b32 s33, 0
	s_cselect_b32 s44, -1, 0
	s_bitcmp1_b32 s33, 16
	s_cselect_b32 s2, -1, 0
	s_delay_alu instid0(SALU_CYCLE_1) | instskip(SKIP_2) | instid1(VALU_DEP_1)
	s_xor_b32 s38, s2, -1
	s_bitcmp0_b32 s33, 0
	v_cndmask_b32_e64 v1, 0, 1, s38
	v_cmp_ne_u32_e32 vcc_lo, 1, v1
	s_cbranch_scc1 .LBB129_5
; %bb.1:
	s_load_b64 s[2:3], s[0:1], 0x18
	s_and_b32 vcc_lo, exec_lo, vcc_lo
	s_waitcnt lgkmcnt(0)
	s_mov_b32 s42, s2
	s_cbranch_vccnz .LBB129_3
; %bb.2:
	s_load_b32 s42, s[2:3], 0x0
.LBB129_3:
	s_and_not1_b32 vcc_lo, exec_lo, s38
	s_cbranch_vccnz .LBB129_5
; %bb.4:
	s_load_b32 s3, s[2:3], 0x4
.LBB129_5:
	s_bitcmp1_b32 s33, 8
	s_cselect_b32 s43, -1, 0
	s_bfe_u32 s2, s33, 0x10008
	s_mov_b32 s33, 0
	s_cmp_eq_u32 s2, 0
	s_mov_b32 s2, 0
	s_cbranch_scc1 .LBB129_11
; %bb.6:
	v_cmp_ne_u32_e32 vcc_lo, 1, v1
	s_mov_b32 s2, s8
	s_cbranch_vccnz .LBB129_8
; %bb.7:
	s_load_b32 s2, s[8:9], 0x0
.LBB129_8:
	v_cmp_ne_u32_e32 vcc_lo, 1, v1
	s_cbranch_vccnz .LBB129_10
; %bb.9:
	s_load_b32 s9, s[8:9], 0x4
.LBB129_10:
	s_waitcnt lgkmcnt(0)
	s_mov_b32 s33, s9
.LBB129_11:
	s_load_b64 s[38:39], s[0:1], 0x0
	v_lshl_add_u32 v12, v0, 3, 0
	v_or_b32_e32 v13, 0xfffffc00, v0
	v_mov_b32_e32 v3, 0
	s_mov_b32 s0, 0
	s_delay_alu instid0(VALU_DEP_2)
	v_dual_mov_b32 v4, v12 :: v_dual_mov_b32 v5, v13
	s_waitcnt lgkmcnt(0)
	v_dual_mov_b32 v1, s38 :: v_dual_mov_b32 v2, s39
.LBB129_12:                             ; =>This Inner Loop Header: Depth=1
	s_delay_alu instid0(VALU_DEP_2) | instskip(NEXT) | instid1(VALU_DEP_1)
	v_add_co_u32 v5, s1, 0x400, v5
	s_xor_b32 s1, s1, -1
	v_add_nc_u32_e32 v6, 0x4000, v4
	ds_store_b64 v4, v[1:2]
	v_add_nc_u32_e32 v4, 0x2000, v4
	s_and_b32 s1, exec_lo, s1
	ds_store_2addr_b32 v6, v3, v3 offset1:1
	s_or_b32 s0, s1, s0
	s_delay_alu instid0(SALU_CYCLE_1)
	s_and_not1_b32 exec_lo, exec_lo, s0
	s_cbranch_execnz .LBB129_12
; %bb.13:
	s_or_b32 exec_lo, exec_lo, s0
	s_waitcnt lgkmcnt(0)
	s_barrier
	buffer_gl0_inv
	s_load_b64 s[0:1], s[28:29], 0x0
	s_mov_b32 s41, 0
	s_waitcnt lgkmcnt(0)
	s_lshl_b64 s[0:1], s[0:1], 3
	s_delay_alu instid0(SALU_CYCLE_1) | instskip(SKIP_2) | instid1(SALU_CYCLE_1)
	s_add_u32 s8, s30, s0
	s_addc_u32 s9, s31, s1
	s_lshl_b64 s[0:1], s[40:41], 3
	s_add_u32 s0, s8, s0
	s_addc_u32 s1, s9, s1
	s_and_b32 vcc_lo, exec_lo, s44
	s_load_b64 s[28:29], s[0:1], 0x0
	s_cbranch_vccz .LBB129_33
; %bb.14:
	s_waitcnt lgkmcnt(0)
	s_lshl_b64 s[0:1], s[28:29], 3
	v_lshrrev_b32_e32 v1, 5, v0
	s_add_u32 s0, s12, s0
	s_addc_u32 s1, s13, s1
	s_mov_b32 s8, exec_lo
	s_load_b128 s[44:47], s[0:1], 0x0
	v_sub_co_u32 v1, s0, v1, s20
	s_delay_alu instid0(VALU_DEP_1) | instskip(SKIP_1) | instid1(VALU_DEP_2)
	v_sub_co_ci_u32_e64 v2, null, 0, 0, s0
	s_waitcnt lgkmcnt(0)
	v_add_co_u32 v1, vcc_lo, s44, v1
	s_delay_alu instid0(VALU_DEP_2)
	v_add_co_ci_u32_e32 v2, vcc_lo, s45, v2, vcc_lo
	s_sub_u32 s0, s46, s20
	s_subb_u32 s1, s47, 0
	s_delay_alu instid0(VALU_DEP_1) | instid1(SALU_CYCLE_1)
	v_cmpx_gt_i64_e64 s[0:1], v[1:2]
	s_cbranch_execz .LBB129_32
; %bb.15:
	v_and_b32_e32 v3, 31, v0
	s_mov_b32 s12, s21
	s_delay_alu instid0(VALU_DEP_1) | instskip(NEXT) | instid1(VALU_DEP_1)
	v_sub_co_u32 v11, s9, v3, s21
	v_sub_co_ci_u32_e64 v14, null, 0, 0, s9
	s_mov_b32 s9, 0
	s_branch .LBB129_17
.LBB129_16:                             ;   in Loop: Header=BB129_17 Depth=1
	s_or_b32 exec_lo, exec_lo, s13
	v_add_co_u32 v1, vcc_lo, v1, 32
	v_add_co_ci_u32_e32 v2, vcc_lo, 0, v2, vcc_lo
	s_delay_alu instid0(VALU_DEP_1) | instskip(SKIP_1) | instid1(SALU_CYCLE_1)
	v_cmp_le_i64_e32 vcc_lo, s[0:1], v[1:2]
	s_or_b32 s9, vcc_lo, s9
	s_and_not1_b32 exec_lo, exec_lo, s9
	s_cbranch_execz .LBB129_32
.LBB129_17:                             ; =>This Loop Header: Depth=1
                                        ;     Child Loop BB129_20 Depth 2
                                        ;       Child Loop BB129_22 Depth 3
	v_lshlrev_b64 v[7:8], 3, v[1:2]
	s_mov_b32 s13, exec_lo
	s_delay_alu instid0(VALU_DEP_1) | instskip(NEXT) | instid1(VALU_DEP_2)
	v_add_co_u32 v3, vcc_lo, s14, v7
	v_add_co_ci_u32_e32 v4, vcc_lo, s15, v8, vcc_lo
	global_load_b64 v[3:4], v[3:4], off
	s_waitcnt vmcnt(0)
	v_sub_co_u32 v3, vcc_lo, v3, s20
	v_subrev_co_ci_u32_e32 v4, vcc_lo, 0, v4, vcc_lo
	s_delay_alu instid0(VALU_DEP_1) | instskip(NEXT) | instid1(VALU_DEP_1)
	v_lshlrev_b64 v[3:4], 3, v[3:4]
	v_add_co_u32 v3, vcc_lo, s18, v3
	s_delay_alu instid0(VALU_DEP_2)
	v_add_co_ci_u32_e32 v4, vcc_lo, s19, v4, vcc_lo
	global_load_b128 v[15:18], v[3:4], off
	s_waitcnt vmcnt(0)
	v_sub_co_u32 v3, vcc_lo, v17, s12
	v_subrev_co_ci_u32_e32 v4, vcc_lo, 0, v18, vcc_lo
	v_add_co_u32 v5, vcc_lo, v15, v11
	v_add_co_ci_u32_e32 v6, vcc_lo, v16, v14, vcc_lo
	s_delay_alu instid0(VALU_DEP_1)
	v_cmpx_lt_i64_e64 v[5:6], v[3:4]
	s_cbranch_execz .LBB129_16
; %bb.18:                               ;   in Loop: Header=BB129_17 Depth=1
	v_add_co_u32 v7, vcc_lo, s16, v7
	v_add_co_ci_u32_e32 v8, vcc_lo, s17, v8, vcc_lo
	s_mov_b32 s21, 0
	global_load_b64 v[7:8], v[7:8], off
	s_waitcnt vmcnt(0)
	v_mul_f32_e64 v15, v8, -s3
	s_delay_alu instid0(VALU_DEP_1) | instskip(NEXT) | instid1(VALU_DEP_1)
	v_dual_mul_f32 v16, s42, v8 :: v_dual_fmac_f32 v15, s42, v7
	v_fmac_f32_e32 v16, s3, v7
	s_branch .LBB129_20
.LBB129_19:                             ;   in Loop: Header=BB129_20 Depth=2
	s_or_b32 exec_lo, exec_lo, s30
	v_add_co_u32 v5, vcc_lo, v5, 32
	v_add_co_ci_u32_e32 v6, vcc_lo, 0, v6, vcc_lo
	s_delay_alu instid0(VALU_DEP_1) | instskip(SKIP_1) | instid1(SALU_CYCLE_1)
	v_cmp_ge_i64_e32 vcc_lo, v[5:6], v[3:4]
	s_or_b32 s21, vcc_lo, s21
	s_and_not1_b32 exec_lo, exec_lo, s21
	s_cbranch_execz .LBB129_16
.LBB129_20:                             ;   Parent Loop BB129_17 Depth=1
                                        ; =>  This Loop Header: Depth=2
                                        ;       Child Loop BB129_22 Depth 3
	v_lshlrev_b64 v[7:8], 3, v[5:6]
	s_mov_b32 s30, 0
	s_delay_alu instid0(VALU_DEP_1) | instskip(NEXT) | instid1(VALU_DEP_2)
	v_add_co_u32 v9, vcc_lo, s4, v7
	v_add_co_ci_u32_e32 v10, vcc_lo, s5, v8, vcc_lo
	v_add_co_u32 v7, vcc_lo, s6, v7
	v_add_co_ci_u32_e32 v8, vcc_lo, s7, v8, vcc_lo
	global_load_b64 v[9:10], v[9:10], off
	global_load_b64 v[19:20], v[7:8], off
	s_waitcnt vmcnt(1)
	v_sub_co_u32 v7, vcc_lo, v9, s12
	v_subrev_co_ci_u32_e32 v8, vcc_lo, 0, v10, vcc_lo
	s_waitcnt vmcnt(0)
	v_mul_f32_e64 v17, v20, -v16
	s_delay_alu instid0(VALU_DEP_3) | instskip(SKIP_1) | instid1(VALU_DEP_3)
	v_mul_lo_u32 v9, 0x89, v7
	v_mul_f32_e32 v18, v15, v20
	v_fmac_f32_e32 v17, v15, v19
	s_delay_alu instid0(VALU_DEP_2)
	v_dual_fmac_f32 v18, v16, v19 :: v_dual_and_b32 v19, 0x7ff, v9
	s_branch .LBB129_22
.LBB129_21:                             ;   in Loop: Header=BB129_22 Depth=3
	s_or_b32 exec_lo, exec_lo, s31
	s_xor_b32 s31, s40, -1
	s_delay_alu instid0(SALU_CYCLE_1) | instskip(NEXT) | instid1(SALU_CYCLE_1)
	s_and_b32 s31, exec_lo, s31
	s_or_b32 s30, s31, s30
	s_delay_alu instid0(SALU_CYCLE_1)
	s_and_not1_b32 exec_lo, exec_lo, s30
	s_cbranch_execz .LBB129_19
.LBB129_22:                             ;   Parent Loop BB129_17 Depth=1
                                        ;     Parent Loop BB129_20 Depth=2
                                        ; =>    This Inner Loop Header: Depth=3
	s_delay_alu instid0(VALU_DEP_1)
	v_lshl_add_u32 v20, v19, 3, 0
	s_mov_b32 s31, exec_lo
                                        ; implicit-def: $sgpr40
	ds_load_b64 v[9:10], v20
	s_waitcnt lgkmcnt(0)
	v_cmpx_ne_u64_e64 v[9:10], v[7:8]
	s_xor_b32 s31, exec_lo, s31
	s_cbranch_execz .LBB129_30
; %bb.23:                               ;   in Loop: Header=BB129_22 Depth=3
	s_mov_b32 s41, exec_lo
                                        ; implicit-def: $sgpr40
	v_cmpx_ne_u64_e64 s[38:39], v[9:10]
	s_xor_b32 s41, exec_lo, s41
; %bb.24:                               ;   in Loop: Header=BB129_22 Depth=3
	v_add_nc_u32_e32 v9, 1, v19
	s_mov_b32 s40, -1
                                        ; implicit-def: $vgpr20
	s_delay_alu instid0(VALU_DEP_1)
	v_and_b32_e32 v19, 0x7ff, v9
; %bb.25:                               ;   in Loop: Header=BB129_22 Depth=3
	s_and_not1_saveexec_b32 s41, s41
	s_cbranch_execz .LBB129_29
; %bb.26:                               ;   in Loop: Header=BB129_22 Depth=3
	v_dual_mov_b32 v9, s38 :: v_dual_mov_b32 v10, s39
	s_mov_b32 s44, -1
	s_mov_b32 s45, exec_lo
	ds_cmpstore_rtn_b64 v[9:10], v20, v[7:8], v[9:10]
	s_waitcnt lgkmcnt(0)
	v_cmpx_eq_u64_e64 s[38:39], v[9:10]
	s_cbranch_execz .LBB129_28
; %bb.27:                               ;   in Loop: Header=BB129_22 Depth=3
	ds_add_f32 v20, v17 offset:16384
	ds_add_f32 v20, v18 offset:16388
	s_xor_b32 s44, exec_lo, -1
.LBB129_28:                             ;   in Loop: Header=BB129_22 Depth=3
	s_or_b32 exec_lo, exec_lo, s45
	s_delay_alu instid0(SALU_CYCLE_1) | instskip(SKIP_1) | instid1(SALU_CYCLE_1)
	s_and_not1_b32 s40, s40, exec_lo
	s_and_b32 s44, s44, exec_lo
	s_or_b32 s40, s40, s44
.LBB129_29:                             ;   in Loop: Header=BB129_22 Depth=3
	s_or_b32 exec_lo, exec_lo, s41
	s_delay_alu instid0(SALU_CYCLE_1)
	s_and_b32 s40, s40, exec_lo
                                        ; implicit-def: $vgpr20
.LBB129_30:                             ;   in Loop: Header=BB129_22 Depth=3
	s_and_not1_saveexec_b32 s31, s31
	s_cbranch_execz .LBB129_21
; %bb.31:                               ;   in Loop: Header=BB129_22 Depth=3
	ds_add_f32 v20, v17 offset:16384
	ds_add_f32 v20, v18 offset:16388
	s_and_not1_b32 s40, s40, exec_lo
	s_branch .LBB129_21
.LBB129_32:
	s_or_b32 exec_lo, exec_lo, s8
.LBB129_33:
	s_delay_alu instid0(SALU_CYCLE_1)
	s_and_not1_b32 vcc_lo, exec_lo, s43
	s_cbranch_vccnz .LBB129_50
; %bb.34:
	s_waitcnt lgkmcnt(0)
	s_lshl_b64 s[0:1], s[28:29], 3
	s_mov_b32 s3, 0
	s_add_u32 s0, s10, s0
	s_addc_u32 s1, s11, s1
	s_load_b128 s[4:7], s[0:1], 0x0
	v_sub_co_u32 v1, s0, v0, s23
	s_delay_alu instid0(VALU_DEP_1) | instskip(SKIP_1) | instid1(VALU_DEP_2)
	v_sub_co_ci_u32_e64 v2, null, 0, 0, s0
	s_waitcnt lgkmcnt(0)
	v_add_co_u32 v1, vcc_lo, s4, v1
	s_delay_alu instid0(VALU_DEP_2) | instskip(SKIP_3) | instid1(VALU_DEP_1)
	v_add_co_ci_u32_e32 v2, vcc_lo, s5, v2, vcc_lo
	s_sub_u32 s0, s6, s23
	s_subb_u32 s1, s7, 0
	s_mov_b32 s4, exec_lo
	v_cmpx_gt_i64_e64 s[0:1], v[1:2]
	s_cbranch_execz .LBB129_49
; %bb.35:
	s_mov_b32 s5, s23
	s_branch .LBB129_37
.LBB129_36:                             ;   in Loop: Header=BB129_37 Depth=1
	s_or_b32 exec_lo, exec_lo, s6
	v_add_co_u32 v1, vcc_lo, 0x400, v1
	v_add_co_ci_u32_e32 v2, vcc_lo, 0, v2, vcc_lo
	s_delay_alu instid0(VALU_DEP_1) | instskip(SKIP_1) | instid1(SALU_CYCLE_1)
	v_cmp_le_i64_e32 vcc_lo, s[0:1], v[1:2]
	s_or_b32 s3, vcc_lo, s3
	s_and_not1_b32 exec_lo, exec_lo, s3
	s_cbranch_execz .LBB129_49
.LBB129_37:                             ; =>This Loop Header: Depth=1
                                        ;     Child Loop BB129_39 Depth 2
	v_lshlrev_b64 v[3:4], 3, v[1:2]
	s_mov_b32 s6, 0
	s_delay_alu instid0(VALU_DEP_1) | instskip(NEXT) | instid1(VALU_DEP_2)
	v_add_co_u32 v5, vcc_lo, s24, v3
	v_add_co_ci_u32_e32 v6, vcc_lo, s25, v4, vcc_lo
	v_add_co_u32 v3, vcc_lo, s26, v3
	v_add_co_ci_u32_e32 v4, vcc_lo, s27, v4, vcc_lo
	global_load_b64 v[5:6], v[5:6], off
	global_load_b64 v[9:10], v[3:4], off
	s_waitcnt vmcnt(1)
	v_sub_co_u32 v3, vcc_lo, v5, s5
	v_subrev_co_ci_u32_e32 v4, vcc_lo, 0, v6, vcc_lo
	s_waitcnt vmcnt(0)
	v_mul_f32_e64 v7, v10, -s33
	s_delay_alu instid0(VALU_DEP_3) | instskip(NEXT) | instid1(VALU_DEP_2)
	v_mul_lo_u32 v5, 0x89, v3
	v_dual_mul_f32 v8, s2, v10 :: v_dual_fmac_f32 v7, s2, v9
	s_delay_alu instid0(VALU_DEP_1) | instskip(NEXT) | instid1(VALU_DEP_3)
	v_fmac_f32_e32 v8, s33, v9
	v_and_b32_e32 v9, 0x7ff, v5
	s_branch .LBB129_39
.LBB129_38:                             ;   in Loop: Header=BB129_39 Depth=2
	s_or_b32 exec_lo, exec_lo, s7
	s_xor_b32 s7, s8, -1
	s_delay_alu instid0(SALU_CYCLE_1) | instskip(NEXT) | instid1(SALU_CYCLE_1)
	s_and_b32 s7, exec_lo, s7
	s_or_b32 s6, s7, s6
	s_delay_alu instid0(SALU_CYCLE_1)
	s_and_not1_b32 exec_lo, exec_lo, s6
	s_cbranch_execz .LBB129_36
.LBB129_39:                             ;   Parent Loop BB129_37 Depth=1
                                        ; =>  This Inner Loop Header: Depth=2
	s_delay_alu instid0(VALU_DEP_1)
	v_lshl_add_u32 v10, v9, 3, 0
	s_mov_b32 s7, exec_lo
                                        ; implicit-def: $sgpr8
	ds_load_b64 v[5:6], v10
	s_waitcnt lgkmcnt(0)
	v_cmpx_ne_u64_e64 v[5:6], v[3:4]
	s_xor_b32 s7, exec_lo, s7
	s_cbranch_execz .LBB129_47
; %bb.40:                               ;   in Loop: Header=BB129_39 Depth=2
	s_mov_b32 s9, exec_lo
                                        ; implicit-def: $sgpr8
	v_cmpx_ne_u64_e64 s[38:39], v[5:6]
	s_xor_b32 s9, exec_lo, s9
; %bb.41:                               ;   in Loop: Header=BB129_39 Depth=2
	v_add_nc_u32_e32 v5, 1, v9
	s_mov_b32 s8, -1
                                        ; implicit-def: $vgpr10
	s_delay_alu instid0(VALU_DEP_1)
	v_and_b32_e32 v9, 0x7ff, v5
; %bb.42:                               ;   in Loop: Header=BB129_39 Depth=2
	s_and_not1_saveexec_b32 s9, s9
	s_cbranch_execz .LBB129_46
; %bb.43:                               ;   in Loop: Header=BB129_39 Depth=2
	v_dual_mov_b32 v5, s38 :: v_dual_mov_b32 v6, s39
	s_mov_b32 s10, -1
	s_mov_b32 s11, exec_lo
	ds_cmpstore_rtn_b64 v[5:6], v10, v[3:4], v[5:6]
	s_waitcnt lgkmcnt(0)
	v_cmpx_eq_u64_e64 s[38:39], v[5:6]
	s_cbranch_execz .LBB129_45
; %bb.44:                               ;   in Loop: Header=BB129_39 Depth=2
	ds_add_f32 v10, v7 offset:16384
	ds_add_f32 v10, v8 offset:16388
	s_xor_b32 s10, exec_lo, -1
.LBB129_45:                             ;   in Loop: Header=BB129_39 Depth=2
	s_or_b32 exec_lo, exec_lo, s11
	s_delay_alu instid0(SALU_CYCLE_1) | instskip(SKIP_1) | instid1(SALU_CYCLE_1)
	s_and_not1_b32 s8, s8, exec_lo
	s_and_b32 s10, s10, exec_lo
	s_or_b32 s8, s8, s10
.LBB129_46:                             ;   in Loop: Header=BB129_39 Depth=2
	s_or_b32 exec_lo, exec_lo, s9
	s_delay_alu instid0(SALU_CYCLE_1)
	s_and_b32 s8, s8, exec_lo
                                        ; implicit-def: $vgpr10
.LBB129_47:                             ;   in Loop: Header=BB129_39 Depth=2
	s_and_not1_saveexec_b32 s7, s7
	s_cbranch_execz .LBB129_38
; %bb.48:                               ;   in Loop: Header=BB129_39 Depth=2
	ds_add_f32 v10, v7 offset:16384
	ds_add_f32 v10, v8 offset:16388
	s_and_not1_b32 s8, s8, exec_lo
	s_branch .LBB129_38
.LBB129_49:
	s_or_b32 exec_lo, exec_lo, s4
.LBB129_50:
	v_mbcnt_lo_u32_b32 v1, -1, 0
	v_lshrrev_b32_e32 v2, 3, v0
	v_cmp_eq_u32_e32 vcc_lo, 0x3ff, v0
	v_cmp_lt_u32_e64 s0, 63, v0
	v_cmp_lt_u32_e64 s1, 0x7f, v0
	v_xor_b32_e32 v1, 63, v1
	v_and_b32_e32 v3, 0x78, v2
	v_cmp_lt_u32_e64 s2, 0xbf, v0
	v_cmp_lt_u32_e64 s3, 0xff, v0
	;; [unrolled: 1-line block ×3, first 2 shown]
	v_lshrrev_b64 v[1:2], v1, -1
	v_add_nc_u32_e32 v14, 0, v3
	v_dual_mov_b32 v2, 0 :: v_dual_mov_b32 v5, 0
	v_cmp_lt_u32_e64 s5, 0x17f, v0
	v_cmp_lt_u32_e64 s6, 0x1bf, v0
	;; [unrolled: 1-line block ×10, first 2 shown]
	v_mov_b32_e32 v3, 0
	s_mov_b32 s16, 0
	s_waitcnt lgkmcnt(0)
	s_barrier
	buffer_gl0_inv
	s_branch .LBB129_52
.LBB129_51:                             ;   in Loop: Header=BB129_52 Depth=1
	s_or_b32 exec_lo, exec_lo, s15
	s_waitcnt lgkmcnt(0)
	s_barrier
	buffer_gl0_inv
	ds_load_b64 v[6:7], v5 offset:32888
	v_add_co_u32 v13, s15, 0x400, v13
	s_delay_alu instid0(VALU_DEP_1) | instskip(SKIP_3) | instid1(VALU_DEP_1)
	s_xor_b32 s17, s15, -1
	v_add_nc_u32_e32 v12, 0x2000, v12
	s_waitcnt lgkmcnt(0)
	v_add_co_u32 v2, s15, v6, v2
	v_add_co_ci_u32_e64 v3, s15, v7, v3, s15
	s_and_b32 s15, exec_lo, s17
	s_delay_alu instid0(SALU_CYCLE_1) | instskip(NEXT) | instid1(SALU_CYCLE_1)
	s_or_b32 s16, s15, s16
	s_and_not1_b32 exec_lo, exec_lo, s16
	s_cbranch_execz .LBB129_86
.LBB129_52:                             ; =>This Inner Loop Header: Depth=1
	ds_load_b64 v[6:7], v12
	v_add_nc_u32_e32 v4, 0x4000, v12
	ds_load_2addr_b32 v[8:9], v4 offset1:1
	s_waitcnt lgkmcnt(0)
	s_barrier
	buffer_gl0_inv
	v_cmp_gt_i64_e64 s15, s[38:39], v[6:7]
	s_delay_alu instid0(VALU_DEP_1) | instskip(SKIP_1) | instid1(SALU_CYCLE_1)
	v_and_b32_e32 v10, s15, v1
	s_bcnt1_i32_b32 s17, s15
	v_mov_b32_e32 v4, s17
	s_delay_alu instid0(VALU_DEP_2)
	v_bcnt_u32_b32 v10, v10, 0
	ds_store_b64 v14, v[4:5] offset:32768
	s_waitcnt lgkmcnt(0)
	s_barrier
	buffer_gl0_inv
	s_and_saveexec_b32 s17, s0
	s_cbranch_execnz .LBB129_69
; %bb.53:                               ;   in Loop: Header=BB129_52 Depth=1
	s_or_b32 exec_lo, exec_lo, s17
	s_and_saveexec_b32 s17, s1
	s_cbranch_execnz .LBB129_70
.LBB129_54:                             ;   in Loop: Header=BB129_52 Depth=1
	s_or_b32 exec_lo, exec_lo, s17
	s_and_saveexec_b32 s17, s2
	s_cbranch_execnz .LBB129_71
.LBB129_55:                             ;   in Loop: Header=BB129_52 Depth=1
	s_or_b32 exec_lo, exec_lo, s17
	s_and_saveexec_b32 s17, s3
	s_cbranch_execnz .LBB129_72
.LBB129_56:                             ;   in Loop: Header=BB129_52 Depth=1
	s_or_b32 exec_lo, exec_lo, s17
	s_and_saveexec_b32 s17, s4
	s_cbranch_execnz .LBB129_73
.LBB129_57:                             ;   in Loop: Header=BB129_52 Depth=1
	s_or_b32 exec_lo, exec_lo, s17
	s_and_saveexec_b32 s17, s5
	s_cbranch_execnz .LBB129_74
.LBB129_58:                             ;   in Loop: Header=BB129_52 Depth=1
	s_or_b32 exec_lo, exec_lo, s17
	s_and_saveexec_b32 s17, s6
	s_cbranch_execnz .LBB129_75
.LBB129_59:                             ;   in Loop: Header=BB129_52 Depth=1
	s_or_b32 exec_lo, exec_lo, s17
	s_and_saveexec_b32 s17, s7
	s_cbranch_execnz .LBB129_76
.LBB129_60:                             ;   in Loop: Header=BB129_52 Depth=1
	s_or_b32 exec_lo, exec_lo, s17
	s_and_saveexec_b32 s17, s8
	s_cbranch_execnz .LBB129_77
.LBB129_61:                             ;   in Loop: Header=BB129_52 Depth=1
	s_or_b32 exec_lo, exec_lo, s17
	s_and_saveexec_b32 s17, s9
	s_cbranch_execnz .LBB129_78
.LBB129_62:                             ;   in Loop: Header=BB129_52 Depth=1
	s_or_b32 exec_lo, exec_lo, s17
	s_and_saveexec_b32 s17, s10
	s_cbranch_execnz .LBB129_79
.LBB129_63:                             ;   in Loop: Header=BB129_52 Depth=1
	s_or_b32 exec_lo, exec_lo, s17
	s_and_saveexec_b32 s17, s11
	s_cbranch_execnz .LBB129_80
.LBB129_64:                             ;   in Loop: Header=BB129_52 Depth=1
	s_or_b32 exec_lo, exec_lo, s17
	s_and_saveexec_b32 s17, s12
	s_cbranch_execnz .LBB129_81
.LBB129_65:                             ;   in Loop: Header=BB129_52 Depth=1
	s_or_b32 exec_lo, exec_lo, s17
	s_and_saveexec_b32 s17, s13
	s_cbranch_execnz .LBB129_82
.LBB129_66:                             ;   in Loop: Header=BB129_52 Depth=1
	s_or_b32 exec_lo, exec_lo, s17
	s_and_saveexec_b32 s17, s14
	s_cbranch_execnz .LBB129_83
.LBB129_67:                             ;   in Loop: Header=BB129_52 Depth=1
	s_or_b32 exec_lo, exec_lo, s17
	v_ashrrev_i32_e32 v11, 31, v10
	s_and_saveexec_b32 s17, s15
	s_cbranch_execnz .LBB129_84
.LBB129_68:                             ;   in Loop: Header=BB129_52 Depth=1
	s_or_b32 exec_lo, exec_lo, s17
	s_and_saveexec_b32 s15, vcc_lo
	s_cbranch_execz .LBB129_51
	s_branch .LBB129_85
.LBB129_69:                             ;   in Loop: Header=BB129_52 Depth=1
	ds_load_b32 v4, v5 offset:32768
	s_waitcnt lgkmcnt(0)
	v_add_nc_u32_e32 v10, v4, v10
	s_or_b32 exec_lo, exec_lo, s17
	s_and_saveexec_b32 s17, s1
	s_cbranch_execz .LBB129_54
.LBB129_70:                             ;   in Loop: Header=BB129_52 Depth=1
	ds_load_b32 v4, v5 offset:32776
	s_waitcnt lgkmcnt(0)
	v_add_nc_u32_e32 v10, v10, v4
	s_or_b32 exec_lo, exec_lo, s17
	s_and_saveexec_b32 s17, s2
	s_cbranch_execz .LBB129_55
.LBB129_71:                             ;   in Loop: Header=BB129_52 Depth=1
	ds_load_b32 v4, v5 offset:32784
	s_waitcnt lgkmcnt(0)
	v_add_nc_u32_e32 v10, v10, v4
	s_or_b32 exec_lo, exec_lo, s17
	s_and_saveexec_b32 s17, s3
	s_cbranch_execz .LBB129_56
.LBB129_72:                             ;   in Loop: Header=BB129_52 Depth=1
	ds_load_b32 v4, v5 offset:32792
	s_waitcnt lgkmcnt(0)
	v_add_nc_u32_e32 v10, v10, v4
	s_or_b32 exec_lo, exec_lo, s17
	s_and_saveexec_b32 s17, s4
	s_cbranch_execz .LBB129_57
.LBB129_73:                             ;   in Loop: Header=BB129_52 Depth=1
	ds_load_b32 v4, v5 offset:32800
	s_waitcnt lgkmcnt(0)
	v_add_nc_u32_e32 v10, v10, v4
	s_or_b32 exec_lo, exec_lo, s17
	s_and_saveexec_b32 s17, s5
	s_cbranch_execz .LBB129_58
.LBB129_74:                             ;   in Loop: Header=BB129_52 Depth=1
	ds_load_b32 v4, v5 offset:32808
	s_waitcnt lgkmcnt(0)
	v_add_nc_u32_e32 v10, v10, v4
	s_or_b32 exec_lo, exec_lo, s17
	s_and_saveexec_b32 s17, s6
	s_cbranch_execz .LBB129_59
.LBB129_75:                             ;   in Loop: Header=BB129_52 Depth=1
	ds_load_b32 v4, v5 offset:32816
	s_waitcnt lgkmcnt(0)
	v_add_nc_u32_e32 v10, v10, v4
	s_or_b32 exec_lo, exec_lo, s17
	s_and_saveexec_b32 s17, s7
	s_cbranch_execz .LBB129_60
.LBB129_76:                             ;   in Loop: Header=BB129_52 Depth=1
	ds_load_b32 v4, v5 offset:32824
	s_waitcnt lgkmcnt(0)
	v_add_nc_u32_e32 v10, v10, v4
	s_or_b32 exec_lo, exec_lo, s17
	s_and_saveexec_b32 s17, s8
	s_cbranch_execz .LBB129_61
.LBB129_77:                             ;   in Loop: Header=BB129_52 Depth=1
	ds_load_b32 v4, v5 offset:32832
	s_waitcnt lgkmcnt(0)
	v_add_nc_u32_e32 v10, v10, v4
	s_or_b32 exec_lo, exec_lo, s17
	s_and_saveexec_b32 s17, s9
	s_cbranch_execz .LBB129_62
.LBB129_78:                             ;   in Loop: Header=BB129_52 Depth=1
	ds_load_b32 v4, v5 offset:32840
	s_waitcnt lgkmcnt(0)
	v_add_nc_u32_e32 v10, v10, v4
	s_or_b32 exec_lo, exec_lo, s17
	s_and_saveexec_b32 s17, s10
	s_cbranch_execz .LBB129_63
.LBB129_79:                             ;   in Loop: Header=BB129_52 Depth=1
	ds_load_b32 v4, v5 offset:32848
	s_waitcnt lgkmcnt(0)
	v_add_nc_u32_e32 v10, v10, v4
	s_or_b32 exec_lo, exec_lo, s17
	s_and_saveexec_b32 s17, s11
	s_cbranch_execz .LBB129_64
.LBB129_80:                             ;   in Loop: Header=BB129_52 Depth=1
	ds_load_b32 v4, v5 offset:32856
	s_waitcnt lgkmcnt(0)
	v_add_nc_u32_e32 v10, v10, v4
	s_or_b32 exec_lo, exec_lo, s17
	s_and_saveexec_b32 s17, s12
	s_cbranch_execz .LBB129_65
.LBB129_81:                             ;   in Loop: Header=BB129_52 Depth=1
	ds_load_b32 v4, v5 offset:32864
	s_waitcnt lgkmcnt(0)
	v_add_nc_u32_e32 v10, v10, v4
	s_or_b32 exec_lo, exec_lo, s17
	s_and_saveexec_b32 s17, s13
	s_cbranch_execz .LBB129_66
.LBB129_82:                             ;   in Loop: Header=BB129_52 Depth=1
	ds_load_b32 v4, v5 offset:32872
	s_waitcnt lgkmcnt(0)
	v_add_nc_u32_e32 v10, v10, v4
	s_or_b32 exec_lo, exec_lo, s17
	s_and_saveexec_b32 s17, s14
	s_cbranch_execz .LBB129_67
.LBB129_83:                             ;   in Loop: Header=BB129_52 Depth=1
	ds_load_b32 v4, v5 offset:32880
	s_waitcnt lgkmcnt(0)
	v_add_nc_u32_e32 v10, v10, v4
	s_or_b32 exec_lo, exec_lo, s17
	s_delay_alu instid0(VALU_DEP_1)
	v_ashrrev_i32_e32 v11, 31, v10
	s_and_saveexec_b32 s17, s15
	s_cbranch_execz .LBB129_68
.LBB129_84:                             ;   in Loop: Header=BB129_52 Depth=1
	v_add3_u32 v4, v2, -1, v10
	s_delay_alu instid0(VALU_DEP_1) | instskip(NEXT) | instid1(VALU_DEP_1)
	v_lshl_add_u32 v4, v4, 3, 0
	v_add_nc_u32_e32 v15, 0x4000, v4
	ds_store_b64 v4, v[6:7]
	ds_store_2addr_b32 v15, v8, v9 offset1:1
	s_or_b32 exec_lo, exec_lo, s17
	s_and_saveexec_b32 s15, vcc_lo
	s_cbranch_execz .LBB129_51
.LBB129_85:                             ;   in Loop: Header=BB129_52 Depth=1
	ds_store_b64 v5, v[10:11] offset:32888
	s_branch .LBB129_51
.LBB129_86:
	s_or_b32 exec_lo, exec_lo, s16
	s_lshl_b64 s[0:1], s[28:29], 3
	v_mov_b32_e32 v1, 0
	s_add_u32 s0, s36, s0
	s_addc_u32 s1, s37, s1
	s_mov_b32 s6, exec_lo
	s_load_b128 s[0:3], s[0:1], 0x0
	s_waitcnt lgkmcnt(0)
	s_sub_u32 s4, s2, s0
	s_subb_u32 s5, s3, s1
	s_delay_alu instid0(SALU_CYCLE_1)
	v_cmpx_gt_i64_e64 s[4:5], v[0:1]
	s_cbranch_execz .LBB129_96
; %bb.87:
	s_sub_u32 s8, s0, s22
	s_subb_u32 s9, s1, 0
	s_and_b32 s6, s4, 7
	s_sub_u32 s0, s0, s2
	s_subb_u32 s1, s1, s3
	s_mov_b32 s7, 0
	v_cmp_lt_u64_e64 s12, s[0:1], -7
	s_and_b32 s2, s4, -8
	s_cmp_lg_u64 s[6:7], 0
	s_mov_b32 s3, s5
	s_cselect_b32 s13, -1, 0
	s_mov_b32 s14, s7
	s_branch .LBB129_89
.LBB129_88:                             ;   in Loop: Header=BB129_89 Depth=1
	v_add_co_u32 v0, vcc_lo, 0x400, v0
	v_add_co_ci_u32_e32 v1, vcc_lo, 0, v1, vcc_lo
	s_waitcnt lgkmcnt(1)
	v_lshlrev_b64 v[4:5], 3, v[6:7]
	s_delay_alu instid0(VALU_DEP_2) | instskip(NEXT) | instid1(VALU_DEP_2)
	v_cmp_le_i64_e32 vcc_lo, s[4:5], v[0:1]
	v_add_co_u32 v4, s0, s34, v4
	s_delay_alu instid0(VALU_DEP_1)
	v_add_co_ci_u32_e64 v5, s0, s35, v5, s0
	s_or_b32 s14, vcc_lo, s14
	s_waitcnt lgkmcnt(0)
	global_store_b64 v[4:5], v[2:3], off
	s_and_not1_b32 exec_lo, exec_lo, s14
	s_cbranch_execz .LBB129_96
.LBB129_89:                             ; =>This Loop Header: Depth=1
                                        ;     Child Loop BB129_91 Depth 2
                                        ;     Child Loop BB129_95 Depth 2
	v_lshl_add_u32 v2, v0, 3, 0
	s_and_not1_b32 vcc_lo, exec_lo, s12
	s_mov_b64 s[0:1], 0
	v_dual_mov_b32 v6, s8 :: v_dual_mov_b32 v7, s9
	s_delay_alu instid0(VALU_DEP_2)
	v_add_nc_u32_e32 v3, 0x4000, v2
	ds_load_b64 v[4:5], v2
	ds_load_2addr_b32 v[2:3], v3 offset1:1
	s_cbranch_vccnz .LBB129_93
; %bb.90:                               ;   in Loop: Header=BB129_89 Depth=1
	v_dual_mov_b32 v6, s8 :: v_dual_mov_b32 v7, s9
	s_mov_b64 s[10:11], 0
	s_mov_b32 s1, 0
.LBB129_91:                             ;   Parent Loop BB129_89 Depth=1
                                        ; =>  This Inner Loop Header: Depth=2
	s_delay_alu instid0(SALU_CYCLE_1)
	v_mov_b32_e32 v20, s1
	s_add_u32 s10, s10, 8
	s_addc_u32 s11, s11, 0
	s_add_i32 s1, s1, 64
	s_cmp_eq_u64 s[2:3], s[10:11]
	ds_load_2addr_b64 v[8:11], v20 offset1:1
	ds_load_2addr_b64 v[12:15], v20 offset0:2 offset1:3
	ds_load_2addr_b64 v[16:19], v20 offset0:4 offset1:5
	;; [unrolled: 1-line block ×3, first 2 shown]
	s_waitcnt lgkmcnt(3)
	v_cmp_gt_i64_e32 vcc_lo, v[4:5], v[8:9]
	v_cndmask_b32_e64 v8, 0, 1, vcc_lo
	v_cmp_gt_i64_e32 vcc_lo, v[4:5], v[10:11]
	v_cndmask_b32_e64 v9, 0, 1, vcc_lo
	s_waitcnt lgkmcnt(2)
	v_cmp_gt_i64_e32 vcc_lo, v[4:5], v[12:13]
	v_cndmask_b32_e64 v10, 0, 1, vcc_lo
	v_cmp_gt_i64_e32 vcc_lo, v[4:5], v[14:15]
	v_cndmask_b32_e64 v11, 0, 1, vcc_lo
	s_waitcnt lgkmcnt(1)
	v_cmp_gt_i64_e32 vcc_lo, v[4:5], v[16:17]
	v_cndmask_b32_e64 v12, 0, 1, vcc_lo
	v_add_co_u32 v6, vcc_lo, v6, v8
	v_add_co_ci_u32_e32 v7, vcc_lo, 0, v7, vcc_lo
	v_cmp_gt_i64_e32 vcc_lo, v[4:5], v[18:19]
	s_delay_alu instid0(VALU_DEP_3) | instskip(NEXT) | instid1(VALU_DEP_1)
	v_add_co_u32 v6, s0, v6, v9
	v_add_co_ci_u32_e64 v7, s0, 0, v7, s0
	v_cndmask_b32_e64 v8, 0, 1, vcc_lo
	s_delay_alu instid0(VALU_DEP_3) | instskip(NEXT) | instid1(VALU_DEP_3)
	v_add_co_u32 v6, vcc_lo, v6, v10
	v_add_co_ci_u32_e32 v7, vcc_lo, 0, v7, vcc_lo
	s_waitcnt lgkmcnt(0)
	v_cmp_gt_i64_e32 vcc_lo, v[4:5], v[20:21]
	s_delay_alu instid0(VALU_DEP_3) | instskip(NEXT) | instid1(VALU_DEP_1)
	v_add_co_u32 v6, s0, v6, v11
	v_add_co_ci_u32_e64 v7, s0, 0, v7, s0
	v_cndmask_b32_e64 v9, 0, 1, vcc_lo
	s_delay_alu instid0(VALU_DEP_3) | instskip(NEXT) | instid1(VALU_DEP_3)
	v_add_co_u32 v6, vcc_lo, v6, v12
	v_add_co_ci_u32_e32 v7, vcc_lo, 0, v7, vcc_lo
	v_cmp_gt_i64_e32 vcc_lo, v[4:5], v[22:23]
	s_delay_alu instid0(VALU_DEP_3) | instskip(NEXT) | instid1(VALU_DEP_1)
	v_add_co_u32 v6, s0, v6, v8
	v_add_co_ci_u32_e64 v7, s0, 0, v7, s0
	v_cndmask_b32_e64 v8, 0, 1, vcc_lo
	s_delay_alu instid0(VALU_DEP_3) | instskip(NEXT) | instid1(VALU_DEP_3)
	v_add_co_u32 v6, vcc_lo, v6, v9
	v_add_co_ci_u32_e32 v7, vcc_lo, 0, v7, vcc_lo
	s_delay_alu instid0(VALU_DEP_2) | instskip(NEXT) | instid1(VALU_DEP_2)
	v_add_co_u32 v6, vcc_lo, v6, v8
	v_add_co_ci_u32_e32 v7, vcc_lo, 0, v7, vcc_lo
	s_cbranch_scc0 .LBB129_91
; %bb.92:                               ;   in Loop: Header=BB129_89 Depth=1
	s_mov_b64 s[0:1], s[2:3]
.LBB129_93:                             ;   in Loop: Header=BB129_89 Depth=1
	s_and_not1_b32 vcc_lo, exec_lo, s13
	s_cbranch_vccnz .LBB129_88
; %bb.94:                               ;   in Loop: Header=BB129_89 Depth=1
	s_lshl_b32 s0, s0, 3
	s_delay_alu instid0(SALU_CYCLE_1)
	s_add_i32 s10, s0, 0
	s_mov_b64 s[0:1], s[6:7]
.LBB129_95:                             ;   Parent Loop BB129_89 Depth=1
                                        ; =>  This Inner Loop Header: Depth=2
	v_mov_b32_e32 v8, s10
	s_add_i32 s10, s10, 8
	s_add_u32 s0, s0, -1
	s_addc_u32 s1, s1, -1
	s_delay_alu instid0(SALU_CYCLE_1) | instskip(SKIP_4) | instid1(VALU_DEP_1)
	s_cmp_lg_u64 s[0:1], 0
	ds_load_b64 v[8:9], v8
	s_waitcnt lgkmcnt(0)
	v_cmp_gt_i64_e32 vcc_lo, v[4:5], v[8:9]
	v_cndmask_b32_e64 v8, 0, 1, vcc_lo
	v_add_co_u32 v6, vcc_lo, v6, v8
	v_add_co_ci_u32_e32 v7, vcc_lo, 0, v7, vcc_lo
	s_cbranch_scc1 .LBB129_95
	s_branch .LBB129_88
.LBB129_96:
	s_nop 0
	s_sendmsg sendmsg(MSG_DEALLOC_VGPRS)
	s_endpgm
	.section	.rodata,"a",@progbits
	.p2align	6, 0x0
	.amdhsa_kernel _ZN9rocsparseL41csrgemm_numeric_fill_block_per_row_kernelILj1024ELj32ELj2048ELj137ELj64Ell21rocsparse_complex_numIfEEEvT5_PKS3_S5_NS_24const_host_device_scalarIT6_EEPKT4_S5_PKS7_SB_S5_SD_S8_SB_S5_SD_SB_S5_PS7_21rocsparse_index_base_SF_SF_SF_bbb
		.amdhsa_group_segment_fixed_size 0
		.amdhsa_private_segment_fixed_size 0
		.amdhsa_kernarg_size 156
		.amdhsa_user_sgpr_count 15
		.amdhsa_user_sgpr_dispatch_ptr 0
		.amdhsa_user_sgpr_queue_ptr 0
		.amdhsa_user_sgpr_kernarg_segment_ptr 1
		.amdhsa_user_sgpr_dispatch_id 0
		.amdhsa_user_sgpr_private_segment_size 0
		.amdhsa_wavefront_size32 1
		.amdhsa_uses_dynamic_stack 0
		.amdhsa_enable_private_segment 0
		.amdhsa_system_sgpr_workgroup_id_x 1
		.amdhsa_system_sgpr_workgroup_id_y 0
		.amdhsa_system_sgpr_workgroup_id_z 0
		.amdhsa_system_sgpr_workgroup_info 0
		.amdhsa_system_vgpr_workitem_id 0
		.amdhsa_next_free_vgpr 24
		.amdhsa_next_free_sgpr 48
		.amdhsa_reserve_vcc 1
		.amdhsa_float_round_mode_32 0
		.amdhsa_float_round_mode_16_64 0
		.amdhsa_float_denorm_mode_32 3
		.amdhsa_float_denorm_mode_16_64 3
		.amdhsa_dx10_clamp 1
		.amdhsa_ieee_mode 1
		.amdhsa_fp16_overflow 0
		.amdhsa_workgroup_processor_mode 1
		.amdhsa_memory_ordered 1
		.amdhsa_forward_progress 0
		.amdhsa_shared_vgpr_count 0
		.amdhsa_exception_fp_ieee_invalid_op 0
		.amdhsa_exception_fp_denorm_src 0
		.amdhsa_exception_fp_ieee_div_zero 0
		.amdhsa_exception_fp_ieee_overflow 0
		.amdhsa_exception_fp_ieee_underflow 0
		.amdhsa_exception_fp_ieee_inexact 0
		.amdhsa_exception_int_div_zero 0
	.end_amdhsa_kernel
	.section	.text._ZN9rocsparseL41csrgemm_numeric_fill_block_per_row_kernelILj1024ELj32ELj2048ELj137ELj64Ell21rocsparse_complex_numIfEEEvT5_PKS3_S5_NS_24const_host_device_scalarIT6_EEPKT4_S5_PKS7_SB_S5_SD_S8_SB_S5_SD_SB_S5_PS7_21rocsparse_index_base_SF_SF_SF_bbb,"axG",@progbits,_ZN9rocsparseL41csrgemm_numeric_fill_block_per_row_kernelILj1024ELj32ELj2048ELj137ELj64Ell21rocsparse_complex_numIfEEEvT5_PKS3_S5_NS_24const_host_device_scalarIT6_EEPKT4_S5_PKS7_SB_S5_SD_S8_SB_S5_SD_SB_S5_PS7_21rocsparse_index_base_SF_SF_SF_bbb,comdat
.Lfunc_end129:
	.size	_ZN9rocsparseL41csrgemm_numeric_fill_block_per_row_kernelILj1024ELj32ELj2048ELj137ELj64Ell21rocsparse_complex_numIfEEEvT5_PKS3_S5_NS_24const_host_device_scalarIT6_EEPKT4_S5_PKS7_SB_S5_SD_S8_SB_S5_SD_SB_S5_PS7_21rocsparse_index_base_SF_SF_SF_bbb, .Lfunc_end129-_ZN9rocsparseL41csrgemm_numeric_fill_block_per_row_kernelILj1024ELj32ELj2048ELj137ELj64Ell21rocsparse_complex_numIfEEEvT5_PKS3_S5_NS_24const_host_device_scalarIT6_EEPKT4_S5_PKS7_SB_S5_SD_S8_SB_S5_SD_SB_S5_PS7_21rocsparse_index_base_SF_SF_SF_bbb
                                        ; -- End function
	.section	.AMDGPU.csdata,"",@progbits
; Kernel info:
; codeLenInByte = 3596
; NumSgprs: 50
; NumVgprs: 24
; ScratchSize: 0
; MemoryBound: 0
; FloatMode: 240
; IeeeMode: 1
; LDSByteSize: 0 bytes/workgroup (compile time only)
; SGPRBlocks: 6
; VGPRBlocks: 2
; NumSGPRsForWavesPerEU: 50
; NumVGPRsForWavesPerEU: 24
; Occupancy: 16
; WaveLimiterHint : 1
; COMPUTE_PGM_RSRC2:SCRATCH_EN: 0
; COMPUTE_PGM_RSRC2:USER_SGPR: 15
; COMPUTE_PGM_RSRC2:TRAP_HANDLER: 0
; COMPUTE_PGM_RSRC2:TGID_X_EN: 1
; COMPUTE_PGM_RSRC2:TGID_Y_EN: 0
; COMPUTE_PGM_RSRC2:TGID_Z_EN: 0
; COMPUTE_PGM_RSRC2:TIDIG_COMP_CNT: 0
	.section	.text._ZN9rocsparseL41csrgemm_numeric_fill_block_per_row_kernelILj1024ELj64ELj4096ELj137ELj32Ell21rocsparse_complex_numIfEEEvT5_PKS3_S5_NS_24const_host_device_scalarIT6_EEPKT4_S5_PKS7_SB_S5_SD_S8_SB_S5_SD_SB_S5_PS7_21rocsparse_index_base_SF_SF_SF_bbb,"axG",@progbits,_ZN9rocsparseL41csrgemm_numeric_fill_block_per_row_kernelILj1024ELj64ELj4096ELj137ELj32Ell21rocsparse_complex_numIfEEEvT5_PKS3_S5_NS_24const_host_device_scalarIT6_EEPKT4_S5_PKS7_SB_S5_SD_S8_SB_S5_SD_SB_S5_PS7_21rocsparse_index_base_SF_SF_SF_bbb,comdat
	.globl	_ZN9rocsparseL41csrgemm_numeric_fill_block_per_row_kernelILj1024ELj64ELj4096ELj137ELj32Ell21rocsparse_complex_numIfEEEvT5_PKS3_S5_NS_24const_host_device_scalarIT6_EEPKT4_S5_PKS7_SB_S5_SD_S8_SB_S5_SD_SB_S5_PS7_21rocsparse_index_base_SF_SF_SF_bbb ; -- Begin function _ZN9rocsparseL41csrgemm_numeric_fill_block_per_row_kernelILj1024ELj64ELj4096ELj137ELj32Ell21rocsparse_complex_numIfEEEvT5_PKS3_S5_NS_24const_host_device_scalarIT6_EEPKT4_S5_PKS7_SB_S5_SD_S8_SB_S5_SD_SB_S5_PS7_21rocsparse_index_base_SF_SF_SF_bbb
	.p2align	8
	.type	_ZN9rocsparseL41csrgemm_numeric_fill_block_per_row_kernelILj1024ELj64ELj4096ELj137ELj32Ell21rocsparse_complex_numIfEEEvT5_PKS3_S5_NS_24const_host_device_scalarIT6_EEPKT4_S5_PKS7_SB_S5_SD_S8_SB_S5_SD_SB_S5_PS7_21rocsparse_index_base_SF_SF_SF_bbb,@function
_ZN9rocsparseL41csrgemm_numeric_fill_block_per_row_kernelILj1024ELj64ELj4096ELj137ELj32Ell21rocsparse_complex_numIfEEEvT5_PKS3_S5_NS_24const_host_device_scalarIT6_EEPKT4_S5_PKS7_SB_S5_SD_S8_SB_S5_SD_SB_S5_PS7_21rocsparse_index_base_SF_SF_SF_bbb: ; @_ZN9rocsparseL41csrgemm_numeric_fill_block_per_row_kernelILj1024ELj64ELj4096ELj137ELj32Ell21rocsparse_complex_numIfEEEvT5_PKS3_S5_NS_24const_host_device_scalarIT6_EEPKT4_S5_PKS7_SB_S5_SD_S8_SB_S5_SD_SB_S5_PS7_21rocsparse_index_base_SF_SF_SF_bbb
; %bb.0:
	s_mov_b32 s28, s15
	s_clause 0x7
	s_load_b32 s29, s[0:1], 0x98
	s_load_b64 s[40:41], s[0:1], 0x70
	s_load_b128 s[20:23], s[0:1], 0x60
	s_load_b256 s[4:11], s[0:1], 0x40
	s_load_b128 s[24:27], s[0:1], 0x8
	s_load_b256 s[12:19], s[0:1], 0x20
	s_load_b64 s[34:35], s[0:1], 0x80
	s_load_b128 s[36:39], s[0:1], 0x88
	s_mov_b32 s3, 0
	s_mov_b32 s31, 0
	s_waitcnt lgkmcnt(0)
	s_bitcmp1_b32 s29, 0
	s_cselect_b32 s46, -1, 0
	s_bitcmp1_b32 s29, 16
	s_cselect_b32 s2, -1, 0
	s_delay_alu instid0(SALU_CYCLE_1) | instskip(SKIP_2) | instid1(VALU_DEP_1)
	s_xor_b32 s30, s2, -1
	s_bitcmp0_b32 s29, 0
	v_cndmask_b32_e64 v1, 0, 1, s30
	v_cmp_ne_u32_e32 vcc_lo, 1, v1
	s_cbranch_scc1 .LBB130_5
; %bb.1:
	s_load_b64 s[2:3], s[0:1], 0x18
	s_and_b32 vcc_lo, exec_lo, vcc_lo
	s_waitcnt lgkmcnt(0)
	s_mov_b32 s31, s2
	s_cbranch_vccnz .LBB130_3
; %bb.2:
	s_load_b32 s31, s[2:3], 0x0
.LBB130_3:
	s_and_not1_b32 vcc_lo, exec_lo, s30
	s_cbranch_vccnz .LBB130_5
; %bb.4:
	s_load_b32 s3, s[2:3], 0x4
.LBB130_5:
	s_bitcmp1_b32 s29, 8
	s_mov_b32 s30, 0
	s_cselect_b32 s33, -1, 0
	s_bfe_u32 s2, s29, 0x10008
	s_delay_alu instid0(SALU_CYCLE_1)
	s_cmp_eq_u32 s2, 0
	s_mov_b32 s2, 0
	s_cbranch_scc1 .LBB130_11
; %bb.6:
	v_cmp_ne_u32_e32 vcc_lo, 1, v1
	s_mov_b32 s2, s8
	s_cbranch_vccnz .LBB130_8
; %bb.7:
	s_load_b32 s2, s[8:9], 0x0
.LBB130_8:
	v_cmp_ne_u32_e32 vcc_lo, 1, v1
	s_cbranch_vccnz .LBB130_10
; %bb.9:
	s_load_b32 s9, s[8:9], 0x4
.LBB130_10:
	s_waitcnt lgkmcnt(0)
	s_mov_b32 s30, s9
.LBB130_11:
	s_load_b64 s[42:43], s[0:1], 0x0
	v_lshl_add_u32 v12, v0, 3, 0
	v_or_b32_e32 v13, 0xfffffc00, v0
	v_mov_b32_e32 v3, 0
	s_mov_b32 s0, 0
	s_delay_alu instid0(VALU_DEP_2)
	v_dual_mov_b32 v4, v12 :: v_dual_mov_b32 v5, v13
	s_waitcnt lgkmcnt(0)
	v_dual_mov_b32 v1, s42 :: v_dual_mov_b32 v2, s43
.LBB130_12:                             ; =>This Inner Loop Header: Depth=1
	s_delay_alu instid0(VALU_DEP_2) | instskip(NEXT) | instid1(VALU_DEP_3)
	v_add_nc_u32_e32 v5, 0x400, v5
	v_add_nc_u32_e32 v6, 0x8000, v4
	ds_store_b64 v4, v[1:2]
	v_add_nc_u32_e32 v4, 0x2000, v4
	v_cmp_lt_u32_e32 vcc_lo, 0xbff, v5
	ds_store_2addr_b32 v6, v3, v3 offset1:1
	s_or_b32 s0, vcc_lo, s0
	s_delay_alu instid0(SALU_CYCLE_1)
	s_and_not1_b32 exec_lo, exec_lo, s0
	s_cbranch_execnz .LBB130_12
; %bb.13:
	s_or_b32 exec_lo, exec_lo, s0
	s_waitcnt lgkmcnt(0)
	s_barrier
	buffer_gl0_inv
	s_load_b64 s[0:1], s[24:25], 0x0
	s_mov_b32 s29, 0
	s_waitcnt lgkmcnt(0)
	s_lshl_b64 s[0:1], s[0:1], 3
	s_delay_alu instid0(SALU_CYCLE_1) | instskip(SKIP_2) | instid1(SALU_CYCLE_1)
	s_add_u32 s8, s26, s0
	s_addc_u32 s9, s27, s1
	s_lshl_b64 s[0:1], s[28:29], 3
	s_add_u32 s0, s8, s0
	s_addc_u32 s1, s9, s1
	s_and_b32 vcc_lo, exec_lo, s46
	s_load_b64 s[44:45], s[0:1], 0x0
	s_cbranch_vccz .LBB130_33
; %bb.14:
	s_waitcnt lgkmcnt(0)
	s_lshl_b64 s[0:1], s[44:45], 3
	v_lshrrev_b32_e32 v1, 6, v0
	s_add_u32 s0, s12, s0
	s_addc_u32 s1, s13, s1
	s_mov_b32 s8, exec_lo
	s_load_b128 s[24:27], s[0:1], 0x0
	v_sub_co_u32 v1, s0, v1, s36
	s_delay_alu instid0(VALU_DEP_1) | instskip(SKIP_1) | instid1(VALU_DEP_2)
	v_sub_co_ci_u32_e64 v2, null, 0, 0, s0
	s_waitcnt lgkmcnt(0)
	v_add_co_u32 v1, vcc_lo, s24, v1
	s_delay_alu instid0(VALU_DEP_2)
	v_add_co_ci_u32_e32 v2, vcc_lo, s25, v2, vcc_lo
	s_sub_u32 s0, s26, s36
	s_subb_u32 s1, s27, 0
	s_delay_alu instid0(VALU_DEP_1) | instid1(SALU_CYCLE_1)
	v_cmpx_gt_i64_e64 s[0:1], v[1:2]
	s_cbranch_execz .LBB130_32
; %bb.15:
	v_and_b32_e32 v3, 63, v0
	s_mov_b32 s12, s37
	s_delay_alu instid0(VALU_DEP_1) | instskip(NEXT) | instid1(VALU_DEP_1)
	v_sub_co_u32 v11, s9, v3, s37
	v_sub_co_ci_u32_e64 v14, null, 0, 0, s9
	s_mov_b32 s9, 0
	s_branch .LBB130_17
.LBB130_16:                             ;   in Loop: Header=BB130_17 Depth=1
	s_or_b32 exec_lo, exec_lo, s13
	v_add_co_u32 v1, vcc_lo, v1, 16
	v_add_co_ci_u32_e32 v2, vcc_lo, 0, v2, vcc_lo
	s_delay_alu instid0(VALU_DEP_1) | instskip(SKIP_1) | instid1(SALU_CYCLE_1)
	v_cmp_le_i64_e32 vcc_lo, s[0:1], v[1:2]
	s_or_b32 s9, vcc_lo, s9
	s_and_not1_b32 exec_lo, exec_lo, s9
	s_cbranch_execz .LBB130_32
.LBB130_17:                             ; =>This Loop Header: Depth=1
                                        ;     Child Loop BB130_20 Depth 2
                                        ;       Child Loop BB130_22 Depth 3
	v_lshlrev_b64 v[7:8], 3, v[1:2]
	s_mov_b32 s13, exec_lo
	s_delay_alu instid0(VALU_DEP_1) | instskip(NEXT) | instid1(VALU_DEP_2)
	v_add_co_u32 v3, vcc_lo, s14, v7
	v_add_co_ci_u32_e32 v4, vcc_lo, s15, v8, vcc_lo
	global_load_b64 v[3:4], v[3:4], off
	s_waitcnt vmcnt(0)
	v_sub_co_u32 v3, vcc_lo, v3, s36
	v_subrev_co_ci_u32_e32 v4, vcc_lo, 0, v4, vcc_lo
	s_delay_alu instid0(VALU_DEP_1) | instskip(NEXT) | instid1(VALU_DEP_1)
	v_lshlrev_b64 v[3:4], 3, v[3:4]
	v_add_co_u32 v3, vcc_lo, s18, v3
	s_delay_alu instid0(VALU_DEP_2)
	v_add_co_ci_u32_e32 v4, vcc_lo, s19, v4, vcc_lo
	global_load_b128 v[15:18], v[3:4], off
	s_waitcnt vmcnt(0)
	v_sub_co_u32 v3, vcc_lo, v17, s12
	v_subrev_co_ci_u32_e32 v4, vcc_lo, 0, v18, vcc_lo
	v_add_co_u32 v5, vcc_lo, v15, v11
	v_add_co_ci_u32_e32 v6, vcc_lo, v16, v14, vcc_lo
	s_delay_alu instid0(VALU_DEP_1)
	v_cmpx_lt_i64_e64 v[5:6], v[3:4]
	s_cbranch_execz .LBB130_16
; %bb.18:                               ;   in Loop: Header=BB130_17 Depth=1
	v_add_co_u32 v7, vcc_lo, s16, v7
	v_add_co_ci_u32_e32 v8, vcc_lo, s17, v8, vcc_lo
	s_mov_b32 s24, 0
	global_load_b64 v[7:8], v[7:8], off
	s_waitcnt vmcnt(0)
	v_mul_f32_e64 v15, v8, -s3
	s_delay_alu instid0(VALU_DEP_1) | instskip(NEXT) | instid1(VALU_DEP_1)
	v_dual_mul_f32 v16, s31, v8 :: v_dual_fmac_f32 v15, s31, v7
	v_fmac_f32_e32 v16, s3, v7
	s_branch .LBB130_20
.LBB130_19:                             ;   in Loop: Header=BB130_20 Depth=2
	s_or_b32 exec_lo, exec_lo, s25
	v_add_co_u32 v5, vcc_lo, v5, 64
	v_add_co_ci_u32_e32 v6, vcc_lo, 0, v6, vcc_lo
	s_delay_alu instid0(VALU_DEP_1) | instskip(SKIP_1) | instid1(SALU_CYCLE_1)
	v_cmp_ge_i64_e32 vcc_lo, v[5:6], v[3:4]
	s_or_b32 s24, vcc_lo, s24
	s_and_not1_b32 exec_lo, exec_lo, s24
	s_cbranch_execz .LBB130_16
.LBB130_20:                             ;   Parent Loop BB130_17 Depth=1
                                        ; =>  This Loop Header: Depth=2
                                        ;       Child Loop BB130_22 Depth 3
	v_lshlrev_b64 v[7:8], 3, v[5:6]
	s_mov_b32 s25, 0
	s_delay_alu instid0(VALU_DEP_1) | instskip(NEXT) | instid1(VALU_DEP_2)
	v_add_co_u32 v9, vcc_lo, s4, v7
	v_add_co_ci_u32_e32 v10, vcc_lo, s5, v8, vcc_lo
	v_add_co_u32 v7, vcc_lo, s6, v7
	v_add_co_ci_u32_e32 v8, vcc_lo, s7, v8, vcc_lo
	global_load_b64 v[9:10], v[9:10], off
	global_load_b64 v[19:20], v[7:8], off
	s_waitcnt vmcnt(1)
	v_sub_co_u32 v7, vcc_lo, v9, s12
	v_subrev_co_ci_u32_e32 v8, vcc_lo, 0, v10, vcc_lo
	s_waitcnt vmcnt(0)
	v_mul_f32_e64 v17, v20, -v16
	s_delay_alu instid0(VALU_DEP_3) | instskip(SKIP_1) | instid1(VALU_DEP_3)
	v_mul_lo_u32 v9, 0x89, v7
	v_mul_f32_e32 v18, v15, v20
	v_fmac_f32_e32 v17, v15, v19
	s_delay_alu instid0(VALU_DEP_2)
	v_dual_fmac_f32 v18, v16, v19 :: v_dual_and_b32 v19, 0xfff, v9
	s_branch .LBB130_22
.LBB130_21:                             ;   in Loop: Header=BB130_22 Depth=3
	s_or_b32 exec_lo, exec_lo, s26
	s_xor_b32 s26, s27, -1
	s_delay_alu instid0(SALU_CYCLE_1) | instskip(NEXT) | instid1(SALU_CYCLE_1)
	s_and_b32 s26, exec_lo, s26
	s_or_b32 s25, s26, s25
	s_delay_alu instid0(SALU_CYCLE_1)
	s_and_not1_b32 exec_lo, exec_lo, s25
	s_cbranch_execz .LBB130_19
.LBB130_22:                             ;   Parent Loop BB130_17 Depth=1
                                        ;     Parent Loop BB130_20 Depth=2
                                        ; =>    This Inner Loop Header: Depth=3
	s_delay_alu instid0(VALU_DEP_1)
	v_lshl_add_u32 v20, v19, 3, 0
	s_mov_b32 s26, exec_lo
                                        ; implicit-def: $sgpr27
	ds_load_b64 v[9:10], v20
	s_waitcnt lgkmcnt(0)
	v_cmpx_ne_u64_e64 v[9:10], v[7:8]
	s_xor_b32 s26, exec_lo, s26
	s_cbranch_execz .LBB130_30
; %bb.23:                               ;   in Loop: Header=BB130_22 Depth=3
	s_mov_b32 s28, exec_lo
                                        ; implicit-def: $sgpr27
	v_cmpx_ne_u64_e64 s[42:43], v[9:10]
	s_xor_b32 s28, exec_lo, s28
; %bb.24:                               ;   in Loop: Header=BB130_22 Depth=3
	v_add_nc_u32_e32 v9, 1, v19
	s_mov_b32 s27, -1
                                        ; implicit-def: $vgpr20
	s_delay_alu instid0(VALU_DEP_1)
	v_and_b32_e32 v19, 0xfff, v9
; %bb.25:                               ;   in Loop: Header=BB130_22 Depth=3
	s_and_not1_saveexec_b32 s28, s28
	s_cbranch_execz .LBB130_29
; %bb.26:                               ;   in Loop: Header=BB130_22 Depth=3
	v_dual_mov_b32 v9, s42 :: v_dual_mov_b32 v10, s43
	s_mov_b32 s29, -1
	s_mov_b32 s37, exec_lo
	ds_cmpstore_rtn_b64 v[9:10], v20, v[7:8], v[9:10]
	s_waitcnt lgkmcnt(0)
	v_cmpx_eq_u64_e64 s[42:43], v[9:10]
	s_cbranch_execz .LBB130_28
; %bb.27:                               ;   in Loop: Header=BB130_22 Depth=3
	ds_add_f32 v20, v17 offset:32768
	ds_add_f32 v20, v18 offset:32772
	s_xor_b32 s29, exec_lo, -1
.LBB130_28:                             ;   in Loop: Header=BB130_22 Depth=3
	s_or_b32 exec_lo, exec_lo, s37
	s_delay_alu instid0(SALU_CYCLE_1) | instskip(SKIP_1) | instid1(SALU_CYCLE_1)
	s_and_not1_b32 s27, s27, exec_lo
	s_and_b32 s29, s29, exec_lo
	s_or_b32 s27, s27, s29
.LBB130_29:                             ;   in Loop: Header=BB130_22 Depth=3
	s_or_b32 exec_lo, exec_lo, s28
	s_delay_alu instid0(SALU_CYCLE_1)
	s_and_b32 s27, s27, exec_lo
                                        ; implicit-def: $vgpr20
.LBB130_30:                             ;   in Loop: Header=BB130_22 Depth=3
	s_and_not1_saveexec_b32 s26, s26
	s_cbranch_execz .LBB130_21
; %bb.31:                               ;   in Loop: Header=BB130_22 Depth=3
	ds_add_f32 v20, v17 offset:32768
	ds_add_f32 v20, v18 offset:32772
	s_and_not1_b32 s27, s27, exec_lo
	s_branch .LBB130_21
.LBB130_32:
	s_or_b32 exec_lo, exec_lo, s8
.LBB130_33:
	s_delay_alu instid0(SALU_CYCLE_1)
	s_and_not1_b32 vcc_lo, exec_lo, s33
	s_cbranch_vccnz .LBB130_50
; %bb.34:
	s_waitcnt lgkmcnt(0)
	s_lshl_b64 s[0:1], s[44:45], 3
	s_mov_b32 s3, 0
	s_add_u32 s0, s10, s0
	s_addc_u32 s1, s11, s1
	s_load_b128 s[4:7], s[0:1], 0x0
	v_sub_co_u32 v1, s0, v0, s39
	s_delay_alu instid0(VALU_DEP_1) | instskip(SKIP_1) | instid1(VALU_DEP_2)
	v_sub_co_ci_u32_e64 v2, null, 0, 0, s0
	s_waitcnt lgkmcnt(0)
	v_add_co_u32 v1, vcc_lo, s4, v1
	s_delay_alu instid0(VALU_DEP_2) | instskip(SKIP_3) | instid1(VALU_DEP_1)
	v_add_co_ci_u32_e32 v2, vcc_lo, s5, v2, vcc_lo
	s_sub_u32 s0, s6, s39
	s_subb_u32 s1, s7, 0
	s_mov_b32 s4, exec_lo
	v_cmpx_gt_i64_e64 s[0:1], v[1:2]
	s_cbranch_execz .LBB130_49
; %bb.35:
	s_mov_b32 s5, s39
	s_branch .LBB130_37
.LBB130_36:                             ;   in Loop: Header=BB130_37 Depth=1
	s_or_b32 exec_lo, exec_lo, s6
	v_add_co_u32 v1, vcc_lo, 0x400, v1
	v_add_co_ci_u32_e32 v2, vcc_lo, 0, v2, vcc_lo
	s_delay_alu instid0(VALU_DEP_1) | instskip(SKIP_1) | instid1(SALU_CYCLE_1)
	v_cmp_le_i64_e32 vcc_lo, s[0:1], v[1:2]
	s_or_b32 s3, vcc_lo, s3
	s_and_not1_b32 exec_lo, exec_lo, s3
	s_cbranch_execz .LBB130_49
.LBB130_37:                             ; =>This Loop Header: Depth=1
                                        ;     Child Loop BB130_39 Depth 2
	v_lshlrev_b64 v[3:4], 3, v[1:2]
	s_mov_b32 s6, 0
	s_delay_alu instid0(VALU_DEP_1) | instskip(NEXT) | instid1(VALU_DEP_2)
	v_add_co_u32 v5, vcc_lo, s20, v3
	v_add_co_ci_u32_e32 v6, vcc_lo, s21, v4, vcc_lo
	v_add_co_u32 v3, vcc_lo, s22, v3
	v_add_co_ci_u32_e32 v4, vcc_lo, s23, v4, vcc_lo
	global_load_b64 v[5:6], v[5:6], off
	global_load_b64 v[9:10], v[3:4], off
	s_waitcnt vmcnt(1)
	v_sub_co_u32 v3, vcc_lo, v5, s5
	v_subrev_co_ci_u32_e32 v4, vcc_lo, 0, v6, vcc_lo
	s_waitcnt vmcnt(0)
	v_mul_f32_e64 v7, v10, -s30
	s_delay_alu instid0(VALU_DEP_3) | instskip(NEXT) | instid1(VALU_DEP_2)
	v_mul_lo_u32 v5, 0x89, v3
	v_dual_mul_f32 v8, s2, v10 :: v_dual_fmac_f32 v7, s2, v9
	s_delay_alu instid0(VALU_DEP_1) | instskip(NEXT) | instid1(VALU_DEP_3)
	v_fmac_f32_e32 v8, s30, v9
	v_and_b32_e32 v9, 0xfff, v5
	s_branch .LBB130_39
.LBB130_38:                             ;   in Loop: Header=BB130_39 Depth=2
	s_or_b32 exec_lo, exec_lo, s7
	s_xor_b32 s7, s8, -1
	s_delay_alu instid0(SALU_CYCLE_1) | instskip(NEXT) | instid1(SALU_CYCLE_1)
	s_and_b32 s7, exec_lo, s7
	s_or_b32 s6, s7, s6
	s_delay_alu instid0(SALU_CYCLE_1)
	s_and_not1_b32 exec_lo, exec_lo, s6
	s_cbranch_execz .LBB130_36
.LBB130_39:                             ;   Parent Loop BB130_37 Depth=1
                                        ; =>  This Inner Loop Header: Depth=2
	s_delay_alu instid0(VALU_DEP_1)
	v_lshl_add_u32 v10, v9, 3, 0
	s_mov_b32 s7, exec_lo
                                        ; implicit-def: $sgpr8
	ds_load_b64 v[5:6], v10
	s_waitcnt lgkmcnt(0)
	v_cmpx_ne_u64_e64 v[5:6], v[3:4]
	s_xor_b32 s7, exec_lo, s7
	s_cbranch_execz .LBB130_47
; %bb.40:                               ;   in Loop: Header=BB130_39 Depth=2
	s_mov_b32 s9, exec_lo
                                        ; implicit-def: $sgpr8
	v_cmpx_ne_u64_e64 s[42:43], v[5:6]
	s_xor_b32 s9, exec_lo, s9
; %bb.41:                               ;   in Loop: Header=BB130_39 Depth=2
	v_add_nc_u32_e32 v5, 1, v9
	s_mov_b32 s8, -1
                                        ; implicit-def: $vgpr10
	s_delay_alu instid0(VALU_DEP_1)
	v_and_b32_e32 v9, 0xfff, v5
; %bb.42:                               ;   in Loop: Header=BB130_39 Depth=2
	s_and_not1_saveexec_b32 s9, s9
	s_cbranch_execz .LBB130_46
; %bb.43:                               ;   in Loop: Header=BB130_39 Depth=2
	v_dual_mov_b32 v5, s42 :: v_dual_mov_b32 v6, s43
	s_mov_b32 s10, -1
	s_mov_b32 s11, exec_lo
	ds_cmpstore_rtn_b64 v[5:6], v10, v[3:4], v[5:6]
	s_waitcnt lgkmcnt(0)
	v_cmpx_eq_u64_e64 s[42:43], v[5:6]
	s_cbranch_execz .LBB130_45
; %bb.44:                               ;   in Loop: Header=BB130_39 Depth=2
	ds_add_f32 v10, v7 offset:32768
	ds_add_f32 v10, v8 offset:32772
	s_xor_b32 s10, exec_lo, -1
.LBB130_45:                             ;   in Loop: Header=BB130_39 Depth=2
	s_or_b32 exec_lo, exec_lo, s11
	s_delay_alu instid0(SALU_CYCLE_1) | instskip(SKIP_1) | instid1(SALU_CYCLE_1)
	s_and_not1_b32 s8, s8, exec_lo
	s_and_b32 s10, s10, exec_lo
	s_or_b32 s8, s8, s10
.LBB130_46:                             ;   in Loop: Header=BB130_39 Depth=2
	s_or_b32 exec_lo, exec_lo, s9
	s_delay_alu instid0(SALU_CYCLE_1)
	s_and_b32 s8, s8, exec_lo
                                        ; implicit-def: $vgpr10
.LBB130_47:                             ;   in Loop: Header=BB130_39 Depth=2
	s_and_not1_saveexec_b32 s7, s7
	s_cbranch_execz .LBB130_38
; %bb.48:                               ;   in Loop: Header=BB130_39 Depth=2
	ds_add_f32 v10, v7 offset:32768
	ds_add_f32 v10, v8 offset:32772
	s_and_not1_b32 s8, s8, exec_lo
	s_branch .LBB130_38
.LBB130_49:
	s_or_b32 exec_lo, exec_lo, s4
.LBB130_50:
	v_mbcnt_lo_u32_b32 v1, -1, 0
	v_lshrrev_b32_e32 v2, 2, v0
	s_add_i32 s71, 0, 0x100f8
	v_cmp_eq_u32_e32 vcc_lo, 0x3ff, v0
	v_cmp_lt_u32_e64 s0, 31, v0
	v_xor_b32_e32 v1, 63, v1
	v_and_b32_e32 v3, 0xf8, v2
	v_cmp_lt_u32_e64 s1, 63, v0
	v_cmp_lt_u32_e64 s2, 0x5f, v0
	;; [unrolled: 1-line block ×3, first 2 shown]
	v_lshrrev_b64 v[1:2], v1, -1
	v_add3_u32 v14, 0, 0x10000, v3
	v_dual_mov_b32 v2, 0 :: v_dual_mov_b32 v5, 0
	v_cmp_lt_u32_e64 s4, 0x9f, v0
	v_cmp_lt_u32_e64 s5, 0xbf, v0
	;; [unrolled: 1-line block ×27, first 2 shown]
	v_mov_b32_e32 v3, 0
	v_mov_b32_e32 v15, s71
	s_mov_b32 s36, 0
	s_add_i32 s37, 0, 0x10000
	s_add_i32 s39, 0, 0x10008
	;; [unrolled: 1-line block ×31, first 2 shown]
	s_waitcnt lgkmcnt(0)
	s_barrier
	buffer_gl0_inv
	s_branch .LBB130_52
.LBB130_51:                             ;   in Loop: Header=BB130_52 Depth=1
	s_or_b32 exec_lo, exec_lo, s31
	s_waitcnt lgkmcnt(0)
	s_barrier
	buffer_gl0_inv
	ds_load_b64 v[6:7], v15
	v_add_nc_u32_e32 v13, 0x400, v13
	v_add_nc_u32_e32 v12, 0x2000, v12
	s_delay_alu instid0(VALU_DEP_2) | instskip(NEXT) | instid1(VALU_DEP_1)
	v_cmp_lt_u32_e64 s31, 0xbff, v13
	s_or_b32 s36, s31, s36
	s_waitcnt lgkmcnt(0)
	v_add_co_u32 v2, s33, v6, v2
	s_delay_alu instid0(VALU_DEP_1)
	v_add_co_ci_u32_e64 v3, s33, v7, v3, s33
	s_and_not1_b32 exec_lo, exec_lo, s36
	s_cbranch_execz .LBB130_118
.LBB130_52:                             ; =>This Inner Loop Header: Depth=1
	ds_load_b64 v[6:7], v12
	v_add_nc_u32_e32 v4, 0x8000, v12
	ds_load_2addr_b32 v[8:9], v4 offset1:1
	s_waitcnt lgkmcnt(0)
	s_barrier
	buffer_gl0_inv
	v_cmp_gt_i64_e64 s31, s[42:43], v[6:7]
	s_delay_alu instid0(VALU_DEP_1) | instskip(SKIP_1) | instid1(SALU_CYCLE_1)
	v_and_b32_e32 v10, s31, v1
	s_bcnt1_i32_b32 s33, s31
	v_mov_b32_e32 v4, s33
	s_delay_alu instid0(VALU_DEP_2)
	v_bcnt_u32_b32 v10, v10, 0
	ds_store_b64 v14, v[4:5]
	s_waitcnt lgkmcnt(0)
	s_barrier
	buffer_gl0_inv
	s_and_saveexec_b32 s33, s0
	s_cbranch_execnz .LBB130_85
; %bb.53:                               ;   in Loop: Header=BB130_52 Depth=1
	s_or_b32 exec_lo, exec_lo, s33
	s_and_saveexec_b32 s33, s1
	s_cbranch_execnz .LBB130_86
.LBB130_54:                             ;   in Loop: Header=BB130_52 Depth=1
	s_or_b32 exec_lo, exec_lo, s33
	s_and_saveexec_b32 s33, s2
	s_cbranch_execnz .LBB130_87
.LBB130_55:                             ;   in Loop: Header=BB130_52 Depth=1
	s_or_b32 exec_lo, exec_lo, s33
	s_and_saveexec_b32 s33, s3
	s_cbranch_execnz .LBB130_88
.LBB130_56:                             ;   in Loop: Header=BB130_52 Depth=1
	s_or_b32 exec_lo, exec_lo, s33
	s_and_saveexec_b32 s33, s4
	s_cbranch_execnz .LBB130_89
.LBB130_57:                             ;   in Loop: Header=BB130_52 Depth=1
	s_or_b32 exec_lo, exec_lo, s33
	s_and_saveexec_b32 s33, s5
	s_cbranch_execnz .LBB130_90
.LBB130_58:                             ;   in Loop: Header=BB130_52 Depth=1
	s_or_b32 exec_lo, exec_lo, s33
	s_and_saveexec_b32 s33, s6
	s_cbranch_execnz .LBB130_91
.LBB130_59:                             ;   in Loop: Header=BB130_52 Depth=1
	s_or_b32 exec_lo, exec_lo, s33
	s_and_saveexec_b32 s33, s7
	s_cbranch_execnz .LBB130_92
.LBB130_60:                             ;   in Loop: Header=BB130_52 Depth=1
	s_or_b32 exec_lo, exec_lo, s33
	s_and_saveexec_b32 s33, s8
	s_cbranch_execnz .LBB130_93
.LBB130_61:                             ;   in Loop: Header=BB130_52 Depth=1
	s_or_b32 exec_lo, exec_lo, s33
	s_and_saveexec_b32 s33, s9
	s_cbranch_execnz .LBB130_94
.LBB130_62:                             ;   in Loop: Header=BB130_52 Depth=1
	s_or_b32 exec_lo, exec_lo, s33
	s_and_saveexec_b32 s33, s10
	s_cbranch_execnz .LBB130_95
.LBB130_63:                             ;   in Loop: Header=BB130_52 Depth=1
	s_or_b32 exec_lo, exec_lo, s33
	s_and_saveexec_b32 s33, s11
	s_cbranch_execnz .LBB130_96
.LBB130_64:                             ;   in Loop: Header=BB130_52 Depth=1
	s_or_b32 exec_lo, exec_lo, s33
	s_and_saveexec_b32 s33, s12
	s_cbranch_execnz .LBB130_97
.LBB130_65:                             ;   in Loop: Header=BB130_52 Depth=1
	s_or_b32 exec_lo, exec_lo, s33
	s_and_saveexec_b32 s33, s13
	s_cbranch_execnz .LBB130_98
.LBB130_66:                             ;   in Loop: Header=BB130_52 Depth=1
	s_or_b32 exec_lo, exec_lo, s33
	s_and_saveexec_b32 s33, s14
	s_cbranch_execnz .LBB130_99
.LBB130_67:                             ;   in Loop: Header=BB130_52 Depth=1
	s_or_b32 exec_lo, exec_lo, s33
	s_and_saveexec_b32 s33, s15
	s_cbranch_execnz .LBB130_100
.LBB130_68:                             ;   in Loop: Header=BB130_52 Depth=1
	s_or_b32 exec_lo, exec_lo, s33
	s_and_saveexec_b32 s33, s16
	s_cbranch_execnz .LBB130_101
.LBB130_69:                             ;   in Loop: Header=BB130_52 Depth=1
	s_or_b32 exec_lo, exec_lo, s33
	s_and_saveexec_b32 s33, s17
	s_cbranch_execnz .LBB130_102
.LBB130_70:                             ;   in Loop: Header=BB130_52 Depth=1
	s_or_b32 exec_lo, exec_lo, s33
	s_and_saveexec_b32 s33, s18
	s_cbranch_execnz .LBB130_103
.LBB130_71:                             ;   in Loop: Header=BB130_52 Depth=1
	s_or_b32 exec_lo, exec_lo, s33
	s_and_saveexec_b32 s33, s19
	s_cbranch_execnz .LBB130_104
.LBB130_72:                             ;   in Loop: Header=BB130_52 Depth=1
	s_or_b32 exec_lo, exec_lo, s33
	s_and_saveexec_b32 s33, s20
	s_cbranch_execnz .LBB130_105
.LBB130_73:                             ;   in Loop: Header=BB130_52 Depth=1
	s_or_b32 exec_lo, exec_lo, s33
	s_and_saveexec_b32 s33, s21
	s_cbranch_execnz .LBB130_106
.LBB130_74:                             ;   in Loop: Header=BB130_52 Depth=1
	s_or_b32 exec_lo, exec_lo, s33
	s_and_saveexec_b32 s33, s22
	s_cbranch_execnz .LBB130_107
.LBB130_75:                             ;   in Loop: Header=BB130_52 Depth=1
	s_or_b32 exec_lo, exec_lo, s33
	s_and_saveexec_b32 s33, s23
	s_cbranch_execnz .LBB130_108
.LBB130_76:                             ;   in Loop: Header=BB130_52 Depth=1
	s_or_b32 exec_lo, exec_lo, s33
	s_and_saveexec_b32 s33, s24
	s_cbranch_execnz .LBB130_109
.LBB130_77:                             ;   in Loop: Header=BB130_52 Depth=1
	s_or_b32 exec_lo, exec_lo, s33
	s_and_saveexec_b32 s33, s25
	s_cbranch_execnz .LBB130_110
.LBB130_78:                             ;   in Loop: Header=BB130_52 Depth=1
	s_or_b32 exec_lo, exec_lo, s33
	s_and_saveexec_b32 s33, s26
	s_cbranch_execnz .LBB130_111
.LBB130_79:                             ;   in Loop: Header=BB130_52 Depth=1
	s_or_b32 exec_lo, exec_lo, s33
	s_and_saveexec_b32 s33, s27
	s_cbranch_execnz .LBB130_112
.LBB130_80:                             ;   in Loop: Header=BB130_52 Depth=1
	s_or_b32 exec_lo, exec_lo, s33
	s_and_saveexec_b32 s33, s28
	s_cbranch_execnz .LBB130_113
.LBB130_81:                             ;   in Loop: Header=BB130_52 Depth=1
	s_or_b32 exec_lo, exec_lo, s33
	s_and_saveexec_b32 s33, s29
	s_cbranch_execnz .LBB130_114
.LBB130_82:                             ;   in Loop: Header=BB130_52 Depth=1
	s_or_b32 exec_lo, exec_lo, s33
	s_and_saveexec_b32 s33, s30
	s_cbranch_execnz .LBB130_115
.LBB130_83:                             ;   in Loop: Header=BB130_52 Depth=1
	s_or_b32 exec_lo, exec_lo, s33
	v_ashrrev_i32_e32 v11, 31, v10
	s_and_saveexec_b32 s33, s31
	s_cbranch_execnz .LBB130_116
.LBB130_84:                             ;   in Loop: Header=BB130_52 Depth=1
	s_or_b32 exec_lo, exec_lo, s33
	s_and_saveexec_b32 s31, vcc_lo
	s_cbranch_execz .LBB130_51
	s_branch .LBB130_117
.LBB130_85:                             ;   in Loop: Header=BB130_52 Depth=1
	v_mov_b32_e32 v4, s37
	ds_load_b32 v4, v4
	s_waitcnt lgkmcnt(0)
	v_add_nc_u32_e32 v10, v4, v10
	s_or_b32 exec_lo, exec_lo, s33
	s_and_saveexec_b32 s33, s1
	s_cbranch_execz .LBB130_54
.LBB130_86:                             ;   in Loop: Header=BB130_52 Depth=1
	v_mov_b32_e32 v4, s39
	ds_load_b32 v4, v4
	s_waitcnt lgkmcnt(0)
	v_add_nc_u32_e32 v10, v10, v4
	s_or_b32 exec_lo, exec_lo, s33
	s_and_saveexec_b32 s33, s2
	s_cbranch_execz .LBB130_55
.LBB130_87:                             ;   in Loop: Header=BB130_52 Depth=1
	v_mov_b32_e32 v4, s46
	ds_load_b32 v4, v4
	s_waitcnt lgkmcnt(0)
	v_add_nc_u32_e32 v10, v10, v4
	s_or_b32 exec_lo, exec_lo, s33
	s_and_saveexec_b32 s33, s3
	s_cbranch_execz .LBB130_56
.LBB130_88:                             ;   in Loop: Header=BB130_52 Depth=1
	v_mov_b32_e32 v4, s47
	ds_load_b32 v4, v4
	s_waitcnt lgkmcnt(0)
	v_add_nc_u32_e32 v10, v10, v4
	s_or_b32 exec_lo, exec_lo, s33
	s_and_saveexec_b32 s33, s4
	s_cbranch_execz .LBB130_57
.LBB130_89:                             ;   in Loop: Header=BB130_52 Depth=1
	v_mov_b32_e32 v4, s48
	ds_load_b32 v4, v4
	s_waitcnt lgkmcnt(0)
	v_add_nc_u32_e32 v10, v10, v4
	s_or_b32 exec_lo, exec_lo, s33
	s_and_saveexec_b32 s33, s5
	s_cbranch_execz .LBB130_58
.LBB130_90:                             ;   in Loop: Header=BB130_52 Depth=1
	v_mov_b32_e32 v4, s49
	ds_load_b32 v4, v4
	s_waitcnt lgkmcnt(0)
	v_add_nc_u32_e32 v10, v10, v4
	s_or_b32 exec_lo, exec_lo, s33
	s_and_saveexec_b32 s33, s6
	s_cbranch_execz .LBB130_59
.LBB130_91:                             ;   in Loop: Header=BB130_52 Depth=1
	v_mov_b32_e32 v4, s50
	ds_load_b32 v4, v4
	s_waitcnt lgkmcnt(0)
	v_add_nc_u32_e32 v10, v10, v4
	s_or_b32 exec_lo, exec_lo, s33
	s_and_saveexec_b32 s33, s7
	s_cbranch_execz .LBB130_60
.LBB130_92:                             ;   in Loop: Header=BB130_52 Depth=1
	v_mov_b32_e32 v4, s51
	ds_load_b32 v4, v4
	s_waitcnt lgkmcnt(0)
	v_add_nc_u32_e32 v10, v10, v4
	s_or_b32 exec_lo, exec_lo, s33
	s_and_saveexec_b32 s33, s8
	s_cbranch_execz .LBB130_61
.LBB130_93:                             ;   in Loop: Header=BB130_52 Depth=1
	v_mov_b32_e32 v4, s52
	ds_load_b32 v4, v4
	s_waitcnt lgkmcnt(0)
	v_add_nc_u32_e32 v10, v10, v4
	s_or_b32 exec_lo, exec_lo, s33
	s_and_saveexec_b32 s33, s9
	s_cbranch_execz .LBB130_62
.LBB130_94:                             ;   in Loop: Header=BB130_52 Depth=1
	v_mov_b32_e32 v4, s53
	ds_load_b32 v4, v4
	s_waitcnt lgkmcnt(0)
	v_add_nc_u32_e32 v10, v10, v4
	s_or_b32 exec_lo, exec_lo, s33
	s_and_saveexec_b32 s33, s10
	s_cbranch_execz .LBB130_63
.LBB130_95:                             ;   in Loop: Header=BB130_52 Depth=1
	v_mov_b32_e32 v4, s54
	ds_load_b32 v4, v4
	s_waitcnt lgkmcnt(0)
	v_add_nc_u32_e32 v10, v10, v4
	s_or_b32 exec_lo, exec_lo, s33
	s_and_saveexec_b32 s33, s11
	s_cbranch_execz .LBB130_64
.LBB130_96:                             ;   in Loop: Header=BB130_52 Depth=1
	v_mov_b32_e32 v4, s55
	ds_load_b32 v4, v4
	s_waitcnt lgkmcnt(0)
	v_add_nc_u32_e32 v10, v10, v4
	s_or_b32 exec_lo, exec_lo, s33
	s_and_saveexec_b32 s33, s12
	s_cbranch_execz .LBB130_65
.LBB130_97:                             ;   in Loop: Header=BB130_52 Depth=1
	v_mov_b32_e32 v4, s56
	ds_load_b32 v4, v4
	s_waitcnt lgkmcnt(0)
	v_add_nc_u32_e32 v10, v10, v4
	s_or_b32 exec_lo, exec_lo, s33
	s_and_saveexec_b32 s33, s13
	s_cbranch_execz .LBB130_66
.LBB130_98:                             ;   in Loop: Header=BB130_52 Depth=1
	v_mov_b32_e32 v4, s57
	ds_load_b32 v4, v4
	s_waitcnt lgkmcnt(0)
	v_add_nc_u32_e32 v10, v10, v4
	s_or_b32 exec_lo, exec_lo, s33
	s_and_saveexec_b32 s33, s14
	s_cbranch_execz .LBB130_67
.LBB130_99:                             ;   in Loop: Header=BB130_52 Depth=1
	v_mov_b32_e32 v4, s58
	ds_load_b32 v4, v4
	s_waitcnt lgkmcnt(0)
	v_add_nc_u32_e32 v10, v10, v4
	s_or_b32 exec_lo, exec_lo, s33
	s_and_saveexec_b32 s33, s15
	s_cbranch_execz .LBB130_68
.LBB130_100:                            ;   in Loop: Header=BB130_52 Depth=1
	v_mov_b32_e32 v4, s59
	ds_load_b32 v4, v4
	s_waitcnt lgkmcnt(0)
	v_add_nc_u32_e32 v10, v10, v4
	s_or_b32 exec_lo, exec_lo, s33
	s_and_saveexec_b32 s33, s16
	s_cbranch_execz .LBB130_69
.LBB130_101:                            ;   in Loop: Header=BB130_52 Depth=1
	v_mov_b32_e32 v4, s60
	ds_load_b32 v4, v4
	s_waitcnt lgkmcnt(0)
	v_add_nc_u32_e32 v10, v10, v4
	s_or_b32 exec_lo, exec_lo, s33
	s_and_saveexec_b32 s33, s17
	s_cbranch_execz .LBB130_70
.LBB130_102:                            ;   in Loop: Header=BB130_52 Depth=1
	v_mov_b32_e32 v4, s61
	ds_load_b32 v4, v4
	s_waitcnt lgkmcnt(0)
	v_add_nc_u32_e32 v10, v10, v4
	s_or_b32 exec_lo, exec_lo, s33
	s_and_saveexec_b32 s33, s18
	s_cbranch_execz .LBB130_71
.LBB130_103:                            ;   in Loop: Header=BB130_52 Depth=1
	v_mov_b32_e32 v4, s62
	ds_load_b32 v4, v4
	s_waitcnt lgkmcnt(0)
	v_add_nc_u32_e32 v10, v10, v4
	s_or_b32 exec_lo, exec_lo, s33
	s_and_saveexec_b32 s33, s19
	s_cbranch_execz .LBB130_72
.LBB130_104:                            ;   in Loop: Header=BB130_52 Depth=1
	v_mov_b32_e32 v4, s63
	ds_load_b32 v4, v4
	s_waitcnt lgkmcnt(0)
	v_add_nc_u32_e32 v10, v10, v4
	s_or_b32 exec_lo, exec_lo, s33
	s_and_saveexec_b32 s33, s20
	s_cbranch_execz .LBB130_73
.LBB130_105:                            ;   in Loop: Header=BB130_52 Depth=1
	v_mov_b32_e32 v4, s64
	ds_load_b32 v4, v4
	s_waitcnt lgkmcnt(0)
	v_add_nc_u32_e32 v10, v10, v4
	s_or_b32 exec_lo, exec_lo, s33
	s_and_saveexec_b32 s33, s21
	s_cbranch_execz .LBB130_74
.LBB130_106:                            ;   in Loop: Header=BB130_52 Depth=1
	v_mov_b32_e32 v4, s65
	ds_load_b32 v4, v4
	s_waitcnt lgkmcnt(0)
	v_add_nc_u32_e32 v10, v10, v4
	s_or_b32 exec_lo, exec_lo, s33
	s_and_saveexec_b32 s33, s22
	s_cbranch_execz .LBB130_75
.LBB130_107:                            ;   in Loop: Header=BB130_52 Depth=1
	v_mov_b32_e32 v4, s66
	ds_load_b32 v4, v4
	s_waitcnt lgkmcnt(0)
	v_add_nc_u32_e32 v10, v10, v4
	s_or_b32 exec_lo, exec_lo, s33
	s_and_saveexec_b32 s33, s23
	s_cbranch_execz .LBB130_76
.LBB130_108:                            ;   in Loop: Header=BB130_52 Depth=1
	v_mov_b32_e32 v4, s67
	ds_load_b32 v4, v4
	s_waitcnt lgkmcnt(0)
	v_add_nc_u32_e32 v10, v10, v4
	s_or_b32 exec_lo, exec_lo, s33
	s_and_saveexec_b32 s33, s24
	s_cbranch_execz .LBB130_77
.LBB130_109:                            ;   in Loop: Header=BB130_52 Depth=1
	v_mov_b32_e32 v4, s68
	ds_load_b32 v4, v4
	s_waitcnt lgkmcnt(0)
	v_add_nc_u32_e32 v10, v10, v4
	s_or_b32 exec_lo, exec_lo, s33
	s_and_saveexec_b32 s33, s25
	s_cbranch_execz .LBB130_78
.LBB130_110:                            ;   in Loop: Header=BB130_52 Depth=1
	v_mov_b32_e32 v4, s69
	ds_load_b32 v4, v4
	s_waitcnt lgkmcnt(0)
	v_add_nc_u32_e32 v10, v10, v4
	s_or_b32 exec_lo, exec_lo, s33
	s_and_saveexec_b32 s33, s26
	s_cbranch_execz .LBB130_79
.LBB130_111:                            ;   in Loop: Header=BB130_52 Depth=1
	v_mov_b32_e32 v4, s70
	ds_load_b32 v4, v4
	s_waitcnt lgkmcnt(0)
	v_add_nc_u32_e32 v10, v10, v4
	s_or_b32 exec_lo, exec_lo, s33
	s_and_saveexec_b32 s33, s27
	s_cbranch_execz .LBB130_80
.LBB130_112:                            ;   in Loop: Header=BB130_52 Depth=1
	v_mov_b32_e32 v4, s72
	ds_load_b32 v4, v4
	s_waitcnt lgkmcnt(0)
	v_add_nc_u32_e32 v10, v10, v4
	s_or_b32 exec_lo, exec_lo, s33
	s_and_saveexec_b32 s33, s28
	s_cbranch_execz .LBB130_81
.LBB130_113:                            ;   in Loop: Header=BB130_52 Depth=1
	v_mov_b32_e32 v4, s73
	ds_load_b32 v4, v4
	s_waitcnt lgkmcnt(0)
	v_add_nc_u32_e32 v10, v10, v4
	s_or_b32 exec_lo, exec_lo, s33
	s_and_saveexec_b32 s33, s29
	s_cbranch_execz .LBB130_82
.LBB130_114:                            ;   in Loop: Header=BB130_52 Depth=1
	v_mov_b32_e32 v4, s74
	ds_load_b32 v4, v4
	s_waitcnt lgkmcnt(0)
	v_add_nc_u32_e32 v10, v10, v4
	s_or_b32 exec_lo, exec_lo, s33
	s_and_saveexec_b32 s33, s30
	s_cbranch_execz .LBB130_83
.LBB130_115:                            ;   in Loop: Header=BB130_52 Depth=1
	v_mov_b32_e32 v4, s75
	ds_load_b32 v4, v4
	s_waitcnt lgkmcnt(0)
	v_add_nc_u32_e32 v10, v10, v4
	s_or_b32 exec_lo, exec_lo, s33
	s_delay_alu instid0(VALU_DEP_1)
	v_ashrrev_i32_e32 v11, 31, v10
	s_and_saveexec_b32 s33, s31
	s_cbranch_execz .LBB130_84
.LBB130_116:                            ;   in Loop: Header=BB130_52 Depth=1
	v_add3_u32 v4, v2, -1, v10
	s_delay_alu instid0(VALU_DEP_1) | instskip(NEXT) | instid1(VALU_DEP_1)
	v_lshl_add_u32 v4, v4, 3, 0
	v_add_nc_u32_e32 v16, 0x8000, v4
	ds_store_b64 v4, v[6:7]
	ds_store_2addr_b32 v16, v8, v9 offset1:1
	s_or_b32 exec_lo, exec_lo, s33
	s_and_saveexec_b32 s31, vcc_lo
	s_cbranch_execz .LBB130_51
.LBB130_117:                            ;   in Loop: Header=BB130_52 Depth=1
	v_mov_b32_e32 v4, s71
	ds_store_b64 v4, v[10:11]
	s_branch .LBB130_51
.LBB130_118:
	s_or_b32 exec_lo, exec_lo, s36
	s_lshl_b64 s[0:1], s[44:45], 3
	v_mov_b32_e32 v1, 0
	s_add_u32 s0, s40, s0
	s_addc_u32 s1, s41, s1
	s_mov_b32 s6, exec_lo
	s_load_b128 s[0:3], s[0:1], 0x0
	s_waitcnt lgkmcnt(0)
	s_sub_u32 s4, s2, s0
	s_subb_u32 s5, s3, s1
	s_delay_alu instid0(SALU_CYCLE_1)
	v_cmpx_gt_i64_e64 s[4:5], v[0:1]
	s_cbranch_execz .LBB130_128
; %bb.119:
	s_sub_u32 s8, s0, s38
	s_subb_u32 s9, s1, 0
	s_and_b32 s6, s4, 7
	s_sub_u32 s0, s0, s2
	s_subb_u32 s1, s1, s3
	s_mov_b32 s7, 0
	v_cmp_lt_u64_e64 s12, s[0:1], -7
	s_and_b32 s2, s4, -8
	s_cmp_lg_u64 s[6:7], 0
	s_mov_b32 s3, s5
	s_cselect_b32 s13, -1, 0
	s_mov_b32 s14, s7
	s_branch .LBB130_121
.LBB130_120:                            ;   in Loop: Header=BB130_121 Depth=1
	v_add_co_u32 v0, vcc_lo, 0x400, v0
	v_add_co_ci_u32_e32 v1, vcc_lo, 0, v1, vcc_lo
	s_waitcnt lgkmcnt(1)
	v_lshlrev_b64 v[4:5], 3, v[6:7]
	s_delay_alu instid0(VALU_DEP_2) | instskip(NEXT) | instid1(VALU_DEP_2)
	v_cmp_le_i64_e32 vcc_lo, s[4:5], v[0:1]
	v_add_co_u32 v4, s0, s34, v4
	s_delay_alu instid0(VALU_DEP_1)
	v_add_co_ci_u32_e64 v5, s0, s35, v5, s0
	s_or_b32 s14, vcc_lo, s14
	s_waitcnt lgkmcnt(0)
	global_store_b64 v[4:5], v[2:3], off
	s_and_not1_b32 exec_lo, exec_lo, s14
	s_cbranch_execz .LBB130_128
.LBB130_121:                            ; =>This Loop Header: Depth=1
                                        ;     Child Loop BB130_123 Depth 2
                                        ;     Child Loop BB130_127 Depth 2
	v_lshl_add_u32 v2, v0, 3, 0
	s_and_not1_b32 vcc_lo, exec_lo, s12
	s_mov_b64 s[0:1], 0
	v_dual_mov_b32 v6, s8 :: v_dual_mov_b32 v7, s9
	s_delay_alu instid0(VALU_DEP_2)
	v_add_nc_u32_e32 v3, 0x8000, v2
	ds_load_b64 v[4:5], v2
	ds_load_2addr_b32 v[2:3], v3 offset1:1
	s_cbranch_vccnz .LBB130_125
; %bb.122:                              ;   in Loop: Header=BB130_121 Depth=1
	v_dual_mov_b32 v6, s8 :: v_dual_mov_b32 v7, s9
	s_mov_b64 s[10:11], 0
	s_mov_b32 s1, 0
.LBB130_123:                            ;   Parent Loop BB130_121 Depth=1
                                        ; =>  This Inner Loop Header: Depth=2
	s_delay_alu instid0(SALU_CYCLE_1)
	v_mov_b32_e32 v20, s1
	s_add_u32 s10, s10, 8
	s_addc_u32 s11, s11, 0
	s_add_i32 s1, s1, 64
	s_cmp_eq_u64 s[2:3], s[10:11]
	ds_load_2addr_b64 v[8:11], v20 offset1:1
	ds_load_2addr_b64 v[12:15], v20 offset0:2 offset1:3
	ds_load_2addr_b64 v[16:19], v20 offset0:4 offset1:5
	;; [unrolled: 1-line block ×3, first 2 shown]
	s_waitcnt lgkmcnt(3)
	v_cmp_gt_i64_e32 vcc_lo, v[4:5], v[8:9]
	v_cndmask_b32_e64 v8, 0, 1, vcc_lo
	v_cmp_gt_i64_e32 vcc_lo, v[4:5], v[10:11]
	v_cndmask_b32_e64 v9, 0, 1, vcc_lo
	s_waitcnt lgkmcnt(2)
	v_cmp_gt_i64_e32 vcc_lo, v[4:5], v[12:13]
	v_cndmask_b32_e64 v10, 0, 1, vcc_lo
	v_cmp_gt_i64_e32 vcc_lo, v[4:5], v[14:15]
	v_cndmask_b32_e64 v11, 0, 1, vcc_lo
	s_waitcnt lgkmcnt(1)
	v_cmp_gt_i64_e32 vcc_lo, v[4:5], v[16:17]
	v_cndmask_b32_e64 v12, 0, 1, vcc_lo
	v_add_co_u32 v6, vcc_lo, v6, v8
	v_add_co_ci_u32_e32 v7, vcc_lo, 0, v7, vcc_lo
	v_cmp_gt_i64_e32 vcc_lo, v[4:5], v[18:19]
	s_delay_alu instid0(VALU_DEP_3) | instskip(NEXT) | instid1(VALU_DEP_1)
	v_add_co_u32 v6, s0, v6, v9
	v_add_co_ci_u32_e64 v7, s0, 0, v7, s0
	v_cndmask_b32_e64 v8, 0, 1, vcc_lo
	s_delay_alu instid0(VALU_DEP_3) | instskip(NEXT) | instid1(VALU_DEP_3)
	v_add_co_u32 v6, vcc_lo, v6, v10
	v_add_co_ci_u32_e32 v7, vcc_lo, 0, v7, vcc_lo
	s_waitcnt lgkmcnt(0)
	v_cmp_gt_i64_e32 vcc_lo, v[4:5], v[20:21]
	s_delay_alu instid0(VALU_DEP_3) | instskip(NEXT) | instid1(VALU_DEP_1)
	v_add_co_u32 v6, s0, v6, v11
	v_add_co_ci_u32_e64 v7, s0, 0, v7, s0
	v_cndmask_b32_e64 v9, 0, 1, vcc_lo
	s_delay_alu instid0(VALU_DEP_3) | instskip(NEXT) | instid1(VALU_DEP_3)
	v_add_co_u32 v6, vcc_lo, v6, v12
	v_add_co_ci_u32_e32 v7, vcc_lo, 0, v7, vcc_lo
	v_cmp_gt_i64_e32 vcc_lo, v[4:5], v[22:23]
	s_delay_alu instid0(VALU_DEP_3) | instskip(NEXT) | instid1(VALU_DEP_1)
	v_add_co_u32 v6, s0, v6, v8
	v_add_co_ci_u32_e64 v7, s0, 0, v7, s0
	v_cndmask_b32_e64 v8, 0, 1, vcc_lo
	s_delay_alu instid0(VALU_DEP_3) | instskip(NEXT) | instid1(VALU_DEP_3)
	v_add_co_u32 v6, vcc_lo, v6, v9
	v_add_co_ci_u32_e32 v7, vcc_lo, 0, v7, vcc_lo
	s_delay_alu instid0(VALU_DEP_2) | instskip(NEXT) | instid1(VALU_DEP_2)
	v_add_co_u32 v6, vcc_lo, v6, v8
	v_add_co_ci_u32_e32 v7, vcc_lo, 0, v7, vcc_lo
	s_cbranch_scc0 .LBB130_123
; %bb.124:                              ;   in Loop: Header=BB130_121 Depth=1
	s_mov_b64 s[0:1], s[2:3]
.LBB130_125:                            ;   in Loop: Header=BB130_121 Depth=1
	s_and_not1_b32 vcc_lo, exec_lo, s13
	s_cbranch_vccnz .LBB130_120
; %bb.126:                              ;   in Loop: Header=BB130_121 Depth=1
	s_lshl_b32 s0, s0, 3
	s_delay_alu instid0(SALU_CYCLE_1)
	s_add_i32 s10, s0, 0
	s_mov_b64 s[0:1], s[6:7]
.LBB130_127:                            ;   Parent Loop BB130_121 Depth=1
                                        ; =>  This Inner Loop Header: Depth=2
	v_mov_b32_e32 v8, s10
	s_add_i32 s10, s10, 8
	s_add_u32 s0, s0, -1
	s_addc_u32 s1, s1, -1
	s_delay_alu instid0(SALU_CYCLE_1) | instskip(SKIP_4) | instid1(VALU_DEP_1)
	s_cmp_lg_u64 s[0:1], 0
	ds_load_b64 v[8:9], v8
	s_waitcnt lgkmcnt(0)
	v_cmp_gt_i64_e32 vcc_lo, v[4:5], v[8:9]
	v_cndmask_b32_e64 v8, 0, 1, vcc_lo
	v_add_co_u32 v6, vcc_lo, v6, v8
	v_add_co_ci_u32_e32 v7, vcc_lo, 0, v7, vcc_lo
	s_cbranch_scc1 .LBB130_127
	s_branch .LBB130_120
.LBB130_128:
	s_nop 0
	s_sendmsg sendmsg(MSG_DEALLOC_VGPRS)
	s_endpgm
	.section	.rodata,"a",@progbits
	.p2align	6, 0x0
	.amdhsa_kernel _ZN9rocsparseL41csrgemm_numeric_fill_block_per_row_kernelILj1024ELj64ELj4096ELj137ELj32Ell21rocsparse_complex_numIfEEEvT5_PKS3_S5_NS_24const_host_device_scalarIT6_EEPKT4_S5_PKS7_SB_S5_SD_S8_SB_S5_SD_SB_S5_PS7_21rocsparse_index_base_SF_SF_SF_bbb
		.amdhsa_group_segment_fixed_size 0
		.amdhsa_private_segment_fixed_size 0
		.amdhsa_kernarg_size 156
		.amdhsa_user_sgpr_count 15
		.amdhsa_user_sgpr_dispatch_ptr 0
		.amdhsa_user_sgpr_queue_ptr 0
		.amdhsa_user_sgpr_kernarg_segment_ptr 1
		.amdhsa_user_sgpr_dispatch_id 0
		.amdhsa_user_sgpr_private_segment_size 0
		.amdhsa_wavefront_size32 1
		.amdhsa_uses_dynamic_stack 0
		.amdhsa_enable_private_segment 0
		.amdhsa_system_sgpr_workgroup_id_x 1
		.amdhsa_system_sgpr_workgroup_id_y 0
		.amdhsa_system_sgpr_workgroup_id_z 0
		.amdhsa_system_sgpr_workgroup_info 0
		.amdhsa_system_vgpr_workitem_id 0
		.amdhsa_next_free_vgpr 24
		.amdhsa_next_free_sgpr 76
		.amdhsa_reserve_vcc 1
		.amdhsa_float_round_mode_32 0
		.amdhsa_float_round_mode_16_64 0
		.amdhsa_float_denorm_mode_32 3
		.amdhsa_float_denorm_mode_16_64 3
		.amdhsa_dx10_clamp 1
		.amdhsa_ieee_mode 1
		.amdhsa_fp16_overflow 0
		.amdhsa_workgroup_processor_mode 1
		.amdhsa_memory_ordered 1
		.amdhsa_forward_progress 0
		.amdhsa_shared_vgpr_count 0
		.amdhsa_exception_fp_ieee_invalid_op 0
		.amdhsa_exception_fp_denorm_src 0
		.amdhsa_exception_fp_ieee_div_zero 0
		.amdhsa_exception_fp_ieee_overflow 0
		.amdhsa_exception_fp_ieee_underflow 0
		.amdhsa_exception_fp_ieee_inexact 0
		.amdhsa_exception_int_div_zero 0
	.end_amdhsa_kernel
	.section	.text._ZN9rocsparseL41csrgemm_numeric_fill_block_per_row_kernelILj1024ELj64ELj4096ELj137ELj32Ell21rocsparse_complex_numIfEEEvT5_PKS3_S5_NS_24const_host_device_scalarIT6_EEPKT4_S5_PKS7_SB_S5_SD_S8_SB_S5_SD_SB_S5_PS7_21rocsparse_index_base_SF_SF_SF_bbb,"axG",@progbits,_ZN9rocsparseL41csrgemm_numeric_fill_block_per_row_kernelILj1024ELj64ELj4096ELj137ELj32Ell21rocsparse_complex_numIfEEEvT5_PKS3_S5_NS_24const_host_device_scalarIT6_EEPKT4_S5_PKS7_SB_S5_SD_S8_SB_S5_SD_SB_S5_PS7_21rocsparse_index_base_SF_SF_SF_bbb,comdat
.Lfunc_end130:
	.size	_ZN9rocsparseL41csrgemm_numeric_fill_block_per_row_kernelILj1024ELj64ELj4096ELj137ELj32Ell21rocsparse_complex_numIfEEEvT5_PKS3_S5_NS_24const_host_device_scalarIT6_EEPKT4_S5_PKS7_SB_S5_SD_S8_SB_S5_SD_SB_S5_PS7_21rocsparse_index_base_SF_SF_SF_bbb, .Lfunc_end130-_ZN9rocsparseL41csrgemm_numeric_fill_block_per_row_kernelILj1024ELj64ELj4096ELj137ELj32Ell21rocsparse_complex_numIfEEEvT5_PKS3_S5_NS_24const_host_device_scalarIT6_EEPKT4_S5_PKS7_SB_S5_SD_S8_SB_S5_SD_SB_S5_PS7_21rocsparse_index_base_SF_SF_SF_bbb
                                        ; -- End function
	.section	.AMDGPU.csdata,"",@progbits
; Kernel info:
; codeLenInByte = 4820
; NumSgprs: 78
; NumVgprs: 24
; ScratchSize: 0
; MemoryBound: 0
; FloatMode: 240
; IeeeMode: 1
; LDSByteSize: 0 bytes/workgroup (compile time only)
; SGPRBlocks: 9
; VGPRBlocks: 2
; NumSGPRsForWavesPerEU: 78
; NumVGPRsForWavesPerEU: 24
; Occupancy: 16
; WaveLimiterHint : 1
; COMPUTE_PGM_RSRC2:SCRATCH_EN: 0
; COMPUTE_PGM_RSRC2:USER_SGPR: 15
; COMPUTE_PGM_RSRC2:TRAP_HANDLER: 0
; COMPUTE_PGM_RSRC2:TGID_X_EN: 1
; COMPUTE_PGM_RSRC2:TGID_Y_EN: 0
; COMPUTE_PGM_RSRC2:TGID_Z_EN: 0
; COMPUTE_PGM_RSRC2:TIDIG_COMP_CNT: 0
	.section	.text._ZN9rocsparseL41csrgemm_numeric_fill_block_per_row_kernelILj1024ELj64ELj4096ELj137ELj64Ell21rocsparse_complex_numIfEEEvT5_PKS3_S5_NS_24const_host_device_scalarIT6_EEPKT4_S5_PKS7_SB_S5_SD_S8_SB_S5_SD_SB_S5_PS7_21rocsparse_index_base_SF_SF_SF_bbb,"axG",@progbits,_ZN9rocsparseL41csrgemm_numeric_fill_block_per_row_kernelILj1024ELj64ELj4096ELj137ELj64Ell21rocsparse_complex_numIfEEEvT5_PKS3_S5_NS_24const_host_device_scalarIT6_EEPKT4_S5_PKS7_SB_S5_SD_S8_SB_S5_SD_SB_S5_PS7_21rocsparse_index_base_SF_SF_SF_bbb,comdat
	.globl	_ZN9rocsparseL41csrgemm_numeric_fill_block_per_row_kernelILj1024ELj64ELj4096ELj137ELj64Ell21rocsparse_complex_numIfEEEvT5_PKS3_S5_NS_24const_host_device_scalarIT6_EEPKT4_S5_PKS7_SB_S5_SD_S8_SB_S5_SD_SB_S5_PS7_21rocsparse_index_base_SF_SF_SF_bbb ; -- Begin function _ZN9rocsparseL41csrgemm_numeric_fill_block_per_row_kernelILj1024ELj64ELj4096ELj137ELj64Ell21rocsparse_complex_numIfEEEvT5_PKS3_S5_NS_24const_host_device_scalarIT6_EEPKT4_S5_PKS7_SB_S5_SD_S8_SB_S5_SD_SB_S5_PS7_21rocsparse_index_base_SF_SF_SF_bbb
	.p2align	8
	.type	_ZN9rocsparseL41csrgemm_numeric_fill_block_per_row_kernelILj1024ELj64ELj4096ELj137ELj64Ell21rocsparse_complex_numIfEEEvT5_PKS3_S5_NS_24const_host_device_scalarIT6_EEPKT4_S5_PKS7_SB_S5_SD_S8_SB_S5_SD_SB_S5_PS7_21rocsparse_index_base_SF_SF_SF_bbb,@function
_ZN9rocsparseL41csrgemm_numeric_fill_block_per_row_kernelILj1024ELj64ELj4096ELj137ELj64Ell21rocsparse_complex_numIfEEEvT5_PKS3_S5_NS_24const_host_device_scalarIT6_EEPKT4_S5_PKS7_SB_S5_SD_S8_SB_S5_SD_SB_S5_PS7_21rocsparse_index_base_SF_SF_SF_bbb: ; @_ZN9rocsparseL41csrgemm_numeric_fill_block_per_row_kernelILj1024ELj64ELj4096ELj137ELj64Ell21rocsparse_complex_numIfEEEvT5_PKS3_S5_NS_24const_host_device_scalarIT6_EEPKT4_S5_PKS7_SB_S5_SD_S8_SB_S5_SD_SB_S5_PS7_21rocsparse_index_base_SF_SF_SF_bbb
; %bb.0:
	s_mov_b32 s40, s15
	s_clause 0x7
	s_load_b32 s33, s[0:1], 0x98
	s_load_b64 s[36:37], s[0:1], 0x70
	s_load_b128 s[24:27], s[0:1], 0x60
	s_load_b256 s[4:11], s[0:1], 0x40
	s_load_b128 s[28:31], s[0:1], 0x8
	s_load_b256 s[12:19], s[0:1], 0x20
	s_load_b64 s[34:35], s[0:1], 0x80
	s_load_b128 s[20:23], s[0:1], 0x88
	s_mov_b32 s3, 0
	s_mov_b32 s42, 0
	s_waitcnt lgkmcnt(0)
	s_bitcmp1_b32 s33, 0
	s_cselect_b32 s44, -1, 0
	s_bitcmp1_b32 s33, 16
	s_cselect_b32 s2, -1, 0
	s_delay_alu instid0(SALU_CYCLE_1) | instskip(SKIP_2) | instid1(VALU_DEP_1)
	s_xor_b32 s38, s2, -1
	s_bitcmp0_b32 s33, 0
	v_cndmask_b32_e64 v1, 0, 1, s38
	v_cmp_ne_u32_e32 vcc_lo, 1, v1
	s_cbranch_scc1 .LBB131_5
; %bb.1:
	s_load_b64 s[2:3], s[0:1], 0x18
	s_and_b32 vcc_lo, exec_lo, vcc_lo
	s_waitcnt lgkmcnt(0)
	s_mov_b32 s42, s2
	s_cbranch_vccnz .LBB131_3
; %bb.2:
	s_load_b32 s42, s[2:3], 0x0
.LBB131_3:
	s_and_not1_b32 vcc_lo, exec_lo, s38
	s_cbranch_vccnz .LBB131_5
; %bb.4:
	s_load_b32 s3, s[2:3], 0x4
.LBB131_5:
	s_bitcmp1_b32 s33, 8
	s_cselect_b32 s43, -1, 0
	s_bfe_u32 s2, s33, 0x10008
	s_mov_b32 s33, 0
	s_cmp_eq_u32 s2, 0
	s_mov_b32 s2, 0
	s_cbranch_scc1 .LBB131_11
; %bb.6:
	v_cmp_ne_u32_e32 vcc_lo, 1, v1
	s_mov_b32 s2, s8
	s_cbranch_vccnz .LBB131_8
; %bb.7:
	s_load_b32 s2, s[8:9], 0x0
.LBB131_8:
	v_cmp_ne_u32_e32 vcc_lo, 1, v1
	s_cbranch_vccnz .LBB131_10
; %bb.9:
	s_load_b32 s9, s[8:9], 0x4
.LBB131_10:
	s_waitcnt lgkmcnt(0)
	s_mov_b32 s33, s9
.LBB131_11:
	s_load_b64 s[38:39], s[0:1], 0x0
	v_lshl_add_u32 v12, v0, 3, 0
	v_or_b32_e32 v13, 0xfffffc00, v0
	v_mov_b32_e32 v3, 0
	s_mov_b32 s0, 0
	s_delay_alu instid0(VALU_DEP_2)
	v_dual_mov_b32 v4, v12 :: v_dual_mov_b32 v5, v13
	s_waitcnt lgkmcnt(0)
	v_dual_mov_b32 v1, s38 :: v_dual_mov_b32 v2, s39
.LBB131_12:                             ; =>This Inner Loop Header: Depth=1
	s_delay_alu instid0(VALU_DEP_2) | instskip(NEXT) | instid1(VALU_DEP_3)
	v_add_nc_u32_e32 v5, 0x400, v5
	v_add_nc_u32_e32 v6, 0x8000, v4
	ds_store_b64 v4, v[1:2]
	v_add_nc_u32_e32 v4, 0x2000, v4
	v_cmp_lt_u32_e32 vcc_lo, 0xbff, v5
	ds_store_2addr_b32 v6, v3, v3 offset1:1
	s_or_b32 s0, vcc_lo, s0
	s_delay_alu instid0(SALU_CYCLE_1)
	s_and_not1_b32 exec_lo, exec_lo, s0
	s_cbranch_execnz .LBB131_12
; %bb.13:
	s_or_b32 exec_lo, exec_lo, s0
	s_waitcnt lgkmcnt(0)
	s_barrier
	buffer_gl0_inv
	s_load_b64 s[0:1], s[28:29], 0x0
	s_mov_b32 s41, 0
	v_lshrrev_b32_e32 v11, 6, v0
	s_waitcnt lgkmcnt(0)
	s_lshl_b64 s[0:1], s[0:1], 3
	s_delay_alu instid0(SALU_CYCLE_1) | instskip(SKIP_2) | instid1(SALU_CYCLE_1)
	s_add_u32 s8, s30, s0
	s_addc_u32 s9, s31, s1
	s_lshl_b64 s[0:1], s[40:41], 3
	s_add_u32 s0, s8, s0
	s_addc_u32 s1, s9, s1
	s_and_b32 vcc_lo, exec_lo, s44
	s_load_b64 s[28:29], s[0:1], 0x0
	s_cbranch_vccz .LBB131_33
; %bb.14:
	s_waitcnt lgkmcnt(0)
	s_lshl_b64 s[0:1], s[28:29], 3
	s_mov_b32 s8, exec_lo
	s_add_u32 s0, s12, s0
	s_addc_u32 s1, s13, s1
	s_load_b128 s[44:47], s[0:1], 0x0
	v_sub_co_u32 v1, s0, v11, s20
	s_delay_alu instid0(VALU_DEP_1) | instskip(SKIP_1) | instid1(VALU_DEP_2)
	v_sub_co_ci_u32_e64 v2, null, 0, 0, s0
	s_waitcnt lgkmcnt(0)
	v_add_co_u32 v1, vcc_lo, s44, v1
	s_delay_alu instid0(VALU_DEP_2)
	v_add_co_ci_u32_e32 v2, vcc_lo, s45, v2, vcc_lo
	s_sub_u32 s0, s46, s20
	s_subb_u32 s1, s47, 0
	s_delay_alu instid0(VALU_DEP_1) | instid1(SALU_CYCLE_1)
	v_cmpx_gt_i64_e64 s[0:1], v[1:2]
	s_cbranch_execz .LBB131_32
; %bb.15:
	v_and_b32_e32 v3, 63, v0
	s_mov_b32 s12, s21
	s_delay_alu instid0(VALU_DEP_1) | instskip(NEXT) | instid1(VALU_DEP_1)
	v_sub_co_u32 v14, s9, v3, s21
	v_sub_co_ci_u32_e64 v15, null, 0, 0, s9
	s_mov_b32 s9, 0
	s_branch .LBB131_17
.LBB131_16:                             ;   in Loop: Header=BB131_17 Depth=1
	s_or_b32 exec_lo, exec_lo, s13
	v_add_co_u32 v1, vcc_lo, v1, 16
	v_add_co_ci_u32_e32 v2, vcc_lo, 0, v2, vcc_lo
	s_delay_alu instid0(VALU_DEP_1) | instskip(SKIP_1) | instid1(SALU_CYCLE_1)
	v_cmp_le_i64_e32 vcc_lo, s[0:1], v[1:2]
	s_or_b32 s9, vcc_lo, s9
	s_and_not1_b32 exec_lo, exec_lo, s9
	s_cbranch_execz .LBB131_32
.LBB131_17:                             ; =>This Loop Header: Depth=1
                                        ;     Child Loop BB131_20 Depth 2
                                        ;       Child Loop BB131_22 Depth 3
	v_lshlrev_b64 v[7:8], 3, v[1:2]
	s_mov_b32 s13, exec_lo
	s_delay_alu instid0(VALU_DEP_1) | instskip(NEXT) | instid1(VALU_DEP_2)
	v_add_co_u32 v3, vcc_lo, s14, v7
	v_add_co_ci_u32_e32 v4, vcc_lo, s15, v8, vcc_lo
	global_load_b64 v[3:4], v[3:4], off
	s_waitcnt vmcnt(0)
	v_sub_co_u32 v3, vcc_lo, v3, s20
	v_subrev_co_ci_u32_e32 v4, vcc_lo, 0, v4, vcc_lo
	s_delay_alu instid0(VALU_DEP_1) | instskip(NEXT) | instid1(VALU_DEP_1)
	v_lshlrev_b64 v[3:4], 3, v[3:4]
	v_add_co_u32 v3, vcc_lo, s18, v3
	s_delay_alu instid0(VALU_DEP_2)
	v_add_co_ci_u32_e32 v4, vcc_lo, s19, v4, vcc_lo
	global_load_b128 v[16:19], v[3:4], off
	s_waitcnt vmcnt(0)
	v_sub_co_u32 v3, vcc_lo, v18, s12
	v_subrev_co_ci_u32_e32 v4, vcc_lo, 0, v19, vcc_lo
	v_add_co_u32 v5, vcc_lo, v16, v14
	v_add_co_ci_u32_e32 v6, vcc_lo, v17, v15, vcc_lo
	s_delay_alu instid0(VALU_DEP_1)
	v_cmpx_lt_i64_e64 v[5:6], v[3:4]
	s_cbranch_execz .LBB131_16
; %bb.18:                               ;   in Loop: Header=BB131_17 Depth=1
	v_add_co_u32 v7, vcc_lo, s16, v7
	v_add_co_ci_u32_e32 v8, vcc_lo, s17, v8, vcc_lo
	s_mov_b32 s21, 0
	global_load_b64 v[7:8], v[7:8], off
	s_waitcnt vmcnt(0)
	v_mul_f32_e64 v16, v8, -s3
	s_delay_alu instid0(VALU_DEP_1) | instskip(NEXT) | instid1(VALU_DEP_1)
	v_dual_mul_f32 v17, s42, v8 :: v_dual_fmac_f32 v16, s42, v7
	v_fmac_f32_e32 v17, s3, v7
	s_branch .LBB131_20
.LBB131_19:                             ;   in Loop: Header=BB131_20 Depth=2
	s_or_b32 exec_lo, exec_lo, s30
	v_add_co_u32 v5, vcc_lo, v5, 64
	v_add_co_ci_u32_e32 v6, vcc_lo, 0, v6, vcc_lo
	s_delay_alu instid0(VALU_DEP_1) | instskip(SKIP_1) | instid1(SALU_CYCLE_1)
	v_cmp_ge_i64_e32 vcc_lo, v[5:6], v[3:4]
	s_or_b32 s21, vcc_lo, s21
	s_and_not1_b32 exec_lo, exec_lo, s21
	s_cbranch_execz .LBB131_16
.LBB131_20:                             ;   Parent Loop BB131_17 Depth=1
                                        ; =>  This Loop Header: Depth=2
                                        ;       Child Loop BB131_22 Depth 3
	v_lshlrev_b64 v[7:8], 3, v[5:6]
	s_mov_b32 s30, 0
	s_delay_alu instid0(VALU_DEP_1) | instskip(NEXT) | instid1(VALU_DEP_2)
	v_add_co_u32 v9, vcc_lo, s4, v7
	v_add_co_ci_u32_e32 v10, vcc_lo, s5, v8, vcc_lo
	v_add_co_u32 v7, vcc_lo, s6, v7
	v_add_co_ci_u32_e32 v8, vcc_lo, s7, v8, vcc_lo
	global_load_b64 v[9:10], v[9:10], off
	global_load_b64 v[20:21], v[7:8], off
	s_waitcnt vmcnt(1)
	v_sub_co_u32 v7, vcc_lo, v9, s12
	v_subrev_co_ci_u32_e32 v8, vcc_lo, 0, v10, vcc_lo
	s_waitcnt vmcnt(0)
	v_mul_f32_e64 v18, v21, -v17
	s_delay_alu instid0(VALU_DEP_3) | instskip(SKIP_1) | instid1(VALU_DEP_3)
	v_mul_lo_u32 v9, 0x89, v7
	v_mul_f32_e32 v19, v16, v21
	v_fmac_f32_e32 v18, v16, v20
	s_delay_alu instid0(VALU_DEP_2)
	v_dual_fmac_f32 v19, v17, v20 :: v_dual_and_b32 v20, 0xfff, v9
	s_branch .LBB131_22
.LBB131_21:                             ;   in Loop: Header=BB131_22 Depth=3
	s_or_b32 exec_lo, exec_lo, s31
	s_xor_b32 s31, s40, -1
	s_delay_alu instid0(SALU_CYCLE_1) | instskip(NEXT) | instid1(SALU_CYCLE_1)
	s_and_b32 s31, exec_lo, s31
	s_or_b32 s30, s31, s30
	s_delay_alu instid0(SALU_CYCLE_1)
	s_and_not1_b32 exec_lo, exec_lo, s30
	s_cbranch_execz .LBB131_19
.LBB131_22:                             ;   Parent Loop BB131_17 Depth=1
                                        ;     Parent Loop BB131_20 Depth=2
                                        ; =>    This Inner Loop Header: Depth=3
	s_delay_alu instid0(VALU_DEP_1)
	v_lshl_add_u32 v21, v20, 3, 0
	s_mov_b32 s31, exec_lo
                                        ; implicit-def: $sgpr40
	ds_load_b64 v[9:10], v21
	s_waitcnt lgkmcnt(0)
	v_cmpx_ne_u64_e64 v[9:10], v[7:8]
	s_xor_b32 s31, exec_lo, s31
	s_cbranch_execz .LBB131_30
; %bb.23:                               ;   in Loop: Header=BB131_22 Depth=3
	s_mov_b32 s41, exec_lo
                                        ; implicit-def: $sgpr40
	v_cmpx_ne_u64_e64 s[38:39], v[9:10]
	s_xor_b32 s41, exec_lo, s41
; %bb.24:                               ;   in Loop: Header=BB131_22 Depth=3
	v_add_nc_u32_e32 v9, 1, v20
	s_mov_b32 s40, -1
                                        ; implicit-def: $vgpr21
	s_delay_alu instid0(VALU_DEP_1)
	v_and_b32_e32 v20, 0xfff, v9
; %bb.25:                               ;   in Loop: Header=BB131_22 Depth=3
	s_and_not1_saveexec_b32 s41, s41
	s_cbranch_execz .LBB131_29
; %bb.26:                               ;   in Loop: Header=BB131_22 Depth=3
	v_dual_mov_b32 v9, s38 :: v_dual_mov_b32 v10, s39
	s_mov_b32 s44, -1
	s_mov_b32 s45, exec_lo
	ds_cmpstore_rtn_b64 v[9:10], v21, v[7:8], v[9:10]
	s_waitcnt lgkmcnt(0)
	v_cmpx_eq_u64_e64 s[38:39], v[9:10]
	s_cbranch_execz .LBB131_28
; %bb.27:                               ;   in Loop: Header=BB131_22 Depth=3
	ds_add_f32 v21, v18 offset:32768
	ds_add_f32 v21, v19 offset:32772
	s_xor_b32 s44, exec_lo, -1
.LBB131_28:                             ;   in Loop: Header=BB131_22 Depth=3
	s_or_b32 exec_lo, exec_lo, s45
	s_delay_alu instid0(SALU_CYCLE_1) | instskip(SKIP_1) | instid1(SALU_CYCLE_1)
	s_and_not1_b32 s40, s40, exec_lo
	s_and_b32 s44, s44, exec_lo
	s_or_b32 s40, s40, s44
.LBB131_29:                             ;   in Loop: Header=BB131_22 Depth=3
	s_or_b32 exec_lo, exec_lo, s41
	s_delay_alu instid0(SALU_CYCLE_1)
	s_and_b32 s40, s40, exec_lo
                                        ; implicit-def: $vgpr21
.LBB131_30:                             ;   in Loop: Header=BB131_22 Depth=3
	s_and_not1_saveexec_b32 s31, s31
	s_cbranch_execz .LBB131_21
; %bb.31:                               ;   in Loop: Header=BB131_22 Depth=3
	ds_add_f32 v21, v18 offset:32768
	ds_add_f32 v21, v19 offset:32772
	s_and_not1_b32 s40, s40, exec_lo
	s_branch .LBB131_21
.LBB131_32:
	s_or_b32 exec_lo, exec_lo, s8
.LBB131_33:
	s_delay_alu instid0(SALU_CYCLE_1)
	s_and_not1_b32 vcc_lo, exec_lo, s43
	s_cbranch_vccnz .LBB131_50
; %bb.34:
	s_waitcnt lgkmcnt(0)
	s_lshl_b64 s[0:1], s[28:29], 3
	s_mov_b32 s3, 0
	s_add_u32 s0, s10, s0
	s_addc_u32 s1, s11, s1
	s_load_b128 s[4:7], s[0:1], 0x0
	v_sub_co_u32 v1, s0, v0, s23
	s_delay_alu instid0(VALU_DEP_1) | instskip(SKIP_1) | instid1(VALU_DEP_2)
	v_sub_co_ci_u32_e64 v2, null, 0, 0, s0
	s_waitcnt lgkmcnt(0)
	v_add_co_u32 v1, vcc_lo, s4, v1
	s_delay_alu instid0(VALU_DEP_2) | instskip(SKIP_3) | instid1(VALU_DEP_1)
	v_add_co_ci_u32_e32 v2, vcc_lo, s5, v2, vcc_lo
	s_sub_u32 s0, s6, s23
	s_subb_u32 s1, s7, 0
	s_mov_b32 s4, exec_lo
	v_cmpx_gt_i64_e64 s[0:1], v[1:2]
	s_cbranch_execz .LBB131_49
; %bb.35:
	s_mov_b32 s5, s23
	s_branch .LBB131_37
.LBB131_36:                             ;   in Loop: Header=BB131_37 Depth=1
	s_or_b32 exec_lo, exec_lo, s6
	v_add_co_u32 v1, vcc_lo, 0x400, v1
	v_add_co_ci_u32_e32 v2, vcc_lo, 0, v2, vcc_lo
	s_delay_alu instid0(VALU_DEP_1) | instskip(SKIP_1) | instid1(SALU_CYCLE_1)
	v_cmp_le_i64_e32 vcc_lo, s[0:1], v[1:2]
	s_or_b32 s3, vcc_lo, s3
	s_and_not1_b32 exec_lo, exec_lo, s3
	s_cbranch_execz .LBB131_49
.LBB131_37:                             ; =>This Loop Header: Depth=1
                                        ;     Child Loop BB131_39 Depth 2
	v_lshlrev_b64 v[3:4], 3, v[1:2]
	s_mov_b32 s6, 0
	s_delay_alu instid0(VALU_DEP_1) | instskip(NEXT) | instid1(VALU_DEP_2)
	v_add_co_u32 v5, vcc_lo, s24, v3
	v_add_co_ci_u32_e32 v6, vcc_lo, s25, v4, vcc_lo
	v_add_co_u32 v3, vcc_lo, s26, v3
	v_add_co_ci_u32_e32 v4, vcc_lo, s27, v4, vcc_lo
	global_load_b64 v[5:6], v[5:6], off
	global_load_b64 v[9:10], v[3:4], off
	s_waitcnt vmcnt(1)
	v_sub_co_u32 v3, vcc_lo, v5, s5
	v_subrev_co_ci_u32_e32 v4, vcc_lo, 0, v6, vcc_lo
	s_waitcnt vmcnt(0)
	v_mul_f32_e64 v7, v10, -s33
	s_delay_alu instid0(VALU_DEP_3) | instskip(NEXT) | instid1(VALU_DEP_2)
	v_mul_lo_u32 v5, 0x89, v3
	v_dual_mul_f32 v8, s2, v10 :: v_dual_fmac_f32 v7, s2, v9
	s_delay_alu instid0(VALU_DEP_1) | instskip(NEXT) | instid1(VALU_DEP_3)
	v_fmac_f32_e32 v8, s33, v9
	v_and_b32_e32 v9, 0xfff, v5
	s_branch .LBB131_39
.LBB131_38:                             ;   in Loop: Header=BB131_39 Depth=2
	s_or_b32 exec_lo, exec_lo, s7
	s_xor_b32 s7, s8, -1
	s_delay_alu instid0(SALU_CYCLE_1) | instskip(NEXT) | instid1(SALU_CYCLE_1)
	s_and_b32 s7, exec_lo, s7
	s_or_b32 s6, s7, s6
	s_delay_alu instid0(SALU_CYCLE_1)
	s_and_not1_b32 exec_lo, exec_lo, s6
	s_cbranch_execz .LBB131_36
.LBB131_39:                             ;   Parent Loop BB131_37 Depth=1
                                        ; =>  This Inner Loop Header: Depth=2
	s_delay_alu instid0(VALU_DEP_1)
	v_lshl_add_u32 v10, v9, 3, 0
	s_mov_b32 s7, exec_lo
                                        ; implicit-def: $sgpr8
	ds_load_b64 v[5:6], v10
	s_waitcnt lgkmcnt(0)
	v_cmpx_ne_u64_e64 v[5:6], v[3:4]
	s_xor_b32 s7, exec_lo, s7
	s_cbranch_execz .LBB131_47
; %bb.40:                               ;   in Loop: Header=BB131_39 Depth=2
	s_mov_b32 s9, exec_lo
                                        ; implicit-def: $sgpr8
	v_cmpx_ne_u64_e64 s[38:39], v[5:6]
	s_xor_b32 s9, exec_lo, s9
; %bb.41:                               ;   in Loop: Header=BB131_39 Depth=2
	v_add_nc_u32_e32 v5, 1, v9
	s_mov_b32 s8, -1
                                        ; implicit-def: $vgpr10
	s_delay_alu instid0(VALU_DEP_1)
	v_and_b32_e32 v9, 0xfff, v5
; %bb.42:                               ;   in Loop: Header=BB131_39 Depth=2
	s_and_not1_saveexec_b32 s9, s9
	s_cbranch_execz .LBB131_46
; %bb.43:                               ;   in Loop: Header=BB131_39 Depth=2
	v_dual_mov_b32 v5, s38 :: v_dual_mov_b32 v6, s39
	s_mov_b32 s10, -1
	s_mov_b32 s11, exec_lo
	ds_cmpstore_rtn_b64 v[5:6], v10, v[3:4], v[5:6]
	s_waitcnt lgkmcnt(0)
	v_cmpx_eq_u64_e64 s[38:39], v[5:6]
	s_cbranch_execz .LBB131_45
; %bb.44:                               ;   in Loop: Header=BB131_39 Depth=2
	ds_add_f32 v10, v7 offset:32768
	ds_add_f32 v10, v8 offset:32772
	s_xor_b32 s10, exec_lo, -1
.LBB131_45:                             ;   in Loop: Header=BB131_39 Depth=2
	s_or_b32 exec_lo, exec_lo, s11
	s_delay_alu instid0(SALU_CYCLE_1) | instskip(SKIP_1) | instid1(SALU_CYCLE_1)
	s_and_not1_b32 s8, s8, exec_lo
	s_and_b32 s10, s10, exec_lo
	s_or_b32 s8, s8, s10
.LBB131_46:                             ;   in Loop: Header=BB131_39 Depth=2
	s_or_b32 exec_lo, exec_lo, s9
	s_delay_alu instid0(SALU_CYCLE_1)
	s_and_b32 s8, s8, exec_lo
                                        ; implicit-def: $vgpr10
.LBB131_47:                             ;   in Loop: Header=BB131_39 Depth=2
	s_and_not1_saveexec_b32 s7, s7
	s_cbranch_execz .LBB131_38
; %bb.48:                               ;   in Loop: Header=BB131_39 Depth=2
	ds_add_f32 v10, v7 offset:32768
	ds_add_f32 v10, v8 offset:32772
	s_and_not1_b32 s8, s8, exec_lo
	s_branch .LBB131_38
.LBB131_49:
	s_or_b32 exec_lo, exec_lo, s4
.LBB131_50:
	v_mbcnt_lo_u32_b32 v1, -1, 0
	v_dual_mov_b32 v5, 0 :: v_dual_lshlrev_b32 v2, 3, v11
	s_add_i32 s33, 0, 0x10078
	v_cmp_eq_u32_e32 vcc_lo, 0x3ff, v0
	s_delay_alu instid0(VALU_DEP_3) | instskip(NEXT) | instid1(VALU_DEP_3)
	v_xor_b32_e32 v1, 63, v1
	v_add3_u32 v14, 0, 0x10000, v2
	v_cmp_lt_u32_e64 s0, 63, v0
	v_cmp_lt_u32_e64 s1, 0x7f, v0
	;; [unrolled: 1-line block ×3, first 2 shown]
	v_lshrrev_b64 v[1:2], v1, -1
	v_dual_mov_b32 v2, 0 :: v_dual_mov_b32 v15, s33
	v_cmp_lt_u32_e64 s3, 0xff, v0
	v_cmp_lt_u32_e64 s4, 0x13f, v0
	;; [unrolled: 1-line block ×12, first 2 shown]
	v_mov_b32_e32 v3, 0
	s_mov_b32 s17, 0
	s_add_i32 s18, 0, 0x10000
	s_add_i32 s19, 0, 0x10008
	;; [unrolled: 1-line block ×15, first 2 shown]
	s_waitcnt lgkmcnt(0)
	s_barrier
	buffer_gl0_inv
	s_branch .LBB131_52
.LBB131_51:                             ;   in Loop: Header=BB131_52 Depth=1
	s_or_b32 exec_lo, exec_lo, s15
	s_waitcnt lgkmcnt(0)
	s_barrier
	buffer_gl0_inv
	ds_load_b64 v[6:7], v15
	v_add_nc_u32_e32 v13, 0x400, v13
	v_add_nc_u32_e32 v12, 0x2000, v12
	s_delay_alu instid0(VALU_DEP_2) | instskip(NEXT) | instid1(VALU_DEP_1)
	v_cmp_lt_u32_e64 s15, 0xbff, v13
	s_or_b32 s17, s15, s17
	s_waitcnt lgkmcnt(0)
	v_add_co_u32 v2, s16, v6, v2
	s_delay_alu instid0(VALU_DEP_1)
	v_add_co_ci_u32_e64 v3, s16, v7, v3, s16
	s_and_not1_b32 exec_lo, exec_lo, s17
	s_cbranch_execz .LBB131_86
.LBB131_52:                             ; =>This Inner Loop Header: Depth=1
	ds_load_b64 v[6:7], v12
	v_add_nc_u32_e32 v4, 0x8000, v12
	ds_load_2addr_b32 v[8:9], v4 offset1:1
	s_waitcnt lgkmcnt(0)
	s_barrier
	buffer_gl0_inv
	v_cmp_gt_i64_e64 s15, s[38:39], v[6:7]
	s_delay_alu instid0(VALU_DEP_1) | instskip(SKIP_1) | instid1(SALU_CYCLE_1)
	v_and_b32_e32 v10, s15, v1
	s_bcnt1_i32_b32 s16, s15
	v_mov_b32_e32 v4, s16
	s_delay_alu instid0(VALU_DEP_2)
	v_bcnt_u32_b32 v10, v10, 0
	ds_store_b64 v14, v[4:5]
	s_waitcnt lgkmcnt(0)
	s_barrier
	buffer_gl0_inv
	s_and_saveexec_b32 s16, s0
	s_cbranch_execnz .LBB131_69
; %bb.53:                               ;   in Loop: Header=BB131_52 Depth=1
	s_or_b32 exec_lo, exec_lo, s16
	s_and_saveexec_b32 s16, s1
	s_cbranch_execnz .LBB131_70
.LBB131_54:                             ;   in Loop: Header=BB131_52 Depth=1
	s_or_b32 exec_lo, exec_lo, s16
	s_and_saveexec_b32 s16, s2
	s_cbranch_execnz .LBB131_71
.LBB131_55:                             ;   in Loop: Header=BB131_52 Depth=1
	s_or_b32 exec_lo, exec_lo, s16
	s_and_saveexec_b32 s16, s3
	s_cbranch_execnz .LBB131_72
.LBB131_56:                             ;   in Loop: Header=BB131_52 Depth=1
	s_or_b32 exec_lo, exec_lo, s16
	s_and_saveexec_b32 s16, s4
	s_cbranch_execnz .LBB131_73
.LBB131_57:                             ;   in Loop: Header=BB131_52 Depth=1
	s_or_b32 exec_lo, exec_lo, s16
	s_and_saveexec_b32 s16, s5
	s_cbranch_execnz .LBB131_74
.LBB131_58:                             ;   in Loop: Header=BB131_52 Depth=1
	s_or_b32 exec_lo, exec_lo, s16
	s_and_saveexec_b32 s16, s6
	s_cbranch_execnz .LBB131_75
.LBB131_59:                             ;   in Loop: Header=BB131_52 Depth=1
	s_or_b32 exec_lo, exec_lo, s16
	s_and_saveexec_b32 s16, s7
	s_cbranch_execnz .LBB131_76
.LBB131_60:                             ;   in Loop: Header=BB131_52 Depth=1
	s_or_b32 exec_lo, exec_lo, s16
	s_and_saveexec_b32 s16, s8
	s_cbranch_execnz .LBB131_77
.LBB131_61:                             ;   in Loop: Header=BB131_52 Depth=1
	s_or_b32 exec_lo, exec_lo, s16
	s_and_saveexec_b32 s16, s9
	s_cbranch_execnz .LBB131_78
.LBB131_62:                             ;   in Loop: Header=BB131_52 Depth=1
	s_or_b32 exec_lo, exec_lo, s16
	s_and_saveexec_b32 s16, s10
	s_cbranch_execnz .LBB131_79
.LBB131_63:                             ;   in Loop: Header=BB131_52 Depth=1
	s_or_b32 exec_lo, exec_lo, s16
	s_and_saveexec_b32 s16, s11
	s_cbranch_execnz .LBB131_80
.LBB131_64:                             ;   in Loop: Header=BB131_52 Depth=1
	s_or_b32 exec_lo, exec_lo, s16
	s_and_saveexec_b32 s16, s12
	s_cbranch_execnz .LBB131_81
.LBB131_65:                             ;   in Loop: Header=BB131_52 Depth=1
	s_or_b32 exec_lo, exec_lo, s16
	s_and_saveexec_b32 s16, s13
	s_cbranch_execnz .LBB131_82
.LBB131_66:                             ;   in Loop: Header=BB131_52 Depth=1
	s_or_b32 exec_lo, exec_lo, s16
	s_and_saveexec_b32 s16, s14
	s_cbranch_execnz .LBB131_83
.LBB131_67:                             ;   in Loop: Header=BB131_52 Depth=1
	s_or_b32 exec_lo, exec_lo, s16
	v_ashrrev_i32_e32 v11, 31, v10
	s_and_saveexec_b32 s16, s15
	s_cbranch_execnz .LBB131_84
.LBB131_68:                             ;   in Loop: Header=BB131_52 Depth=1
	s_or_b32 exec_lo, exec_lo, s16
	s_and_saveexec_b32 s15, vcc_lo
	s_cbranch_execz .LBB131_51
	s_branch .LBB131_85
.LBB131_69:                             ;   in Loop: Header=BB131_52 Depth=1
	v_mov_b32_e32 v4, s18
	ds_load_b32 v4, v4
	s_waitcnt lgkmcnt(0)
	v_add_nc_u32_e32 v10, v4, v10
	s_or_b32 exec_lo, exec_lo, s16
	s_and_saveexec_b32 s16, s1
	s_cbranch_execz .LBB131_54
.LBB131_70:                             ;   in Loop: Header=BB131_52 Depth=1
	v_mov_b32_e32 v4, s19
	ds_load_b32 v4, v4
	s_waitcnt lgkmcnt(0)
	v_add_nc_u32_e32 v10, v10, v4
	s_or_b32 exec_lo, exec_lo, s16
	s_and_saveexec_b32 s16, s2
	s_cbranch_execz .LBB131_55
.LBB131_71:                             ;   in Loop: Header=BB131_52 Depth=1
	v_mov_b32_e32 v4, s20
	ds_load_b32 v4, v4
	s_waitcnt lgkmcnt(0)
	v_add_nc_u32_e32 v10, v10, v4
	s_or_b32 exec_lo, exec_lo, s16
	s_and_saveexec_b32 s16, s3
	s_cbranch_execz .LBB131_56
.LBB131_72:                             ;   in Loop: Header=BB131_52 Depth=1
	v_mov_b32_e32 v4, s21
	ds_load_b32 v4, v4
	s_waitcnt lgkmcnt(0)
	v_add_nc_u32_e32 v10, v10, v4
	s_or_b32 exec_lo, exec_lo, s16
	s_and_saveexec_b32 s16, s4
	s_cbranch_execz .LBB131_57
.LBB131_73:                             ;   in Loop: Header=BB131_52 Depth=1
	v_mov_b32_e32 v4, s23
	ds_load_b32 v4, v4
	s_waitcnt lgkmcnt(0)
	v_add_nc_u32_e32 v10, v10, v4
	s_or_b32 exec_lo, exec_lo, s16
	s_and_saveexec_b32 s16, s5
	s_cbranch_execz .LBB131_58
.LBB131_74:                             ;   in Loop: Header=BB131_52 Depth=1
	v_mov_b32_e32 v4, s24
	ds_load_b32 v4, v4
	s_waitcnt lgkmcnt(0)
	v_add_nc_u32_e32 v10, v10, v4
	s_or_b32 exec_lo, exec_lo, s16
	s_and_saveexec_b32 s16, s6
	s_cbranch_execz .LBB131_59
.LBB131_75:                             ;   in Loop: Header=BB131_52 Depth=1
	v_mov_b32_e32 v4, s25
	ds_load_b32 v4, v4
	s_waitcnt lgkmcnt(0)
	v_add_nc_u32_e32 v10, v10, v4
	s_or_b32 exec_lo, exec_lo, s16
	s_and_saveexec_b32 s16, s7
	s_cbranch_execz .LBB131_60
.LBB131_76:                             ;   in Loop: Header=BB131_52 Depth=1
	v_mov_b32_e32 v4, s26
	ds_load_b32 v4, v4
	s_waitcnt lgkmcnt(0)
	v_add_nc_u32_e32 v10, v10, v4
	s_or_b32 exec_lo, exec_lo, s16
	s_and_saveexec_b32 s16, s8
	s_cbranch_execz .LBB131_61
.LBB131_77:                             ;   in Loop: Header=BB131_52 Depth=1
	v_mov_b32_e32 v4, s27
	ds_load_b32 v4, v4
	s_waitcnt lgkmcnt(0)
	v_add_nc_u32_e32 v10, v10, v4
	s_or_b32 exec_lo, exec_lo, s16
	s_and_saveexec_b32 s16, s9
	s_cbranch_execz .LBB131_62
.LBB131_78:                             ;   in Loop: Header=BB131_52 Depth=1
	v_mov_b32_e32 v4, s30
	ds_load_b32 v4, v4
	s_waitcnt lgkmcnt(0)
	v_add_nc_u32_e32 v10, v10, v4
	s_or_b32 exec_lo, exec_lo, s16
	s_and_saveexec_b32 s16, s10
	s_cbranch_execz .LBB131_63
.LBB131_79:                             ;   in Loop: Header=BB131_52 Depth=1
	v_mov_b32_e32 v4, s31
	ds_load_b32 v4, v4
	s_waitcnt lgkmcnt(0)
	v_add_nc_u32_e32 v10, v10, v4
	s_or_b32 exec_lo, exec_lo, s16
	s_and_saveexec_b32 s16, s11
	s_cbranch_execz .LBB131_64
.LBB131_80:                             ;   in Loop: Header=BB131_52 Depth=1
	v_mov_b32_e32 v4, s40
	ds_load_b32 v4, v4
	s_waitcnt lgkmcnt(0)
	v_add_nc_u32_e32 v10, v10, v4
	s_or_b32 exec_lo, exec_lo, s16
	s_and_saveexec_b32 s16, s12
	s_cbranch_execz .LBB131_65
.LBB131_81:                             ;   in Loop: Header=BB131_52 Depth=1
	v_mov_b32_e32 v4, s41
	ds_load_b32 v4, v4
	s_waitcnt lgkmcnt(0)
	v_add_nc_u32_e32 v10, v10, v4
	s_or_b32 exec_lo, exec_lo, s16
	s_and_saveexec_b32 s16, s13
	s_cbranch_execz .LBB131_66
.LBB131_82:                             ;   in Loop: Header=BB131_52 Depth=1
	v_mov_b32_e32 v4, s42
	ds_load_b32 v4, v4
	s_waitcnt lgkmcnt(0)
	v_add_nc_u32_e32 v10, v10, v4
	s_or_b32 exec_lo, exec_lo, s16
	s_and_saveexec_b32 s16, s14
	s_cbranch_execz .LBB131_67
.LBB131_83:                             ;   in Loop: Header=BB131_52 Depth=1
	v_mov_b32_e32 v4, s43
	ds_load_b32 v4, v4
	s_waitcnt lgkmcnt(0)
	v_add_nc_u32_e32 v10, v10, v4
	s_or_b32 exec_lo, exec_lo, s16
	s_delay_alu instid0(VALU_DEP_1)
	v_ashrrev_i32_e32 v11, 31, v10
	s_and_saveexec_b32 s16, s15
	s_cbranch_execz .LBB131_68
.LBB131_84:                             ;   in Loop: Header=BB131_52 Depth=1
	v_add3_u32 v4, v2, -1, v10
	s_delay_alu instid0(VALU_DEP_1) | instskip(NEXT) | instid1(VALU_DEP_1)
	v_lshl_add_u32 v4, v4, 3, 0
	v_add_nc_u32_e32 v16, 0x8000, v4
	ds_store_b64 v4, v[6:7]
	ds_store_2addr_b32 v16, v8, v9 offset1:1
	s_or_b32 exec_lo, exec_lo, s16
	s_and_saveexec_b32 s15, vcc_lo
	s_cbranch_execz .LBB131_51
.LBB131_85:                             ;   in Loop: Header=BB131_52 Depth=1
	v_mov_b32_e32 v4, s33
	ds_store_b64 v4, v[10:11]
	s_branch .LBB131_51
.LBB131_86:
	s_or_b32 exec_lo, exec_lo, s17
	s_lshl_b64 s[0:1], s[28:29], 3
	v_mov_b32_e32 v1, 0
	s_add_u32 s0, s36, s0
	s_addc_u32 s1, s37, s1
	s_mov_b32 s6, exec_lo
	s_load_b128 s[0:3], s[0:1], 0x0
	s_waitcnt lgkmcnt(0)
	s_sub_u32 s4, s2, s0
	s_subb_u32 s5, s3, s1
	s_delay_alu instid0(SALU_CYCLE_1)
	v_cmpx_gt_i64_e64 s[4:5], v[0:1]
	s_cbranch_execz .LBB131_96
; %bb.87:
	s_sub_u32 s8, s0, s22
	s_subb_u32 s9, s1, 0
	s_and_b32 s6, s4, 7
	s_sub_u32 s0, s0, s2
	s_subb_u32 s1, s1, s3
	s_mov_b32 s7, 0
	v_cmp_lt_u64_e64 s12, s[0:1], -7
	s_and_b32 s2, s4, -8
	s_cmp_lg_u64 s[6:7], 0
	s_mov_b32 s3, s5
	s_cselect_b32 s13, -1, 0
	s_mov_b32 s14, s7
	s_branch .LBB131_89
.LBB131_88:                             ;   in Loop: Header=BB131_89 Depth=1
	v_add_co_u32 v0, vcc_lo, 0x400, v0
	v_add_co_ci_u32_e32 v1, vcc_lo, 0, v1, vcc_lo
	s_waitcnt lgkmcnt(1)
	v_lshlrev_b64 v[4:5], 3, v[6:7]
	s_delay_alu instid0(VALU_DEP_2) | instskip(NEXT) | instid1(VALU_DEP_2)
	v_cmp_le_i64_e32 vcc_lo, s[4:5], v[0:1]
	v_add_co_u32 v4, s0, s34, v4
	s_delay_alu instid0(VALU_DEP_1)
	v_add_co_ci_u32_e64 v5, s0, s35, v5, s0
	s_or_b32 s14, vcc_lo, s14
	s_waitcnt lgkmcnt(0)
	global_store_b64 v[4:5], v[2:3], off
	s_and_not1_b32 exec_lo, exec_lo, s14
	s_cbranch_execz .LBB131_96
.LBB131_89:                             ; =>This Loop Header: Depth=1
                                        ;     Child Loop BB131_91 Depth 2
                                        ;     Child Loop BB131_95 Depth 2
	v_lshl_add_u32 v2, v0, 3, 0
	s_and_not1_b32 vcc_lo, exec_lo, s12
	s_mov_b64 s[0:1], 0
	v_dual_mov_b32 v6, s8 :: v_dual_mov_b32 v7, s9
	s_delay_alu instid0(VALU_DEP_2)
	v_add_nc_u32_e32 v3, 0x8000, v2
	ds_load_b64 v[4:5], v2
	ds_load_2addr_b32 v[2:3], v3 offset1:1
	s_cbranch_vccnz .LBB131_93
; %bb.90:                               ;   in Loop: Header=BB131_89 Depth=1
	v_dual_mov_b32 v6, s8 :: v_dual_mov_b32 v7, s9
	s_mov_b64 s[10:11], 0
	s_mov_b32 s1, 0
.LBB131_91:                             ;   Parent Loop BB131_89 Depth=1
                                        ; =>  This Inner Loop Header: Depth=2
	s_delay_alu instid0(SALU_CYCLE_1)
	v_mov_b32_e32 v20, s1
	s_add_u32 s10, s10, 8
	s_addc_u32 s11, s11, 0
	s_add_i32 s1, s1, 64
	s_cmp_eq_u64 s[2:3], s[10:11]
	ds_load_2addr_b64 v[8:11], v20 offset1:1
	ds_load_2addr_b64 v[12:15], v20 offset0:2 offset1:3
	ds_load_2addr_b64 v[16:19], v20 offset0:4 offset1:5
	;; [unrolled: 1-line block ×3, first 2 shown]
	s_waitcnt lgkmcnt(3)
	v_cmp_gt_i64_e32 vcc_lo, v[4:5], v[8:9]
	v_cndmask_b32_e64 v8, 0, 1, vcc_lo
	v_cmp_gt_i64_e32 vcc_lo, v[4:5], v[10:11]
	v_cndmask_b32_e64 v9, 0, 1, vcc_lo
	s_waitcnt lgkmcnt(2)
	v_cmp_gt_i64_e32 vcc_lo, v[4:5], v[12:13]
	v_cndmask_b32_e64 v10, 0, 1, vcc_lo
	v_cmp_gt_i64_e32 vcc_lo, v[4:5], v[14:15]
	v_cndmask_b32_e64 v11, 0, 1, vcc_lo
	s_waitcnt lgkmcnt(1)
	v_cmp_gt_i64_e32 vcc_lo, v[4:5], v[16:17]
	v_cndmask_b32_e64 v12, 0, 1, vcc_lo
	v_add_co_u32 v6, vcc_lo, v6, v8
	v_add_co_ci_u32_e32 v7, vcc_lo, 0, v7, vcc_lo
	v_cmp_gt_i64_e32 vcc_lo, v[4:5], v[18:19]
	s_delay_alu instid0(VALU_DEP_3) | instskip(NEXT) | instid1(VALU_DEP_1)
	v_add_co_u32 v6, s0, v6, v9
	v_add_co_ci_u32_e64 v7, s0, 0, v7, s0
	v_cndmask_b32_e64 v8, 0, 1, vcc_lo
	s_delay_alu instid0(VALU_DEP_3) | instskip(NEXT) | instid1(VALU_DEP_3)
	v_add_co_u32 v6, vcc_lo, v6, v10
	v_add_co_ci_u32_e32 v7, vcc_lo, 0, v7, vcc_lo
	s_waitcnt lgkmcnt(0)
	v_cmp_gt_i64_e32 vcc_lo, v[4:5], v[20:21]
	s_delay_alu instid0(VALU_DEP_3) | instskip(NEXT) | instid1(VALU_DEP_1)
	v_add_co_u32 v6, s0, v6, v11
	v_add_co_ci_u32_e64 v7, s0, 0, v7, s0
	v_cndmask_b32_e64 v9, 0, 1, vcc_lo
	s_delay_alu instid0(VALU_DEP_3) | instskip(NEXT) | instid1(VALU_DEP_3)
	v_add_co_u32 v6, vcc_lo, v6, v12
	v_add_co_ci_u32_e32 v7, vcc_lo, 0, v7, vcc_lo
	v_cmp_gt_i64_e32 vcc_lo, v[4:5], v[22:23]
	s_delay_alu instid0(VALU_DEP_3) | instskip(NEXT) | instid1(VALU_DEP_1)
	v_add_co_u32 v6, s0, v6, v8
	v_add_co_ci_u32_e64 v7, s0, 0, v7, s0
	v_cndmask_b32_e64 v8, 0, 1, vcc_lo
	s_delay_alu instid0(VALU_DEP_3) | instskip(NEXT) | instid1(VALU_DEP_3)
	v_add_co_u32 v6, vcc_lo, v6, v9
	v_add_co_ci_u32_e32 v7, vcc_lo, 0, v7, vcc_lo
	s_delay_alu instid0(VALU_DEP_2) | instskip(NEXT) | instid1(VALU_DEP_2)
	v_add_co_u32 v6, vcc_lo, v6, v8
	v_add_co_ci_u32_e32 v7, vcc_lo, 0, v7, vcc_lo
	s_cbranch_scc0 .LBB131_91
; %bb.92:                               ;   in Loop: Header=BB131_89 Depth=1
	s_mov_b64 s[0:1], s[2:3]
.LBB131_93:                             ;   in Loop: Header=BB131_89 Depth=1
	s_and_not1_b32 vcc_lo, exec_lo, s13
	s_cbranch_vccnz .LBB131_88
; %bb.94:                               ;   in Loop: Header=BB131_89 Depth=1
	s_lshl_b32 s0, s0, 3
	s_delay_alu instid0(SALU_CYCLE_1)
	s_add_i32 s10, s0, 0
	s_mov_b64 s[0:1], s[6:7]
.LBB131_95:                             ;   Parent Loop BB131_89 Depth=1
                                        ; =>  This Inner Loop Header: Depth=2
	v_mov_b32_e32 v8, s10
	s_add_i32 s10, s10, 8
	s_add_u32 s0, s0, -1
	s_addc_u32 s1, s1, -1
	s_delay_alu instid0(SALU_CYCLE_1) | instskip(SKIP_4) | instid1(VALU_DEP_1)
	s_cmp_lg_u64 s[0:1], 0
	ds_load_b64 v[8:9], v8
	s_waitcnt lgkmcnt(0)
	v_cmp_gt_i64_e32 vcc_lo, v[4:5], v[8:9]
	v_cndmask_b32_e64 v8, 0, 1, vcc_lo
	v_add_co_u32 v6, vcc_lo, v6, v8
	v_add_co_ci_u32_e32 v7, vcc_lo, 0, v7, vcc_lo
	s_cbranch_scc1 .LBB131_95
	s_branch .LBB131_88
.LBB131_96:
	s_nop 0
	s_sendmsg sendmsg(MSG_DEALLOC_VGPRS)
	s_endpgm
	.section	.rodata,"a",@progbits
	.p2align	6, 0x0
	.amdhsa_kernel _ZN9rocsparseL41csrgemm_numeric_fill_block_per_row_kernelILj1024ELj64ELj4096ELj137ELj64Ell21rocsparse_complex_numIfEEEvT5_PKS3_S5_NS_24const_host_device_scalarIT6_EEPKT4_S5_PKS7_SB_S5_SD_S8_SB_S5_SD_SB_S5_PS7_21rocsparse_index_base_SF_SF_SF_bbb
		.amdhsa_group_segment_fixed_size 0
		.amdhsa_private_segment_fixed_size 0
		.amdhsa_kernarg_size 156
		.amdhsa_user_sgpr_count 15
		.amdhsa_user_sgpr_dispatch_ptr 0
		.amdhsa_user_sgpr_queue_ptr 0
		.amdhsa_user_sgpr_kernarg_segment_ptr 1
		.amdhsa_user_sgpr_dispatch_id 0
		.amdhsa_user_sgpr_private_segment_size 0
		.amdhsa_wavefront_size32 1
		.amdhsa_uses_dynamic_stack 0
		.amdhsa_enable_private_segment 0
		.amdhsa_system_sgpr_workgroup_id_x 1
		.amdhsa_system_sgpr_workgroup_id_y 0
		.amdhsa_system_sgpr_workgroup_id_z 0
		.amdhsa_system_sgpr_workgroup_info 0
		.amdhsa_system_vgpr_workitem_id 0
		.amdhsa_next_free_vgpr 24
		.amdhsa_next_free_sgpr 48
		.amdhsa_reserve_vcc 1
		.amdhsa_float_round_mode_32 0
		.amdhsa_float_round_mode_16_64 0
		.amdhsa_float_denorm_mode_32 3
		.amdhsa_float_denorm_mode_16_64 3
		.amdhsa_dx10_clamp 1
		.amdhsa_ieee_mode 1
		.amdhsa_fp16_overflow 0
		.amdhsa_workgroup_processor_mode 1
		.amdhsa_memory_ordered 1
		.amdhsa_forward_progress 0
		.amdhsa_shared_vgpr_count 0
		.amdhsa_exception_fp_ieee_invalid_op 0
		.amdhsa_exception_fp_denorm_src 0
		.amdhsa_exception_fp_ieee_div_zero 0
		.amdhsa_exception_fp_ieee_overflow 0
		.amdhsa_exception_fp_ieee_underflow 0
		.amdhsa_exception_fp_ieee_inexact 0
		.amdhsa_exception_int_div_zero 0
	.end_amdhsa_kernel
	.section	.text._ZN9rocsparseL41csrgemm_numeric_fill_block_per_row_kernelILj1024ELj64ELj4096ELj137ELj64Ell21rocsparse_complex_numIfEEEvT5_PKS3_S5_NS_24const_host_device_scalarIT6_EEPKT4_S5_PKS7_SB_S5_SD_S8_SB_S5_SD_SB_S5_PS7_21rocsparse_index_base_SF_SF_SF_bbb,"axG",@progbits,_ZN9rocsparseL41csrgemm_numeric_fill_block_per_row_kernelILj1024ELj64ELj4096ELj137ELj64Ell21rocsparse_complex_numIfEEEvT5_PKS3_S5_NS_24const_host_device_scalarIT6_EEPKT4_S5_PKS7_SB_S5_SD_S8_SB_S5_SD_SB_S5_PS7_21rocsparse_index_base_SF_SF_SF_bbb,comdat
.Lfunc_end131:
	.size	_ZN9rocsparseL41csrgemm_numeric_fill_block_per_row_kernelILj1024ELj64ELj4096ELj137ELj64Ell21rocsparse_complex_numIfEEEvT5_PKS3_S5_NS_24const_host_device_scalarIT6_EEPKT4_S5_PKS7_SB_S5_SD_S8_SB_S5_SD_SB_S5_PS7_21rocsparse_index_base_SF_SF_SF_bbb, .Lfunc_end131-_ZN9rocsparseL41csrgemm_numeric_fill_block_per_row_kernelILj1024ELj64ELj4096ELj137ELj64Ell21rocsparse_complex_numIfEEEvT5_PKS3_S5_NS_24const_host_device_scalarIT6_EEPKT4_S5_PKS7_SB_S5_SD_S8_SB_S5_SD_SB_S5_PS7_21rocsparse_index_base_SF_SF_SF_bbb
                                        ; -- End function
	.section	.AMDGPU.csdata,"",@progbits
; Kernel info:
; codeLenInByte = 3792
; NumSgprs: 50
; NumVgprs: 24
; ScratchSize: 0
; MemoryBound: 0
; FloatMode: 240
; IeeeMode: 1
; LDSByteSize: 0 bytes/workgroup (compile time only)
; SGPRBlocks: 6
; VGPRBlocks: 2
; NumSGPRsForWavesPerEU: 50
; NumVGPRsForWavesPerEU: 24
; Occupancy: 16
; WaveLimiterHint : 1
; COMPUTE_PGM_RSRC2:SCRATCH_EN: 0
; COMPUTE_PGM_RSRC2:USER_SGPR: 15
; COMPUTE_PGM_RSRC2:TRAP_HANDLER: 0
; COMPUTE_PGM_RSRC2:TGID_X_EN: 1
; COMPUTE_PGM_RSRC2:TGID_Y_EN: 0
; COMPUTE_PGM_RSRC2:TGID_Z_EN: 0
; COMPUTE_PGM_RSRC2:TIDIG_COMP_CNT: 0
	.section	.text._ZN9rocsparseL41csrgemm_numeric_fill_block_per_row_kernelILj1024ELj64ELj8192ELj137ELj32Ell21rocsparse_complex_numIfEEEvT5_PKS3_S5_NS_24const_host_device_scalarIT6_EEPKT4_S5_PKS7_SB_S5_SD_S8_SB_S5_SD_SB_S5_PS7_21rocsparse_index_base_SF_SF_SF_bbb,"axG",@progbits,_ZN9rocsparseL41csrgemm_numeric_fill_block_per_row_kernelILj1024ELj64ELj8192ELj137ELj32Ell21rocsparse_complex_numIfEEEvT5_PKS3_S5_NS_24const_host_device_scalarIT6_EEPKT4_S5_PKS7_SB_S5_SD_S8_SB_S5_SD_SB_S5_PS7_21rocsparse_index_base_SF_SF_SF_bbb,comdat
	.globl	_ZN9rocsparseL41csrgemm_numeric_fill_block_per_row_kernelILj1024ELj64ELj8192ELj137ELj32Ell21rocsparse_complex_numIfEEEvT5_PKS3_S5_NS_24const_host_device_scalarIT6_EEPKT4_S5_PKS7_SB_S5_SD_S8_SB_S5_SD_SB_S5_PS7_21rocsparse_index_base_SF_SF_SF_bbb ; -- Begin function _ZN9rocsparseL41csrgemm_numeric_fill_block_per_row_kernelILj1024ELj64ELj8192ELj137ELj32Ell21rocsparse_complex_numIfEEEvT5_PKS3_S5_NS_24const_host_device_scalarIT6_EEPKT4_S5_PKS7_SB_S5_SD_S8_SB_S5_SD_SB_S5_PS7_21rocsparse_index_base_SF_SF_SF_bbb
	.p2align	8
	.type	_ZN9rocsparseL41csrgemm_numeric_fill_block_per_row_kernelILj1024ELj64ELj8192ELj137ELj32Ell21rocsparse_complex_numIfEEEvT5_PKS3_S5_NS_24const_host_device_scalarIT6_EEPKT4_S5_PKS7_SB_S5_SD_S8_SB_S5_SD_SB_S5_PS7_21rocsparse_index_base_SF_SF_SF_bbb,@function
_ZN9rocsparseL41csrgemm_numeric_fill_block_per_row_kernelILj1024ELj64ELj8192ELj137ELj32Ell21rocsparse_complex_numIfEEEvT5_PKS3_S5_NS_24const_host_device_scalarIT6_EEPKT4_S5_PKS7_SB_S5_SD_S8_SB_S5_SD_SB_S5_PS7_21rocsparse_index_base_SF_SF_SF_bbb: ; @_ZN9rocsparseL41csrgemm_numeric_fill_block_per_row_kernelILj1024ELj64ELj8192ELj137ELj32Ell21rocsparse_complex_numIfEEEvT5_PKS3_S5_NS_24const_host_device_scalarIT6_EEPKT4_S5_PKS7_SB_S5_SD_S8_SB_S5_SD_SB_S5_PS7_21rocsparse_index_base_SF_SF_SF_bbb
; %bb.0:
	s_mov_b32 s28, s15
	s_clause 0x7
	s_load_b32 s29, s[0:1], 0x98
	s_load_b64 s[40:41], s[0:1], 0x70
	s_load_b128 s[20:23], s[0:1], 0x60
	s_load_b256 s[4:11], s[0:1], 0x40
	s_load_b128 s[24:27], s[0:1], 0x8
	s_load_b256 s[12:19], s[0:1], 0x20
	s_load_b64 s[34:35], s[0:1], 0x80
	s_load_b128 s[36:39], s[0:1], 0x88
	s_mov_b32 s3, 0
	s_mov_b32 s31, 0
	s_waitcnt lgkmcnt(0)
	s_bitcmp1_b32 s29, 0
	s_cselect_b32 s46, -1, 0
	s_bitcmp1_b32 s29, 16
	s_cselect_b32 s2, -1, 0
	s_delay_alu instid0(SALU_CYCLE_1) | instskip(SKIP_2) | instid1(VALU_DEP_1)
	s_xor_b32 s30, s2, -1
	s_bitcmp0_b32 s29, 0
	v_cndmask_b32_e64 v1, 0, 1, s30
	v_cmp_ne_u32_e32 vcc_lo, 1, v1
	s_cbranch_scc1 .LBB132_5
; %bb.1:
	s_load_b64 s[2:3], s[0:1], 0x18
	s_and_b32 vcc_lo, exec_lo, vcc_lo
	s_waitcnt lgkmcnt(0)
	s_mov_b32 s31, s2
	s_cbranch_vccnz .LBB132_3
; %bb.2:
	s_load_b32 s31, s[2:3], 0x0
.LBB132_3:
	s_and_not1_b32 vcc_lo, exec_lo, s30
	s_cbranch_vccnz .LBB132_5
; %bb.4:
	s_load_b32 s3, s[2:3], 0x4
.LBB132_5:
	s_bitcmp1_b32 s29, 8
	s_mov_b32 s30, 0
	s_cselect_b32 s33, -1, 0
	s_bfe_u32 s2, s29, 0x10008
	s_delay_alu instid0(SALU_CYCLE_1)
	s_cmp_eq_u32 s2, 0
	s_mov_b32 s2, 0
	s_cbranch_scc1 .LBB132_11
; %bb.6:
	v_cmp_ne_u32_e32 vcc_lo, 1, v1
	s_mov_b32 s2, s8
	s_cbranch_vccnz .LBB132_8
; %bb.7:
	s_load_b32 s2, s[8:9], 0x0
.LBB132_8:
	v_cmp_ne_u32_e32 vcc_lo, 1, v1
	s_cbranch_vccnz .LBB132_10
; %bb.9:
	s_load_b32 s9, s[8:9], 0x4
.LBB132_10:
	s_waitcnt lgkmcnt(0)
	s_mov_b32 s30, s9
.LBB132_11:
	s_load_b64 s[42:43], s[0:1], 0x0
	v_lshl_add_u32 v12, v0, 3, 0
	s_mov_b32 s29, 0
	s_delay_alu instid0(VALU_DEP_1) | instskip(SKIP_2) | instid1(VALU_DEP_2)
	v_add_nc_u32_e32 v11, 0x10000, v12
	s_waitcnt lgkmcnt(0)
	v_dual_mov_b32 v1, s42 :: v_dual_mov_b32 v2, s43
	v_dual_mov_b32 v19, 0 :: v_dual_add_nc_u32 v20, 0x2000, v11
	v_add_nc_u32_e32 v21, 0x4000, v11
	v_dual_mov_b32 v3, s42 :: v_dual_add_nc_u32 v22, 0x6000, v11
	v_dual_mov_b32 v5, s42 :: v_dual_add_nc_u32 v24, 0xa000, v11
	;; [unrolled: 1-line block ×3, first 2 shown]
	v_dual_mov_b32 v4, s43 :: v_dual_mov_b32 v9, s42
	v_mov_b32_e32 v13, s42
	v_mov_b32_e32 v15, s42
	v_dual_mov_b32 v17, s42 :: v_dual_mov_b32 v18, s43
	v_dual_mov_b32 v6, s43 :: v_dual_add_nc_u32 v23, 0x8000, v11
	v_dual_mov_b32 v8, s43 :: v_dual_add_nc_u32 v25, 0xc000, v11
	v_mov_b32_e32 v10, s43
	v_mov_b32_e32 v14, s43
	;; [unrolled: 1-line block ×3, first 2 shown]
	ds_store_2addr_b32 v11, v19, v19 offset1:1
	ds_store_2addr_b32 v20, v19, v19 offset1:1
	;; [unrolled: 1-line block ×4, first 2 shown]
	ds_store_2addr_stride64_b64 v12, v[1:2], v[3:4] offset1:16
	ds_store_2addr_stride64_b64 v12, v[5:6], v[7:8] offset0:32 offset1:48
	ds_store_2addr_stride64_b64 v12, v[9:10], v[13:14] offset0:64 offset1:80
	;; [unrolled: 1-line block ×3, first 2 shown]
	ds_store_2addr_b32 v23, v19, v19 offset1:1
	ds_store_2addr_b32 v24, v19, v19 offset1:1
	;; [unrolled: 1-line block ×4, first 2 shown]
	s_waitcnt lgkmcnt(0)
	s_barrier
	buffer_gl0_inv
	s_load_b64 s[0:1], s[24:25], 0x0
	s_waitcnt lgkmcnt(0)
	s_lshl_b64 s[0:1], s[0:1], 3
	s_delay_alu instid0(SALU_CYCLE_1) | instskip(SKIP_2) | instid1(SALU_CYCLE_1)
	s_add_u32 s8, s26, s0
	s_addc_u32 s9, s27, s1
	s_lshl_b64 s[0:1], s[28:29], 3
	s_add_u32 s0, s8, s0
	s_addc_u32 s1, s9, s1
	s_and_not1_b32 vcc_lo, exec_lo, s46
	s_load_b64 s[44:45], s[0:1], 0x0
	s_cbranch_vccnz .LBB132_31
; %bb.12:
	s_waitcnt lgkmcnt(0)
	s_lshl_b64 s[0:1], s[44:45], 3
	v_lshrrev_b32_e32 v1, 6, v0
	s_add_u32 s0, s12, s0
	s_addc_u32 s1, s13, s1
	s_mov_b32 s8, exec_lo
	s_load_b128 s[24:27], s[0:1], 0x0
	v_sub_co_u32 v1, s0, v1, s36
	s_delay_alu instid0(VALU_DEP_1) | instskip(SKIP_1) | instid1(VALU_DEP_2)
	v_sub_co_ci_u32_e64 v2, null, 0, 0, s0
	s_waitcnt lgkmcnt(0)
	v_add_co_u32 v1, vcc_lo, s24, v1
	s_delay_alu instid0(VALU_DEP_2)
	v_add_co_ci_u32_e32 v2, vcc_lo, s25, v2, vcc_lo
	s_sub_u32 s0, s26, s36
	s_subb_u32 s1, s27, 0
	s_delay_alu instid0(VALU_DEP_1) | instid1(SALU_CYCLE_1)
	v_cmpx_gt_i64_e64 s[0:1], v[1:2]
	s_cbranch_execz .LBB132_30
; %bb.13:
	v_and_b32_e32 v3, 63, v0
	s_mov_b32 s12, s37
	s_delay_alu instid0(VALU_DEP_1) | instskip(NEXT) | instid1(VALU_DEP_1)
	v_sub_co_u32 v11, s9, v3, s37
	v_sub_co_ci_u32_e64 v13, null, 0, 0, s9
	s_mov_b32 s9, 0
	s_branch .LBB132_15
.LBB132_14:                             ;   in Loop: Header=BB132_15 Depth=1
	s_or_b32 exec_lo, exec_lo, s13
	v_add_co_u32 v1, vcc_lo, v1, 16
	v_add_co_ci_u32_e32 v2, vcc_lo, 0, v2, vcc_lo
	s_delay_alu instid0(VALU_DEP_1) | instskip(SKIP_1) | instid1(SALU_CYCLE_1)
	v_cmp_le_i64_e32 vcc_lo, s[0:1], v[1:2]
	s_or_b32 s9, vcc_lo, s9
	s_and_not1_b32 exec_lo, exec_lo, s9
	s_cbranch_execz .LBB132_30
.LBB132_15:                             ; =>This Loop Header: Depth=1
                                        ;     Child Loop BB132_18 Depth 2
                                        ;       Child Loop BB132_20 Depth 3
	v_lshlrev_b64 v[7:8], 3, v[1:2]
	s_mov_b32 s13, exec_lo
	s_delay_alu instid0(VALU_DEP_1) | instskip(NEXT) | instid1(VALU_DEP_2)
	v_add_co_u32 v3, vcc_lo, s14, v7
	v_add_co_ci_u32_e32 v4, vcc_lo, s15, v8, vcc_lo
	global_load_b64 v[3:4], v[3:4], off
	s_waitcnt vmcnt(0)
	v_sub_co_u32 v3, vcc_lo, v3, s36
	v_subrev_co_ci_u32_e32 v4, vcc_lo, 0, v4, vcc_lo
	s_delay_alu instid0(VALU_DEP_1) | instskip(NEXT) | instid1(VALU_DEP_1)
	v_lshlrev_b64 v[3:4], 3, v[3:4]
	v_add_co_u32 v3, vcc_lo, s18, v3
	s_delay_alu instid0(VALU_DEP_2)
	v_add_co_ci_u32_e32 v4, vcc_lo, s19, v4, vcc_lo
	global_load_b128 v[14:17], v[3:4], off
	s_waitcnt vmcnt(0)
	v_sub_co_u32 v3, vcc_lo, v16, s12
	v_subrev_co_ci_u32_e32 v4, vcc_lo, 0, v17, vcc_lo
	v_add_co_u32 v5, vcc_lo, v14, v11
	v_add_co_ci_u32_e32 v6, vcc_lo, v15, v13, vcc_lo
	s_delay_alu instid0(VALU_DEP_1)
	v_cmpx_lt_i64_e64 v[5:6], v[3:4]
	s_cbranch_execz .LBB132_14
; %bb.16:                               ;   in Loop: Header=BB132_15 Depth=1
	v_add_co_u32 v7, vcc_lo, s16, v7
	v_add_co_ci_u32_e32 v8, vcc_lo, s17, v8, vcc_lo
	s_mov_b32 s24, 0
	global_load_b64 v[7:8], v[7:8], off
	s_waitcnt vmcnt(0)
	v_mul_f32_e64 v14, v8, -s3
	s_delay_alu instid0(VALU_DEP_1) | instskip(NEXT) | instid1(VALU_DEP_1)
	v_dual_mul_f32 v15, s31, v8 :: v_dual_fmac_f32 v14, s31, v7
	v_fmac_f32_e32 v15, s3, v7
	s_branch .LBB132_18
.LBB132_17:                             ;   in Loop: Header=BB132_18 Depth=2
	s_or_b32 exec_lo, exec_lo, s25
	v_add_co_u32 v5, vcc_lo, v5, 64
	v_add_co_ci_u32_e32 v6, vcc_lo, 0, v6, vcc_lo
	s_delay_alu instid0(VALU_DEP_1) | instskip(SKIP_1) | instid1(SALU_CYCLE_1)
	v_cmp_ge_i64_e32 vcc_lo, v[5:6], v[3:4]
	s_or_b32 s24, vcc_lo, s24
	s_and_not1_b32 exec_lo, exec_lo, s24
	s_cbranch_execz .LBB132_14
.LBB132_18:                             ;   Parent Loop BB132_15 Depth=1
                                        ; =>  This Loop Header: Depth=2
                                        ;       Child Loop BB132_20 Depth 3
	v_lshlrev_b64 v[7:8], 3, v[5:6]
	s_mov_b32 s25, 0
	s_delay_alu instid0(VALU_DEP_1) | instskip(NEXT) | instid1(VALU_DEP_2)
	v_add_co_u32 v9, vcc_lo, s4, v7
	v_add_co_ci_u32_e32 v10, vcc_lo, s5, v8, vcc_lo
	v_add_co_u32 v7, vcc_lo, s6, v7
	v_add_co_ci_u32_e32 v8, vcc_lo, s7, v8, vcc_lo
	global_load_b64 v[9:10], v[9:10], off
	global_load_b64 v[18:19], v[7:8], off
	s_waitcnt vmcnt(1)
	v_sub_co_u32 v7, vcc_lo, v9, s12
	v_subrev_co_ci_u32_e32 v8, vcc_lo, 0, v10, vcc_lo
	s_waitcnt vmcnt(0)
	v_mul_f32_e64 v16, v19, -v15
	s_delay_alu instid0(VALU_DEP_3) | instskip(SKIP_1) | instid1(VALU_DEP_3)
	v_mul_lo_u32 v9, 0x89, v7
	v_mul_f32_e32 v17, v14, v19
	v_fmac_f32_e32 v16, v14, v18
	s_delay_alu instid0(VALU_DEP_2)
	v_dual_fmac_f32 v17, v15, v18 :: v_dual_and_b32 v18, 0x1fff, v9
	s_branch .LBB132_20
.LBB132_19:                             ;   in Loop: Header=BB132_20 Depth=3
	s_or_b32 exec_lo, exec_lo, s26
	s_xor_b32 s26, s27, -1
	s_delay_alu instid0(SALU_CYCLE_1) | instskip(NEXT) | instid1(SALU_CYCLE_1)
	s_and_b32 s26, exec_lo, s26
	s_or_b32 s25, s26, s25
	s_delay_alu instid0(SALU_CYCLE_1)
	s_and_not1_b32 exec_lo, exec_lo, s25
	s_cbranch_execz .LBB132_17
.LBB132_20:                             ;   Parent Loop BB132_15 Depth=1
                                        ;     Parent Loop BB132_18 Depth=2
                                        ; =>    This Inner Loop Header: Depth=3
	s_delay_alu instid0(VALU_DEP_1)
	v_lshl_add_u32 v19, v18, 3, 0
	s_mov_b32 s26, exec_lo
                                        ; implicit-def: $sgpr27
	ds_load_b64 v[9:10], v19
	s_waitcnt lgkmcnt(0)
	v_cmpx_ne_u64_e64 v[9:10], v[7:8]
	s_xor_b32 s26, exec_lo, s26
	s_cbranch_execz .LBB132_28
; %bb.21:                               ;   in Loop: Header=BB132_20 Depth=3
	s_mov_b32 s28, exec_lo
                                        ; implicit-def: $sgpr27
	v_cmpx_ne_u64_e64 s[42:43], v[9:10]
	s_xor_b32 s28, exec_lo, s28
; %bb.22:                               ;   in Loop: Header=BB132_20 Depth=3
	v_add_nc_u32_e32 v9, 1, v18
	s_mov_b32 s27, -1
                                        ; implicit-def: $vgpr19
	s_delay_alu instid0(VALU_DEP_1)
	v_and_b32_e32 v18, 0x1fff, v9
; %bb.23:                               ;   in Loop: Header=BB132_20 Depth=3
	s_and_not1_saveexec_b32 s28, s28
	s_cbranch_execz .LBB132_27
; %bb.24:                               ;   in Loop: Header=BB132_20 Depth=3
	v_dual_mov_b32 v9, s42 :: v_dual_mov_b32 v10, s43
	s_mov_b32 s37, -1
	s_mov_b32 s29, exec_lo
	ds_cmpstore_rtn_b64 v[9:10], v19, v[7:8], v[9:10]
	s_waitcnt lgkmcnt(0)
	v_cmpx_eq_u64_e64 s[42:43], v[9:10]
	s_cbranch_execz .LBB132_26
; %bb.25:                               ;   in Loop: Header=BB132_20 Depth=3
	v_lshlrev_b32_e32 v9, 3, v18
	s_xor_b32 s37, exec_lo, -1
	s_delay_alu instid0(VALU_DEP_1)
	v_add3_u32 v9, 0, v9, 0x10000
	ds_add_f32 v9, v16
	ds_add_f32 v9, v17 offset:4
.LBB132_26:                             ;   in Loop: Header=BB132_20 Depth=3
	s_or_b32 exec_lo, exec_lo, s29
	s_delay_alu instid0(SALU_CYCLE_1) | instskip(SKIP_1) | instid1(SALU_CYCLE_1)
	s_and_not1_b32 s27, s27, exec_lo
	s_and_b32 s29, s37, exec_lo
	s_or_b32 s27, s27, s29
.LBB132_27:                             ;   in Loop: Header=BB132_20 Depth=3
	s_or_b32 exec_lo, exec_lo, s28
	s_delay_alu instid0(SALU_CYCLE_1)
	s_and_b32 s27, s27, exec_lo
.LBB132_28:                             ;   in Loop: Header=BB132_20 Depth=3
	s_and_not1_saveexec_b32 s26, s26
	s_cbranch_execz .LBB132_19
; %bb.29:                               ;   in Loop: Header=BB132_20 Depth=3
	v_lshlrev_b32_e32 v9, 3, v18
	s_and_not1_b32 s27, s27, exec_lo
	s_delay_alu instid0(VALU_DEP_1)
	v_add3_u32 v9, 0, v9, 0x10000
	ds_add_f32 v9, v16
	ds_add_f32 v9, v17 offset:4
	s_branch .LBB132_19
.LBB132_30:
	s_or_b32 exec_lo, exec_lo, s8
.LBB132_31:
	s_delay_alu instid0(SALU_CYCLE_1)
	s_and_not1_b32 vcc_lo, exec_lo, s33
	s_cbranch_vccnz .LBB132_48
; %bb.32:
	s_waitcnt lgkmcnt(0)
	s_lshl_b64 s[0:1], s[44:45], 3
	s_mov_b32 s3, 0
	s_add_u32 s0, s10, s0
	s_addc_u32 s1, s11, s1
	s_load_b128 s[4:7], s[0:1], 0x0
	v_sub_co_u32 v1, s0, v0, s39
	s_delay_alu instid0(VALU_DEP_1) | instskip(SKIP_1) | instid1(VALU_DEP_2)
	v_sub_co_ci_u32_e64 v2, null, 0, 0, s0
	s_waitcnt lgkmcnt(0)
	v_add_co_u32 v1, vcc_lo, s4, v1
	s_delay_alu instid0(VALU_DEP_2) | instskip(SKIP_3) | instid1(VALU_DEP_1)
	v_add_co_ci_u32_e32 v2, vcc_lo, s5, v2, vcc_lo
	s_sub_u32 s0, s6, s39
	s_subb_u32 s1, s7, 0
	s_mov_b32 s4, exec_lo
	v_cmpx_gt_i64_e64 s[0:1], v[1:2]
	s_cbranch_execz .LBB132_47
; %bb.33:
	s_mov_b32 s5, s39
	s_branch .LBB132_35
.LBB132_34:                             ;   in Loop: Header=BB132_35 Depth=1
	s_or_b32 exec_lo, exec_lo, s6
	v_add_co_u32 v1, vcc_lo, 0x400, v1
	v_add_co_ci_u32_e32 v2, vcc_lo, 0, v2, vcc_lo
	s_delay_alu instid0(VALU_DEP_1) | instskip(SKIP_1) | instid1(SALU_CYCLE_1)
	v_cmp_le_i64_e32 vcc_lo, s[0:1], v[1:2]
	s_or_b32 s3, vcc_lo, s3
	s_and_not1_b32 exec_lo, exec_lo, s3
	s_cbranch_execz .LBB132_47
.LBB132_35:                             ; =>This Loop Header: Depth=1
                                        ;     Child Loop BB132_37 Depth 2
	v_lshlrev_b64 v[3:4], 3, v[1:2]
	s_mov_b32 s6, 0
	s_delay_alu instid0(VALU_DEP_1) | instskip(NEXT) | instid1(VALU_DEP_2)
	v_add_co_u32 v5, vcc_lo, s20, v3
	v_add_co_ci_u32_e32 v6, vcc_lo, s21, v4, vcc_lo
	v_add_co_u32 v3, vcc_lo, s22, v3
	v_add_co_ci_u32_e32 v4, vcc_lo, s23, v4, vcc_lo
	global_load_b64 v[5:6], v[5:6], off
	global_load_b64 v[9:10], v[3:4], off
	s_waitcnt vmcnt(1)
	v_sub_co_u32 v3, vcc_lo, v5, s5
	v_subrev_co_ci_u32_e32 v4, vcc_lo, 0, v6, vcc_lo
	s_waitcnt vmcnt(0)
	v_mul_f32_e64 v7, v10, -s30
	s_delay_alu instid0(VALU_DEP_3) | instskip(NEXT) | instid1(VALU_DEP_2)
	v_mul_lo_u32 v5, 0x89, v3
	v_dual_mul_f32 v8, s2, v10 :: v_dual_fmac_f32 v7, s2, v9
	s_delay_alu instid0(VALU_DEP_1) | instskip(NEXT) | instid1(VALU_DEP_3)
	v_fmac_f32_e32 v8, s30, v9
	v_and_b32_e32 v9, 0x1fff, v5
	s_branch .LBB132_37
.LBB132_36:                             ;   in Loop: Header=BB132_37 Depth=2
	s_or_b32 exec_lo, exec_lo, s7
	s_xor_b32 s7, s8, -1
	s_delay_alu instid0(SALU_CYCLE_1) | instskip(NEXT) | instid1(SALU_CYCLE_1)
	s_and_b32 s7, exec_lo, s7
	s_or_b32 s6, s7, s6
	s_delay_alu instid0(SALU_CYCLE_1)
	s_and_not1_b32 exec_lo, exec_lo, s6
	s_cbranch_execz .LBB132_34
.LBB132_37:                             ;   Parent Loop BB132_35 Depth=1
                                        ; =>  This Inner Loop Header: Depth=2
	s_delay_alu instid0(VALU_DEP_1)
	v_lshl_add_u32 v10, v9, 3, 0
	s_mov_b32 s7, exec_lo
                                        ; implicit-def: $sgpr8
	ds_load_b64 v[5:6], v10
	s_waitcnt lgkmcnt(0)
	v_cmpx_ne_u64_e64 v[5:6], v[3:4]
	s_xor_b32 s7, exec_lo, s7
	s_cbranch_execz .LBB132_45
; %bb.38:                               ;   in Loop: Header=BB132_37 Depth=2
	s_mov_b32 s9, exec_lo
                                        ; implicit-def: $sgpr8
	v_cmpx_ne_u64_e64 s[42:43], v[5:6]
	s_xor_b32 s9, exec_lo, s9
; %bb.39:                               ;   in Loop: Header=BB132_37 Depth=2
	v_add_nc_u32_e32 v5, 1, v9
	s_mov_b32 s8, -1
                                        ; implicit-def: $vgpr10
	s_delay_alu instid0(VALU_DEP_1)
	v_and_b32_e32 v9, 0x1fff, v5
; %bb.40:                               ;   in Loop: Header=BB132_37 Depth=2
	s_and_not1_saveexec_b32 s9, s9
	s_cbranch_execz .LBB132_44
; %bb.41:                               ;   in Loop: Header=BB132_37 Depth=2
	v_dual_mov_b32 v5, s42 :: v_dual_mov_b32 v6, s43
	s_mov_b32 s11, -1
	s_mov_b32 s10, exec_lo
	ds_cmpstore_rtn_b64 v[5:6], v10, v[3:4], v[5:6]
	s_waitcnt lgkmcnt(0)
	v_cmpx_eq_u64_e64 s[42:43], v[5:6]
	s_cbranch_execz .LBB132_43
; %bb.42:                               ;   in Loop: Header=BB132_37 Depth=2
	v_lshlrev_b32_e32 v5, 3, v9
	s_xor_b32 s11, exec_lo, -1
	s_delay_alu instid0(VALU_DEP_1)
	v_add3_u32 v5, 0, v5, 0x10000
	ds_add_f32 v5, v7
	ds_add_f32 v5, v8 offset:4
.LBB132_43:                             ;   in Loop: Header=BB132_37 Depth=2
	s_or_b32 exec_lo, exec_lo, s10
	s_delay_alu instid0(SALU_CYCLE_1) | instskip(SKIP_1) | instid1(SALU_CYCLE_1)
	s_and_not1_b32 s8, s8, exec_lo
	s_and_b32 s10, s11, exec_lo
	s_or_b32 s8, s8, s10
.LBB132_44:                             ;   in Loop: Header=BB132_37 Depth=2
	s_or_b32 exec_lo, exec_lo, s9
	s_delay_alu instid0(SALU_CYCLE_1)
	s_and_b32 s8, s8, exec_lo
.LBB132_45:                             ;   in Loop: Header=BB132_37 Depth=2
	s_and_not1_saveexec_b32 s7, s7
	s_cbranch_execz .LBB132_36
; %bb.46:                               ;   in Loop: Header=BB132_37 Depth=2
	v_lshlrev_b32_e32 v5, 3, v9
	s_and_not1_b32 s8, s8, exec_lo
	s_delay_alu instid0(VALU_DEP_1)
	v_add3_u32 v5, 0, v5, 0x10000
	ds_add_f32 v5, v7
	ds_add_f32 v5, v8 offset:4
	s_branch .LBB132_36
.LBB132_47:
	s_or_b32 exec_lo, exec_lo, s4
.LBB132_48:
	v_mbcnt_lo_u32_b32 v1, -1, 0
	v_lshrrev_b32_e32 v2, 2, v0
	s_add_i32 s71, 0, 0x200f8
	v_cmp_eq_u32_e32 vcc_lo, 0x3ff, v0
	v_cmp_lt_u32_e64 s0, 31, v0
	v_xor_b32_e32 v1, 63, v1
	v_and_b32_e32 v3, 0xf8, v2
	v_cmp_lt_u32_e64 s1, 63, v0
	v_cmp_lt_u32_e64 s2, 0x5f, v0
	;; [unrolled: 1-line block ×3, first 2 shown]
	v_lshrrev_b64 v[1:2], v1, -1
	v_add3_u32 v13, 0, 0x20000, v3
	v_dual_mov_b32 v2, 0 :: v_dual_mov_b32 v5, 0
	v_cmp_lt_u32_e64 s4, 0x9f, v0
	v_cmp_lt_u32_e64 s5, 0xbf, v0
	;; [unrolled: 1-line block ×27, first 2 shown]
	v_or_b32_e32 v14, 0xfffffc00, v0
	v_mov_b32_e32 v3, 0
	v_mov_b32_e32 v15, s71
	s_mov_b32 s36, 0
	s_add_i32 s37, 0, 0x20000
	s_add_i32 s39, 0, 0x20008
	;; [unrolled: 1-line block ×31, first 2 shown]
	s_waitcnt lgkmcnt(0)
	s_barrier
	buffer_gl0_inv
	s_branch .LBB132_50
.LBB132_49:                             ;   in Loop: Header=BB132_50 Depth=1
	s_or_b32 exec_lo, exec_lo, s31
	s_waitcnt lgkmcnt(0)
	s_barrier
	buffer_gl0_inv
	ds_load_b64 v[6:7], v15
	v_add_nc_u32_e32 v14, 0x400, v14
	v_add_nc_u32_e32 v12, 0x2000, v12
	s_delay_alu instid0(VALU_DEP_2) | instskip(NEXT) | instid1(VALU_DEP_1)
	v_cmp_lt_u32_e64 s31, 0x1bff, v14
	s_or_b32 s36, s31, s36
	s_waitcnt lgkmcnt(0)
	v_add_co_u32 v2, s33, v6, v2
	s_delay_alu instid0(VALU_DEP_1)
	v_add_co_ci_u32_e64 v3, s33, v7, v3, s33
	s_and_not1_b32 exec_lo, exec_lo, s36
	s_cbranch_execz .LBB132_116
.LBB132_50:                             ; =>This Inner Loop Header: Depth=1
	ds_load_b64 v[6:7], v12
	v_add_nc_u32_e32 v4, 0x10000, v12
	ds_load_2addr_b32 v[8:9], v4 offset1:1
	s_waitcnt lgkmcnt(0)
	s_barrier
	buffer_gl0_inv
	v_cmp_gt_i64_e64 s31, s[42:43], v[6:7]
	s_delay_alu instid0(VALU_DEP_1) | instskip(SKIP_1) | instid1(SALU_CYCLE_1)
	v_and_b32_e32 v10, s31, v1
	s_bcnt1_i32_b32 s33, s31
	v_mov_b32_e32 v4, s33
	s_delay_alu instid0(VALU_DEP_2)
	v_bcnt_u32_b32 v10, v10, 0
	ds_store_b64 v13, v[4:5]
	s_waitcnt lgkmcnt(0)
	s_barrier
	buffer_gl0_inv
	s_and_saveexec_b32 s33, s0
	s_cbranch_execnz .LBB132_83
; %bb.51:                               ;   in Loop: Header=BB132_50 Depth=1
	s_or_b32 exec_lo, exec_lo, s33
	s_and_saveexec_b32 s33, s1
	s_cbranch_execnz .LBB132_84
.LBB132_52:                             ;   in Loop: Header=BB132_50 Depth=1
	s_or_b32 exec_lo, exec_lo, s33
	s_and_saveexec_b32 s33, s2
	s_cbranch_execnz .LBB132_85
.LBB132_53:                             ;   in Loop: Header=BB132_50 Depth=1
	s_or_b32 exec_lo, exec_lo, s33
	s_and_saveexec_b32 s33, s3
	s_cbranch_execnz .LBB132_86
.LBB132_54:                             ;   in Loop: Header=BB132_50 Depth=1
	s_or_b32 exec_lo, exec_lo, s33
	s_and_saveexec_b32 s33, s4
	s_cbranch_execnz .LBB132_87
.LBB132_55:                             ;   in Loop: Header=BB132_50 Depth=1
	s_or_b32 exec_lo, exec_lo, s33
	s_and_saveexec_b32 s33, s5
	s_cbranch_execnz .LBB132_88
.LBB132_56:                             ;   in Loop: Header=BB132_50 Depth=1
	s_or_b32 exec_lo, exec_lo, s33
	s_and_saveexec_b32 s33, s6
	s_cbranch_execnz .LBB132_89
.LBB132_57:                             ;   in Loop: Header=BB132_50 Depth=1
	s_or_b32 exec_lo, exec_lo, s33
	s_and_saveexec_b32 s33, s7
	s_cbranch_execnz .LBB132_90
.LBB132_58:                             ;   in Loop: Header=BB132_50 Depth=1
	s_or_b32 exec_lo, exec_lo, s33
	s_and_saveexec_b32 s33, s8
	s_cbranch_execnz .LBB132_91
.LBB132_59:                             ;   in Loop: Header=BB132_50 Depth=1
	s_or_b32 exec_lo, exec_lo, s33
	s_and_saveexec_b32 s33, s9
	s_cbranch_execnz .LBB132_92
.LBB132_60:                             ;   in Loop: Header=BB132_50 Depth=1
	s_or_b32 exec_lo, exec_lo, s33
	s_and_saveexec_b32 s33, s10
	s_cbranch_execnz .LBB132_93
.LBB132_61:                             ;   in Loop: Header=BB132_50 Depth=1
	s_or_b32 exec_lo, exec_lo, s33
	s_and_saveexec_b32 s33, s11
	s_cbranch_execnz .LBB132_94
.LBB132_62:                             ;   in Loop: Header=BB132_50 Depth=1
	s_or_b32 exec_lo, exec_lo, s33
	s_and_saveexec_b32 s33, s12
	s_cbranch_execnz .LBB132_95
.LBB132_63:                             ;   in Loop: Header=BB132_50 Depth=1
	s_or_b32 exec_lo, exec_lo, s33
	s_and_saveexec_b32 s33, s13
	s_cbranch_execnz .LBB132_96
.LBB132_64:                             ;   in Loop: Header=BB132_50 Depth=1
	s_or_b32 exec_lo, exec_lo, s33
	s_and_saveexec_b32 s33, s14
	s_cbranch_execnz .LBB132_97
.LBB132_65:                             ;   in Loop: Header=BB132_50 Depth=1
	s_or_b32 exec_lo, exec_lo, s33
	s_and_saveexec_b32 s33, s15
	s_cbranch_execnz .LBB132_98
.LBB132_66:                             ;   in Loop: Header=BB132_50 Depth=1
	s_or_b32 exec_lo, exec_lo, s33
	s_and_saveexec_b32 s33, s16
	s_cbranch_execnz .LBB132_99
.LBB132_67:                             ;   in Loop: Header=BB132_50 Depth=1
	s_or_b32 exec_lo, exec_lo, s33
	s_and_saveexec_b32 s33, s17
	s_cbranch_execnz .LBB132_100
.LBB132_68:                             ;   in Loop: Header=BB132_50 Depth=1
	s_or_b32 exec_lo, exec_lo, s33
	s_and_saveexec_b32 s33, s18
	s_cbranch_execnz .LBB132_101
.LBB132_69:                             ;   in Loop: Header=BB132_50 Depth=1
	s_or_b32 exec_lo, exec_lo, s33
	s_and_saveexec_b32 s33, s19
	s_cbranch_execnz .LBB132_102
.LBB132_70:                             ;   in Loop: Header=BB132_50 Depth=1
	s_or_b32 exec_lo, exec_lo, s33
	s_and_saveexec_b32 s33, s20
	s_cbranch_execnz .LBB132_103
.LBB132_71:                             ;   in Loop: Header=BB132_50 Depth=1
	s_or_b32 exec_lo, exec_lo, s33
	s_and_saveexec_b32 s33, s21
	s_cbranch_execnz .LBB132_104
.LBB132_72:                             ;   in Loop: Header=BB132_50 Depth=1
	s_or_b32 exec_lo, exec_lo, s33
	s_and_saveexec_b32 s33, s22
	s_cbranch_execnz .LBB132_105
.LBB132_73:                             ;   in Loop: Header=BB132_50 Depth=1
	s_or_b32 exec_lo, exec_lo, s33
	s_and_saveexec_b32 s33, s23
	s_cbranch_execnz .LBB132_106
.LBB132_74:                             ;   in Loop: Header=BB132_50 Depth=1
	s_or_b32 exec_lo, exec_lo, s33
	s_and_saveexec_b32 s33, s24
	s_cbranch_execnz .LBB132_107
.LBB132_75:                             ;   in Loop: Header=BB132_50 Depth=1
	s_or_b32 exec_lo, exec_lo, s33
	s_and_saveexec_b32 s33, s25
	s_cbranch_execnz .LBB132_108
.LBB132_76:                             ;   in Loop: Header=BB132_50 Depth=1
	s_or_b32 exec_lo, exec_lo, s33
	s_and_saveexec_b32 s33, s26
	s_cbranch_execnz .LBB132_109
.LBB132_77:                             ;   in Loop: Header=BB132_50 Depth=1
	s_or_b32 exec_lo, exec_lo, s33
	s_and_saveexec_b32 s33, s27
	s_cbranch_execnz .LBB132_110
.LBB132_78:                             ;   in Loop: Header=BB132_50 Depth=1
	s_or_b32 exec_lo, exec_lo, s33
	s_and_saveexec_b32 s33, s28
	s_cbranch_execnz .LBB132_111
.LBB132_79:                             ;   in Loop: Header=BB132_50 Depth=1
	s_or_b32 exec_lo, exec_lo, s33
	s_and_saveexec_b32 s33, s29
	s_cbranch_execnz .LBB132_112
.LBB132_80:                             ;   in Loop: Header=BB132_50 Depth=1
	s_or_b32 exec_lo, exec_lo, s33
	s_and_saveexec_b32 s33, s30
	s_cbranch_execnz .LBB132_113
.LBB132_81:                             ;   in Loop: Header=BB132_50 Depth=1
	s_or_b32 exec_lo, exec_lo, s33
	v_ashrrev_i32_e32 v11, 31, v10
	s_and_saveexec_b32 s33, s31
	s_cbranch_execnz .LBB132_114
.LBB132_82:                             ;   in Loop: Header=BB132_50 Depth=1
	s_or_b32 exec_lo, exec_lo, s33
	s_and_saveexec_b32 s31, vcc_lo
	s_cbranch_execz .LBB132_49
	s_branch .LBB132_115
.LBB132_83:                             ;   in Loop: Header=BB132_50 Depth=1
	v_mov_b32_e32 v4, s37
	ds_load_b32 v4, v4
	s_waitcnt lgkmcnt(0)
	v_add_nc_u32_e32 v10, v4, v10
	s_or_b32 exec_lo, exec_lo, s33
	s_and_saveexec_b32 s33, s1
	s_cbranch_execz .LBB132_52
.LBB132_84:                             ;   in Loop: Header=BB132_50 Depth=1
	v_mov_b32_e32 v4, s39
	ds_load_b32 v4, v4
	s_waitcnt lgkmcnt(0)
	v_add_nc_u32_e32 v10, v10, v4
	s_or_b32 exec_lo, exec_lo, s33
	s_and_saveexec_b32 s33, s2
	s_cbranch_execz .LBB132_53
.LBB132_85:                             ;   in Loop: Header=BB132_50 Depth=1
	v_mov_b32_e32 v4, s46
	ds_load_b32 v4, v4
	s_waitcnt lgkmcnt(0)
	v_add_nc_u32_e32 v10, v10, v4
	s_or_b32 exec_lo, exec_lo, s33
	s_and_saveexec_b32 s33, s3
	s_cbranch_execz .LBB132_54
.LBB132_86:                             ;   in Loop: Header=BB132_50 Depth=1
	v_mov_b32_e32 v4, s47
	ds_load_b32 v4, v4
	s_waitcnt lgkmcnt(0)
	v_add_nc_u32_e32 v10, v10, v4
	s_or_b32 exec_lo, exec_lo, s33
	s_and_saveexec_b32 s33, s4
	s_cbranch_execz .LBB132_55
.LBB132_87:                             ;   in Loop: Header=BB132_50 Depth=1
	v_mov_b32_e32 v4, s48
	ds_load_b32 v4, v4
	s_waitcnt lgkmcnt(0)
	v_add_nc_u32_e32 v10, v10, v4
	s_or_b32 exec_lo, exec_lo, s33
	s_and_saveexec_b32 s33, s5
	s_cbranch_execz .LBB132_56
.LBB132_88:                             ;   in Loop: Header=BB132_50 Depth=1
	v_mov_b32_e32 v4, s49
	ds_load_b32 v4, v4
	s_waitcnt lgkmcnt(0)
	v_add_nc_u32_e32 v10, v10, v4
	s_or_b32 exec_lo, exec_lo, s33
	s_and_saveexec_b32 s33, s6
	s_cbranch_execz .LBB132_57
.LBB132_89:                             ;   in Loop: Header=BB132_50 Depth=1
	v_mov_b32_e32 v4, s50
	ds_load_b32 v4, v4
	s_waitcnt lgkmcnt(0)
	v_add_nc_u32_e32 v10, v10, v4
	s_or_b32 exec_lo, exec_lo, s33
	s_and_saveexec_b32 s33, s7
	s_cbranch_execz .LBB132_58
.LBB132_90:                             ;   in Loop: Header=BB132_50 Depth=1
	v_mov_b32_e32 v4, s51
	ds_load_b32 v4, v4
	s_waitcnt lgkmcnt(0)
	v_add_nc_u32_e32 v10, v10, v4
	s_or_b32 exec_lo, exec_lo, s33
	s_and_saveexec_b32 s33, s8
	s_cbranch_execz .LBB132_59
.LBB132_91:                             ;   in Loop: Header=BB132_50 Depth=1
	v_mov_b32_e32 v4, s52
	ds_load_b32 v4, v4
	s_waitcnt lgkmcnt(0)
	v_add_nc_u32_e32 v10, v10, v4
	s_or_b32 exec_lo, exec_lo, s33
	s_and_saveexec_b32 s33, s9
	s_cbranch_execz .LBB132_60
.LBB132_92:                             ;   in Loop: Header=BB132_50 Depth=1
	v_mov_b32_e32 v4, s53
	ds_load_b32 v4, v4
	s_waitcnt lgkmcnt(0)
	v_add_nc_u32_e32 v10, v10, v4
	s_or_b32 exec_lo, exec_lo, s33
	s_and_saveexec_b32 s33, s10
	s_cbranch_execz .LBB132_61
.LBB132_93:                             ;   in Loop: Header=BB132_50 Depth=1
	v_mov_b32_e32 v4, s54
	ds_load_b32 v4, v4
	s_waitcnt lgkmcnt(0)
	v_add_nc_u32_e32 v10, v10, v4
	s_or_b32 exec_lo, exec_lo, s33
	s_and_saveexec_b32 s33, s11
	s_cbranch_execz .LBB132_62
.LBB132_94:                             ;   in Loop: Header=BB132_50 Depth=1
	v_mov_b32_e32 v4, s55
	ds_load_b32 v4, v4
	s_waitcnt lgkmcnt(0)
	v_add_nc_u32_e32 v10, v10, v4
	s_or_b32 exec_lo, exec_lo, s33
	s_and_saveexec_b32 s33, s12
	s_cbranch_execz .LBB132_63
.LBB132_95:                             ;   in Loop: Header=BB132_50 Depth=1
	v_mov_b32_e32 v4, s56
	ds_load_b32 v4, v4
	s_waitcnt lgkmcnt(0)
	v_add_nc_u32_e32 v10, v10, v4
	s_or_b32 exec_lo, exec_lo, s33
	s_and_saveexec_b32 s33, s13
	s_cbranch_execz .LBB132_64
.LBB132_96:                             ;   in Loop: Header=BB132_50 Depth=1
	v_mov_b32_e32 v4, s57
	ds_load_b32 v4, v4
	s_waitcnt lgkmcnt(0)
	v_add_nc_u32_e32 v10, v10, v4
	s_or_b32 exec_lo, exec_lo, s33
	s_and_saveexec_b32 s33, s14
	s_cbranch_execz .LBB132_65
.LBB132_97:                             ;   in Loop: Header=BB132_50 Depth=1
	v_mov_b32_e32 v4, s58
	ds_load_b32 v4, v4
	s_waitcnt lgkmcnt(0)
	v_add_nc_u32_e32 v10, v10, v4
	s_or_b32 exec_lo, exec_lo, s33
	s_and_saveexec_b32 s33, s15
	s_cbranch_execz .LBB132_66
.LBB132_98:                             ;   in Loop: Header=BB132_50 Depth=1
	v_mov_b32_e32 v4, s59
	ds_load_b32 v4, v4
	s_waitcnt lgkmcnt(0)
	v_add_nc_u32_e32 v10, v10, v4
	s_or_b32 exec_lo, exec_lo, s33
	s_and_saveexec_b32 s33, s16
	s_cbranch_execz .LBB132_67
.LBB132_99:                             ;   in Loop: Header=BB132_50 Depth=1
	v_mov_b32_e32 v4, s60
	ds_load_b32 v4, v4
	s_waitcnt lgkmcnt(0)
	v_add_nc_u32_e32 v10, v10, v4
	s_or_b32 exec_lo, exec_lo, s33
	s_and_saveexec_b32 s33, s17
	s_cbranch_execz .LBB132_68
.LBB132_100:                            ;   in Loop: Header=BB132_50 Depth=1
	v_mov_b32_e32 v4, s61
	ds_load_b32 v4, v4
	s_waitcnt lgkmcnt(0)
	v_add_nc_u32_e32 v10, v10, v4
	s_or_b32 exec_lo, exec_lo, s33
	s_and_saveexec_b32 s33, s18
	s_cbranch_execz .LBB132_69
.LBB132_101:                            ;   in Loop: Header=BB132_50 Depth=1
	v_mov_b32_e32 v4, s62
	ds_load_b32 v4, v4
	s_waitcnt lgkmcnt(0)
	v_add_nc_u32_e32 v10, v10, v4
	s_or_b32 exec_lo, exec_lo, s33
	s_and_saveexec_b32 s33, s19
	s_cbranch_execz .LBB132_70
.LBB132_102:                            ;   in Loop: Header=BB132_50 Depth=1
	v_mov_b32_e32 v4, s63
	ds_load_b32 v4, v4
	s_waitcnt lgkmcnt(0)
	v_add_nc_u32_e32 v10, v10, v4
	s_or_b32 exec_lo, exec_lo, s33
	s_and_saveexec_b32 s33, s20
	s_cbranch_execz .LBB132_71
.LBB132_103:                            ;   in Loop: Header=BB132_50 Depth=1
	v_mov_b32_e32 v4, s64
	ds_load_b32 v4, v4
	s_waitcnt lgkmcnt(0)
	v_add_nc_u32_e32 v10, v10, v4
	s_or_b32 exec_lo, exec_lo, s33
	s_and_saveexec_b32 s33, s21
	s_cbranch_execz .LBB132_72
.LBB132_104:                            ;   in Loop: Header=BB132_50 Depth=1
	v_mov_b32_e32 v4, s65
	ds_load_b32 v4, v4
	s_waitcnt lgkmcnt(0)
	v_add_nc_u32_e32 v10, v10, v4
	s_or_b32 exec_lo, exec_lo, s33
	s_and_saveexec_b32 s33, s22
	s_cbranch_execz .LBB132_73
.LBB132_105:                            ;   in Loop: Header=BB132_50 Depth=1
	v_mov_b32_e32 v4, s66
	ds_load_b32 v4, v4
	s_waitcnt lgkmcnt(0)
	v_add_nc_u32_e32 v10, v10, v4
	s_or_b32 exec_lo, exec_lo, s33
	s_and_saveexec_b32 s33, s23
	s_cbranch_execz .LBB132_74
.LBB132_106:                            ;   in Loop: Header=BB132_50 Depth=1
	v_mov_b32_e32 v4, s67
	ds_load_b32 v4, v4
	s_waitcnt lgkmcnt(0)
	v_add_nc_u32_e32 v10, v10, v4
	s_or_b32 exec_lo, exec_lo, s33
	s_and_saveexec_b32 s33, s24
	s_cbranch_execz .LBB132_75
.LBB132_107:                            ;   in Loop: Header=BB132_50 Depth=1
	v_mov_b32_e32 v4, s68
	ds_load_b32 v4, v4
	s_waitcnt lgkmcnt(0)
	v_add_nc_u32_e32 v10, v10, v4
	s_or_b32 exec_lo, exec_lo, s33
	s_and_saveexec_b32 s33, s25
	s_cbranch_execz .LBB132_76
.LBB132_108:                            ;   in Loop: Header=BB132_50 Depth=1
	v_mov_b32_e32 v4, s69
	ds_load_b32 v4, v4
	s_waitcnt lgkmcnt(0)
	v_add_nc_u32_e32 v10, v10, v4
	s_or_b32 exec_lo, exec_lo, s33
	s_and_saveexec_b32 s33, s26
	s_cbranch_execz .LBB132_77
.LBB132_109:                            ;   in Loop: Header=BB132_50 Depth=1
	v_mov_b32_e32 v4, s70
	ds_load_b32 v4, v4
	s_waitcnt lgkmcnt(0)
	v_add_nc_u32_e32 v10, v10, v4
	s_or_b32 exec_lo, exec_lo, s33
	s_and_saveexec_b32 s33, s27
	s_cbranch_execz .LBB132_78
.LBB132_110:                            ;   in Loop: Header=BB132_50 Depth=1
	v_mov_b32_e32 v4, s72
	ds_load_b32 v4, v4
	s_waitcnt lgkmcnt(0)
	v_add_nc_u32_e32 v10, v10, v4
	s_or_b32 exec_lo, exec_lo, s33
	s_and_saveexec_b32 s33, s28
	s_cbranch_execz .LBB132_79
.LBB132_111:                            ;   in Loop: Header=BB132_50 Depth=1
	v_mov_b32_e32 v4, s73
	ds_load_b32 v4, v4
	s_waitcnt lgkmcnt(0)
	v_add_nc_u32_e32 v10, v10, v4
	s_or_b32 exec_lo, exec_lo, s33
	s_and_saveexec_b32 s33, s29
	s_cbranch_execz .LBB132_80
.LBB132_112:                            ;   in Loop: Header=BB132_50 Depth=1
	v_mov_b32_e32 v4, s74
	ds_load_b32 v4, v4
	s_waitcnt lgkmcnt(0)
	v_add_nc_u32_e32 v10, v10, v4
	s_or_b32 exec_lo, exec_lo, s33
	s_and_saveexec_b32 s33, s30
	s_cbranch_execz .LBB132_81
.LBB132_113:                            ;   in Loop: Header=BB132_50 Depth=1
	v_mov_b32_e32 v4, s75
	ds_load_b32 v4, v4
	s_waitcnt lgkmcnt(0)
	v_add_nc_u32_e32 v10, v10, v4
	s_or_b32 exec_lo, exec_lo, s33
	s_delay_alu instid0(VALU_DEP_1)
	v_ashrrev_i32_e32 v11, 31, v10
	s_and_saveexec_b32 s33, s31
	s_cbranch_execz .LBB132_82
.LBB132_114:                            ;   in Loop: Header=BB132_50 Depth=1
	v_add3_u32 v4, v2, -1, v10
	s_delay_alu instid0(VALU_DEP_1) | instskip(NEXT) | instid1(VALU_DEP_1)
	v_lshl_add_u32 v4, v4, 3, 0
	v_add_nc_u32_e32 v16, 0x10000, v4
	ds_store_b64 v4, v[6:7]
	ds_store_2addr_b32 v16, v8, v9 offset1:1
	s_or_b32 exec_lo, exec_lo, s33
	s_and_saveexec_b32 s31, vcc_lo
	s_cbranch_execz .LBB132_49
.LBB132_115:                            ;   in Loop: Header=BB132_50 Depth=1
	v_mov_b32_e32 v4, s71
	ds_store_b64 v4, v[10:11]
	s_branch .LBB132_49
.LBB132_116:
	s_or_b32 exec_lo, exec_lo, s36
	s_lshl_b64 s[0:1], s[44:45], 3
	v_mov_b32_e32 v1, 0
	s_add_u32 s0, s40, s0
	s_addc_u32 s1, s41, s1
	s_mov_b32 s6, exec_lo
	s_load_b128 s[0:3], s[0:1], 0x0
	s_waitcnt lgkmcnt(0)
	s_sub_u32 s4, s2, s0
	s_subb_u32 s5, s3, s1
	s_delay_alu instid0(SALU_CYCLE_1)
	v_cmpx_gt_i64_e64 s[4:5], v[0:1]
	s_cbranch_execz .LBB132_126
; %bb.117:
	s_sub_u32 s8, s0, s38
	s_subb_u32 s9, s1, 0
	s_and_b32 s6, s4, 7
	s_sub_u32 s0, s0, s2
	s_subb_u32 s1, s1, s3
	s_mov_b32 s7, 0
	v_cmp_lt_u64_e64 s12, s[0:1], -7
	s_and_b32 s2, s4, -8
	s_cmp_lg_u64 s[6:7], 0
	s_mov_b32 s3, s5
	s_cselect_b32 s13, -1, 0
	s_mov_b32 s14, s7
	s_branch .LBB132_119
.LBB132_118:                            ;   in Loop: Header=BB132_119 Depth=1
	v_add_co_u32 v0, vcc_lo, 0x400, v0
	v_add_co_ci_u32_e32 v1, vcc_lo, 0, v1, vcc_lo
	s_waitcnt lgkmcnt(1)
	v_lshlrev_b64 v[4:5], 3, v[6:7]
	s_delay_alu instid0(VALU_DEP_2) | instskip(NEXT) | instid1(VALU_DEP_2)
	v_cmp_le_i64_e32 vcc_lo, s[4:5], v[0:1]
	v_add_co_u32 v4, s0, s34, v4
	s_delay_alu instid0(VALU_DEP_1)
	v_add_co_ci_u32_e64 v5, s0, s35, v5, s0
	s_or_b32 s14, vcc_lo, s14
	s_waitcnt lgkmcnt(0)
	global_store_b64 v[4:5], v[2:3], off
	s_and_not1_b32 exec_lo, exec_lo, s14
	s_cbranch_execz .LBB132_126
.LBB132_119:                            ; =>This Loop Header: Depth=1
                                        ;     Child Loop BB132_121 Depth 2
                                        ;     Child Loop BB132_125 Depth 2
	v_lshl_add_u32 v2, v0, 3, 0
	s_and_not1_b32 vcc_lo, exec_lo, s12
	s_mov_b64 s[0:1], 0
	v_dual_mov_b32 v6, s8 :: v_dual_mov_b32 v7, s9
	s_delay_alu instid0(VALU_DEP_2)
	v_add_nc_u32_e32 v3, 0x10000, v2
	ds_load_b64 v[4:5], v2
	ds_load_2addr_b32 v[2:3], v3 offset1:1
	s_cbranch_vccnz .LBB132_123
; %bb.120:                              ;   in Loop: Header=BB132_119 Depth=1
	v_dual_mov_b32 v6, s8 :: v_dual_mov_b32 v7, s9
	s_mov_b64 s[10:11], 0
	s_mov_b32 s1, 0
.LBB132_121:                            ;   Parent Loop BB132_119 Depth=1
                                        ; =>  This Inner Loop Header: Depth=2
	s_delay_alu instid0(SALU_CYCLE_1)
	v_mov_b32_e32 v20, s1
	s_add_u32 s10, s10, 8
	s_addc_u32 s11, s11, 0
	s_add_i32 s1, s1, 64
	s_cmp_eq_u64 s[2:3], s[10:11]
	ds_load_2addr_b64 v[8:11], v20 offset1:1
	ds_load_2addr_b64 v[12:15], v20 offset0:2 offset1:3
	ds_load_2addr_b64 v[16:19], v20 offset0:4 offset1:5
	;; [unrolled: 1-line block ×3, first 2 shown]
	s_waitcnt lgkmcnt(3)
	v_cmp_gt_i64_e32 vcc_lo, v[4:5], v[8:9]
	v_cndmask_b32_e64 v8, 0, 1, vcc_lo
	v_cmp_gt_i64_e32 vcc_lo, v[4:5], v[10:11]
	v_cndmask_b32_e64 v9, 0, 1, vcc_lo
	s_waitcnt lgkmcnt(2)
	v_cmp_gt_i64_e32 vcc_lo, v[4:5], v[12:13]
	v_cndmask_b32_e64 v10, 0, 1, vcc_lo
	v_cmp_gt_i64_e32 vcc_lo, v[4:5], v[14:15]
	v_cndmask_b32_e64 v11, 0, 1, vcc_lo
	s_waitcnt lgkmcnt(1)
	v_cmp_gt_i64_e32 vcc_lo, v[4:5], v[16:17]
	v_cndmask_b32_e64 v12, 0, 1, vcc_lo
	v_add_co_u32 v6, vcc_lo, v6, v8
	v_add_co_ci_u32_e32 v7, vcc_lo, 0, v7, vcc_lo
	v_cmp_gt_i64_e32 vcc_lo, v[4:5], v[18:19]
	s_delay_alu instid0(VALU_DEP_3) | instskip(NEXT) | instid1(VALU_DEP_1)
	v_add_co_u32 v6, s0, v6, v9
	v_add_co_ci_u32_e64 v7, s0, 0, v7, s0
	v_cndmask_b32_e64 v8, 0, 1, vcc_lo
	s_delay_alu instid0(VALU_DEP_3) | instskip(NEXT) | instid1(VALU_DEP_3)
	v_add_co_u32 v6, vcc_lo, v6, v10
	v_add_co_ci_u32_e32 v7, vcc_lo, 0, v7, vcc_lo
	s_waitcnt lgkmcnt(0)
	v_cmp_gt_i64_e32 vcc_lo, v[4:5], v[20:21]
	s_delay_alu instid0(VALU_DEP_3) | instskip(NEXT) | instid1(VALU_DEP_1)
	v_add_co_u32 v6, s0, v6, v11
	v_add_co_ci_u32_e64 v7, s0, 0, v7, s0
	v_cndmask_b32_e64 v9, 0, 1, vcc_lo
	s_delay_alu instid0(VALU_DEP_3) | instskip(NEXT) | instid1(VALU_DEP_3)
	v_add_co_u32 v6, vcc_lo, v6, v12
	v_add_co_ci_u32_e32 v7, vcc_lo, 0, v7, vcc_lo
	v_cmp_gt_i64_e32 vcc_lo, v[4:5], v[22:23]
	s_delay_alu instid0(VALU_DEP_3) | instskip(NEXT) | instid1(VALU_DEP_1)
	v_add_co_u32 v6, s0, v6, v8
	v_add_co_ci_u32_e64 v7, s0, 0, v7, s0
	v_cndmask_b32_e64 v8, 0, 1, vcc_lo
	s_delay_alu instid0(VALU_DEP_3) | instskip(NEXT) | instid1(VALU_DEP_3)
	v_add_co_u32 v6, vcc_lo, v6, v9
	v_add_co_ci_u32_e32 v7, vcc_lo, 0, v7, vcc_lo
	s_delay_alu instid0(VALU_DEP_2) | instskip(NEXT) | instid1(VALU_DEP_2)
	v_add_co_u32 v6, vcc_lo, v6, v8
	v_add_co_ci_u32_e32 v7, vcc_lo, 0, v7, vcc_lo
	s_cbranch_scc0 .LBB132_121
; %bb.122:                              ;   in Loop: Header=BB132_119 Depth=1
	s_mov_b64 s[0:1], s[2:3]
.LBB132_123:                            ;   in Loop: Header=BB132_119 Depth=1
	s_and_not1_b32 vcc_lo, exec_lo, s13
	s_cbranch_vccnz .LBB132_118
; %bb.124:                              ;   in Loop: Header=BB132_119 Depth=1
	s_lshl_b32 s0, s0, 3
	s_delay_alu instid0(SALU_CYCLE_1)
	s_add_i32 s10, s0, 0
	s_mov_b64 s[0:1], s[6:7]
.LBB132_125:                            ;   Parent Loop BB132_119 Depth=1
                                        ; =>  This Inner Loop Header: Depth=2
	v_mov_b32_e32 v8, s10
	s_add_i32 s10, s10, 8
	s_add_u32 s0, s0, -1
	s_addc_u32 s1, s1, -1
	s_delay_alu instid0(SALU_CYCLE_1) | instskip(SKIP_4) | instid1(VALU_DEP_1)
	s_cmp_lg_u64 s[0:1], 0
	ds_load_b64 v[8:9], v8
	s_waitcnt lgkmcnt(0)
	v_cmp_gt_i64_e32 vcc_lo, v[4:5], v[8:9]
	v_cndmask_b32_e64 v8, 0, 1, vcc_lo
	v_add_co_u32 v6, vcc_lo, v6, v8
	v_add_co_ci_u32_e32 v7, vcc_lo, 0, v7, vcc_lo
	s_cbranch_scc1 .LBB132_125
	s_branch .LBB132_118
.LBB132_126:
	s_nop 0
	s_sendmsg sendmsg(MSG_DEALLOC_VGPRS)
	s_endpgm
	.section	.rodata,"a",@progbits
	.p2align	6, 0x0
	.amdhsa_kernel _ZN9rocsparseL41csrgemm_numeric_fill_block_per_row_kernelILj1024ELj64ELj8192ELj137ELj32Ell21rocsparse_complex_numIfEEEvT5_PKS3_S5_NS_24const_host_device_scalarIT6_EEPKT4_S5_PKS7_SB_S5_SD_S8_SB_S5_SD_SB_S5_PS7_21rocsparse_index_base_SF_SF_SF_bbb
		.amdhsa_group_segment_fixed_size 0
		.amdhsa_private_segment_fixed_size 0
		.amdhsa_kernarg_size 156
		.amdhsa_user_sgpr_count 15
		.amdhsa_user_sgpr_dispatch_ptr 0
		.amdhsa_user_sgpr_queue_ptr 0
		.amdhsa_user_sgpr_kernarg_segment_ptr 1
		.amdhsa_user_sgpr_dispatch_id 0
		.amdhsa_user_sgpr_private_segment_size 0
		.amdhsa_wavefront_size32 1
		.amdhsa_uses_dynamic_stack 0
		.amdhsa_enable_private_segment 0
		.amdhsa_system_sgpr_workgroup_id_x 1
		.amdhsa_system_sgpr_workgroup_id_y 0
		.amdhsa_system_sgpr_workgroup_id_z 0
		.amdhsa_system_sgpr_workgroup_info 0
		.amdhsa_system_vgpr_workitem_id 0
		.amdhsa_next_free_vgpr 27
		.amdhsa_next_free_sgpr 76
		.amdhsa_reserve_vcc 1
		.amdhsa_float_round_mode_32 0
		.amdhsa_float_round_mode_16_64 0
		.amdhsa_float_denorm_mode_32 3
		.amdhsa_float_denorm_mode_16_64 3
		.amdhsa_dx10_clamp 1
		.amdhsa_ieee_mode 1
		.amdhsa_fp16_overflow 0
		.amdhsa_workgroup_processor_mode 1
		.amdhsa_memory_ordered 1
		.amdhsa_forward_progress 0
		.amdhsa_shared_vgpr_count 0
		.amdhsa_exception_fp_ieee_invalid_op 0
		.amdhsa_exception_fp_denorm_src 0
		.amdhsa_exception_fp_ieee_div_zero 0
		.amdhsa_exception_fp_ieee_overflow 0
		.amdhsa_exception_fp_ieee_underflow 0
		.amdhsa_exception_fp_ieee_inexact 0
		.amdhsa_exception_int_div_zero 0
	.end_amdhsa_kernel
	.section	.text._ZN9rocsparseL41csrgemm_numeric_fill_block_per_row_kernelILj1024ELj64ELj8192ELj137ELj32Ell21rocsparse_complex_numIfEEEvT5_PKS3_S5_NS_24const_host_device_scalarIT6_EEPKT4_S5_PKS7_SB_S5_SD_S8_SB_S5_SD_SB_S5_PS7_21rocsparse_index_base_SF_SF_SF_bbb,"axG",@progbits,_ZN9rocsparseL41csrgemm_numeric_fill_block_per_row_kernelILj1024ELj64ELj8192ELj137ELj32Ell21rocsparse_complex_numIfEEEvT5_PKS3_S5_NS_24const_host_device_scalarIT6_EEPKT4_S5_PKS7_SB_S5_SD_S8_SB_S5_SD_SB_S5_PS7_21rocsparse_index_base_SF_SF_SF_bbb,comdat
.Lfunc_end132:
	.size	_ZN9rocsparseL41csrgemm_numeric_fill_block_per_row_kernelILj1024ELj64ELj8192ELj137ELj32Ell21rocsparse_complex_numIfEEEvT5_PKS3_S5_NS_24const_host_device_scalarIT6_EEPKT4_S5_PKS7_SB_S5_SD_S8_SB_S5_SD_SB_S5_PS7_21rocsparse_index_base_SF_SF_SF_bbb, .Lfunc_end132-_ZN9rocsparseL41csrgemm_numeric_fill_block_per_row_kernelILj1024ELj64ELj8192ELj137ELj32Ell21rocsparse_complex_numIfEEEvT5_PKS3_S5_NS_24const_host_device_scalarIT6_EEPKT4_S5_PKS7_SB_S5_SD_S8_SB_S5_SD_SB_S5_PS7_21rocsparse_index_base_SF_SF_SF_bbb
                                        ; -- End function
	.section	.AMDGPU.csdata,"",@progbits
; Kernel info:
; codeLenInByte = 5032
; NumSgprs: 78
; NumVgprs: 27
; ScratchSize: 0
; MemoryBound: 0
; FloatMode: 240
; IeeeMode: 1
; LDSByteSize: 0 bytes/workgroup (compile time only)
; SGPRBlocks: 9
; VGPRBlocks: 3
; NumSGPRsForWavesPerEU: 78
; NumVGPRsForWavesPerEU: 27
; Occupancy: 16
; WaveLimiterHint : 1
; COMPUTE_PGM_RSRC2:SCRATCH_EN: 0
; COMPUTE_PGM_RSRC2:USER_SGPR: 15
; COMPUTE_PGM_RSRC2:TRAP_HANDLER: 0
; COMPUTE_PGM_RSRC2:TGID_X_EN: 1
; COMPUTE_PGM_RSRC2:TGID_Y_EN: 0
; COMPUTE_PGM_RSRC2:TGID_Z_EN: 0
; COMPUTE_PGM_RSRC2:TIDIG_COMP_CNT: 0
	.section	.text._ZN9rocsparseL41csrgemm_numeric_fill_block_per_row_kernelILj1024ELj64ELj8192ELj137ELj64Ell21rocsparse_complex_numIfEEEvT5_PKS3_S5_NS_24const_host_device_scalarIT6_EEPKT4_S5_PKS7_SB_S5_SD_S8_SB_S5_SD_SB_S5_PS7_21rocsparse_index_base_SF_SF_SF_bbb,"axG",@progbits,_ZN9rocsparseL41csrgemm_numeric_fill_block_per_row_kernelILj1024ELj64ELj8192ELj137ELj64Ell21rocsparse_complex_numIfEEEvT5_PKS3_S5_NS_24const_host_device_scalarIT6_EEPKT4_S5_PKS7_SB_S5_SD_S8_SB_S5_SD_SB_S5_PS7_21rocsparse_index_base_SF_SF_SF_bbb,comdat
	.globl	_ZN9rocsparseL41csrgemm_numeric_fill_block_per_row_kernelILj1024ELj64ELj8192ELj137ELj64Ell21rocsparse_complex_numIfEEEvT5_PKS3_S5_NS_24const_host_device_scalarIT6_EEPKT4_S5_PKS7_SB_S5_SD_S8_SB_S5_SD_SB_S5_PS7_21rocsparse_index_base_SF_SF_SF_bbb ; -- Begin function _ZN9rocsparseL41csrgemm_numeric_fill_block_per_row_kernelILj1024ELj64ELj8192ELj137ELj64Ell21rocsparse_complex_numIfEEEvT5_PKS3_S5_NS_24const_host_device_scalarIT6_EEPKT4_S5_PKS7_SB_S5_SD_S8_SB_S5_SD_SB_S5_PS7_21rocsparse_index_base_SF_SF_SF_bbb
	.p2align	8
	.type	_ZN9rocsparseL41csrgemm_numeric_fill_block_per_row_kernelILj1024ELj64ELj8192ELj137ELj64Ell21rocsparse_complex_numIfEEEvT5_PKS3_S5_NS_24const_host_device_scalarIT6_EEPKT4_S5_PKS7_SB_S5_SD_S8_SB_S5_SD_SB_S5_PS7_21rocsparse_index_base_SF_SF_SF_bbb,@function
_ZN9rocsparseL41csrgemm_numeric_fill_block_per_row_kernelILj1024ELj64ELj8192ELj137ELj64Ell21rocsparse_complex_numIfEEEvT5_PKS3_S5_NS_24const_host_device_scalarIT6_EEPKT4_S5_PKS7_SB_S5_SD_S8_SB_S5_SD_SB_S5_PS7_21rocsparse_index_base_SF_SF_SF_bbb: ; @_ZN9rocsparseL41csrgemm_numeric_fill_block_per_row_kernelILj1024ELj64ELj8192ELj137ELj64Ell21rocsparse_complex_numIfEEEvT5_PKS3_S5_NS_24const_host_device_scalarIT6_EEPKT4_S5_PKS7_SB_S5_SD_S8_SB_S5_SD_SB_S5_PS7_21rocsparse_index_base_SF_SF_SF_bbb
; %bb.0:
	s_mov_b32 s40, s15
	s_clause 0x7
	s_load_b32 s33, s[0:1], 0x98
	s_load_b64 s[36:37], s[0:1], 0x70
	s_load_b128 s[24:27], s[0:1], 0x60
	s_load_b256 s[4:11], s[0:1], 0x40
	s_load_b128 s[28:31], s[0:1], 0x8
	s_load_b256 s[12:19], s[0:1], 0x20
	s_load_b64 s[34:35], s[0:1], 0x80
	s_load_b128 s[20:23], s[0:1], 0x88
	s_mov_b32 s3, 0
	s_mov_b32 s42, 0
	s_waitcnt lgkmcnt(0)
	s_bitcmp1_b32 s33, 0
	s_cselect_b32 s44, -1, 0
	s_bitcmp1_b32 s33, 16
	s_cselect_b32 s2, -1, 0
	s_delay_alu instid0(SALU_CYCLE_1) | instskip(SKIP_2) | instid1(VALU_DEP_1)
	s_xor_b32 s38, s2, -1
	s_bitcmp0_b32 s33, 0
	v_cndmask_b32_e64 v1, 0, 1, s38
	v_cmp_ne_u32_e32 vcc_lo, 1, v1
	s_cbranch_scc1 .LBB133_5
; %bb.1:
	s_load_b64 s[2:3], s[0:1], 0x18
	s_and_b32 vcc_lo, exec_lo, vcc_lo
	s_waitcnt lgkmcnt(0)
	s_mov_b32 s42, s2
	s_cbranch_vccnz .LBB133_3
; %bb.2:
	s_load_b32 s42, s[2:3], 0x0
.LBB133_3:
	s_and_not1_b32 vcc_lo, exec_lo, s38
	s_cbranch_vccnz .LBB133_5
; %bb.4:
	s_load_b32 s3, s[2:3], 0x4
.LBB133_5:
	s_bitcmp1_b32 s33, 8
	s_cselect_b32 s43, -1, 0
	s_bfe_u32 s2, s33, 0x10008
	s_mov_b32 s33, 0
	s_cmp_eq_u32 s2, 0
	s_mov_b32 s2, 0
	s_cbranch_scc1 .LBB133_11
; %bb.6:
	v_cmp_ne_u32_e32 vcc_lo, 1, v1
	s_mov_b32 s2, s8
	s_cbranch_vccnz .LBB133_8
; %bb.7:
	s_load_b32 s2, s[8:9], 0x0
.LBB133_8:
	v_cmp_ne_u32_e32 vcc_lo, 1, v1
	s_cbranch_vccnz .LBB133_10
; %bb.9:
	s_load_b32 s9, s[8:9], 0x4
.LBB133_10:
	s_waitcnt lgkmcnt(0)
	s_mov_b32 s33, s9
.LBB133_11:
	s_load_b64 s[38:39], s[0:1], 0x0
	v_lshl_add_u32 v12, v0, 3, 0
	s_mov_b32 s41, 0
	s_delay_alu instid0(VALU_DEP_1) | instskip(SKIP_2) | instid1(VALU_DEP_2)
	v_add_nc_u32_e32 v11, 0x10000, v12
	s_waitcnt lgkmcnt(0)
	v_dual_mov_b32 v1, s38 :: v_dual_mov_b32 v2, s39
	v_dual_mov_b32 v19, 0 :: v_dual_add_nc_u32 v20, 0x2000, v11
	v_add_nc_u32_e32 v21, 0x4000, v11
	v_dual_mov_b32 v3, s38 :: v_dual_add_nc_u32 v22, 0x6000, v11
	v_dual_mov_b32 v5, s38 :: v_dual_add_nc_u32 v24, 0xa000, v11
	;; [unrolled: 1-line block ×3, first 2 shown]
	v_dual_mov_b32 v4, s39 :: v_dual_mov_b32 v9, s38
	v_mov_b32_e32 v13, s38
	v_mov_b32_e32 v15, s38
	v_dual_mov_b32 v17, s38 :: v_dual_mov_b32 v18, s39
	v_dual_mov_b32 v6, s39 :: v_dual_add_nc_u32 v23, 0x8000, v11
	v_dual_mov_b32 v8, s39 :: v_dual_add_nc_u32 v25, 0xc000, v11
	v_mov_b32_e32 v10, s39
	v_mov_b32_e32 v14, s39
	;; [unrolled: 1-line block ×3, first 2 shown]
	ds_store_2addr_b32 v11, v19, v19 offset1:1
	ds_store_2addr_b32 v20, v19, v19 offset1:1
	;; [unrolled: 1-line block ×4, first 2 shown]
	ds_store_2addr_stride64_b64 v12, v[1:2], v[3:4] offset1:16
	ds_store_2addr_stride64_b64 v12, v[5:6], v[7:8] offset0:32 offset1:48
	ds_store_2addr_stride64_b64 v12, v[9:10], v[13:14] offset0:64 offset1:80
	;; [unrolled: 1-line block ×3, first 2 shown]
	ds_store_2addr_b32 v23, v19, v19 offset1:1
	ds_store_2addr_b32 v24, v19, v19 offset1:1
	;; [unrolled: 1-line block ×4, first 2 shown]
	s_waitcnt lgkmcnt(0)
	s_barrier
	buffer_gl0_inv
	s_load_b64 s[0:1], s[28:29], 0x0
	v_lshrrev_b32_e32 v11, 6, v0
	s_waitcnt lgkmcnt(0)
	s_lshl_b64 s[0:1], s[0:1], 3
	s_delay_alu instid0(SALU_CYCLE_1) | instskip(SKIP_2) | instid1(SALU_CYCLE_1)
	s_add_u32 s8, s30, s0
	s_addc_u32 s9, s31, s1
	s_lshl_b64 s[0:1], s[40:41], 3
	s_add_u32 s0, s8, s0
	s_addc_u32 s1, s9, s1
	s_and_not1_b32 vcc_lo, exec_lo, s44
	s_load_b64 s[28:29], s[0:1], 0x0
	s_cbranch_vccnz .LBB133_31
; %bb.12:
	s_waitcnt lgkmcnt(0)
	s_lshl_b64 s[0:1], s[28:29], 3
	s_mov_b32 s8, exec_lo
	s_add_u32 s0, s12, s0
	s_addc_u32 s1, s13, s1
	s_load_b128 s[44:47], s[0:1], 0x0
	v_sub_co_u32 v1, s0, v11, s20
	s_delay_alu instid0(VALU_DEP_1) | instskip(SKIP_1) | instid1(VALU_DEP_2)
	v_sub_co_ci_u32_e64 v2, null, 0, 0, s0
	s_waitcnt lgkmcnt(0)
	v_add_co_u32 v1, vcc_lo, s44, v1
	s_delay_alu instid0(VALU_DEP_2)
	v_add_co_ci_u32_e32 v2, vcc_lo, s45, v2, vcc_lo
	s_sub_u32 s0, s46, s20
	s_subb_u32 s1, s47, 0
	s_delay_alu instid0(VALU_DEP_1) | instid1(SALU_CYCLE_1)
	v_cmpx_gt_i64_e64 s[0:1], v[1:2]
	s_cbranch_execz .LBB133_30
; %bb.13:
	v_and_b32_e32 v3, 63, v0
	s_mov_b32 s12, s21
	s_delay_alu instid0(VALU_DEP_1) | instskip(NEXT) | instid1(VALU_DEP_1)
	v_sub_co_u32 v13, s9, v3, s21
	v_sub_co_ci_u32_e64 v14, null, 0, 0, s9
	s_mov_b32 s9, 0
	s_branch .LBB133_15
.LBB133_14:                             ;   in Loop: Header=BB133_15 Depth=1
	s_or_b32 exec_lo, exec_lo, s13
	v_add_co_u32 v1, vcc_lo, v1, 16
	v_add_co_ci_u32_e32 v2, vcc_lo, 0, v2, vcc_lo
	s_delay_alu instid0(VALU_DEP_1) | instskip(SKIP_1) | instid1(SALU_CYCLE_1)
	v_cmp_le_i64_e32 vcc_lo, s[0:1], v[1:2]
	s_or_b32 s9, vcc_lo, s9
	s_and_not1_b32 exec_lo, exec_lo, s9
	s_cbranch_execz .LBB133_30
.LBB133_15:                             ; =>This Loop Header: Depth=1
                                        ;     Child Loop BB133_18 Depth 2
                                        ;       Child Loop BB133_20 Depth 3
	v_lshlrev_b64 v[7:8], 3, v[1:2]
	s_mov_b32 s13, exec_lo
	s_delay_alu instid0(VALU_DEP_1) | instskip(NEXT) | instid1(VALU_DEP_2)
	v_add_co_u32 v3, vcc_lo, s14, v7
	v_add_co_ci_u32_e32 v4, vcc_lo, s15, v8, vcc_lo
	global_load_b64 v[3:4], v[3:4], off
	s_waitcnt vmcnt(0)
	v_sub_co_u32 v3, vcc_lo, v3, s20
	v_subrev_co_ci_u32_e32 v4, vcc_lo, 0, v4, vcc_lo
	s_delay_alu instid0(VALU_DEP_1) | instskip(NEXT) | instid1(VALU_DEP_1)
	v_lshlrev_b64 v[3:4], 3, v[3:4]
	v_add_co_u32 v3, vcc_lo, s18, v3
	s_delay_alu instid0(VALU_DEP_2)
	v_add_co_ci_u32_e32 v4, vcc_lo, s19, v4, vcc_lo
	global_load_b128 v[15:18], v[3:4], off
	s_waitcnt vmcnt(0)
	v_sub_co_u32 v3, vcc_lo, v17, s12
	v_subrev_co_ci_u32_e32 v4, vcc_lo, 0, v18, vcc_lo
	v_add_co_u32 v5, vcc_lo, v15, v13
	v_add_co_ci_u32_e32 v6, vcc_lo, v16, v14, vcc_lo
	s_delay_alu instid0(VALU_DEP_1)
	v_cmpx_lt_i64_e64 v[5:6], v[3:4]
	s_cbranch_execz .LBB133_14
; %bb.16:                               ;   in Loop: Header=BB133_15 Depth=1
	v_add_co_u32 v7, vcc_lo, s16, v7
	v_add_co_ci_u32_e32 v8, vcc_lo, s17, v8, vcc_lo
	s_mov_b32 s21, 0
	global_load_b64 v[7:8], v[7:8], off
	s_waitcnt vmcnt(0)
	v_mul_f32_e64 v15, v8, -s3
	s_delay_alu instid0(VALU_DEP_1) | instskip(NEXT) | instid1(VALU_DEP_1)
	v_dual_mul_f32 v16, s42, v8 :: v_dual_fmac_f32 v15, s42, v7
	v_fmac_f32_e32 v16, s3, v7
	s_branch .LBB133_18
.LBB133_17:                             ;   in Loop: Header=BB133_18 Depth=2
	s_or_b32 exec_lo, exec_lo, s30
	v_add_co_u32 v5, vcc_lo, v5, 64
	v_add_co_ci_u32_e32 v6, vcc_lo, 0, v6, vcc_lo
	s_delay_alu instid0(VALU_DEP_1) | instskip(SKIP_1) | instid1(SALU_CYCLE_1)
	v_cmp_ge_i64_e32 vcc_lo, v[5:6], v[3:4]
	s_or_b32 s21, vcc_lo, s21
	s_and_not1_b32 exec_lo, exec_lo, s21
	s_cbranch_execz .LBB133_14
.LBB133_18:                             ;   Parent Loop BB133_15 Depth=1
                                        ; =>  This Loop Header: Depth=2
                                        ;       Child Loop BB133_20 Depth 3
	v_lshlrev_b64 v[7:8], 3, v[5:6]
	s_mov_b32 s30, 0
	s_delay_alu instid0(VALU_DEP_1) | instskip(NEXT) | instid1(VALU_DEP_2)
	v_add_co_u32 v9, vcc_lo, s4, v7
	v_add_co_ci_u32_e32 v10, vcc_lo, s5, v8, vcc_lo
	v_add_co_u32 v7, vcc_lo, s6, v7
	v_add_co_ci_u32_e32 v8, vcc_lo, s7, v8, vcc_lo
	global_load_b64 v[9:10], v[9:10], off
	global_load_b64 v[19:20], v[7:8], off
	s_waitcnt vmcnt(1)
	v_sub_co_u32 v7, vcc_lo, v9, s12
	v_subrev_co_ci_u32_e32 v8, vcc_lo, 0, v10, vcc_lo
	s_waitcnt vmcnt(0)
	v_mul_f32_e64 v17, v20, -v16
	s_delay_alu instid0(VALU_DEP_3) | instskip(SKIP_1) | instid1(VALU_DEP_3)
	v_mul_lo_u32 v9, 0x89, v7
	v_mul_f32_e32 v18, v15, v20
	v_fmac_f32_e32 v17, v15, v19
	s_delay_alu instid0(VALU_DEP_2)
	v_dual_fmac_f32 v18, v16, v19 :: v_dual_and_b32 v19, 0x1fff, v9
	s_branch .LBB133_20
.LBB133_19:                             ;   in Loop: Header=BB133_20 Depth=3
	s_or_b32 exec_lo, exec_lo, s31
	s_xor_b32 s31, s40, -1
	s_delay_alu instid0(SALU_CYCLE_1) | instskip(NEXT) | instid1(SALU_CYCLE_1)
	s_and_b32 s31, exec_lo, s31
	s_or_b32 s30, s31, s30
	s_delay_alu instid0(SALU_CYCLE_1)
	s_and_not1_b32 exec_lo, exec_lo, s30
	s_cbranch_execz .LBB133_17
.LBB133_20:                             ;   Parent Loop BB133_15 Depth=1
                                        ;     Parent Loop BB133_18 Depth=2
                                        ; =>    This Inner Loop Header: Depth=3
	s_delay_alu instid0(VALU_DEP_1)
	v_lshl_add_u32 v20, v19, 3, 0
	s_mov_b32 s31, exec_lo
                                        ; implicit-def: $sgpr40
	ds_load_b64 v[9:10], v20
	s_waitcnt lgkmcnt(0)
	v_cmpx_ne_u64_e64 v[9:10], v[7:8]
	s_xor_b32 s31, exec_lo, s31
	s_cbranch_execz .LBB133_28
; %bb.21:                               ;   in Loop: Header=BB133_20 Depth=3
	s_mov_b32 s41, exec_lo
                                        ; implicit-def: $sgpr40
	v_cmpx_ne_u64_e64 s[38:39], v[9:10]
	s_xor_b32 s41, exec_lo, s41
; %bb.22:                               ;   in Loop: Header=BB133_20 Depth=3
	v_add_nc_u32_e32 v9, 1, v19
	s_mov_b32 s40, -1
                                        ; implicit-def: $vgpr20
	s_delay_alu instid0(VALU_DEP_1)
	v_and_b32_e32 v19, 0x1fff, v9
; %bb.23:                               ;   in Loop: Header=BB133_20 Depth=3
	s_and_not1_saveexec_b32 s41, s41
	s_cbranch_execz .LBB133_27
; %bb.24:                               ;   in Loop: Header=BB133_20 Depth=3
	v_dual_mov_b32 v9, s38 :: v_dual_mov_b32 v10, s39
	s_mov_b32 s45, -1
	s_mov_b32 s44, exec_lo
	ds_cmpstore_rtn_b64 v[9:10], v20, v[7:8], v[9:10]
	s_waitcnt lgkmcnt(0)
	v_cmpx_eq_u64_e64 s[38:39], v[9:10]
	s_cbranch_execz .LBB133_26
; %bb.25:                               ;   in Loop: Header=BB133_20 Depth=3
	v_lshlrev_b32_e32 v9, 3, v19
	s_xor_b32 s45, exec_lo, -1
	s_delay_alu instid0(VALU_DEP_1)
	v_add3_u32 v9, 0, v9, 0x10000
	ds_add_f32 v9, v17
	ds_add_f32 v9, v18 offset:4
.LBB133_26:                             ;   in Loop: Header=BB133_20 Depth=3
	s_or_b32 exec_lo, exec_lo, s44
	s_delay_alu instid0(SALU_CYCLE_1) | instskip(SKIP_1) | instid1(SALU_CYCLE_1)
	s_and_not1_b32 s40, s40, exec_lo
	s_and_b32 s44, s45, exec_lo
	s_or_b32 s40, s40, s44
.LBB133_27:                             ;   in Loop: Header=BB133_20 Depth=3
	s_or_b32 exec_lo, exec_lo, s41
	s_delay_alu instid0(SALU_CYCLE_1)
	s_and_b32 s40, s40, exec_lo
.LBB133_28:                             ;   in Loop: Header=BB133_20 Depth=3
	s_and_not1_saveexec_b32 s31, s31
	s_cbranch_execz .LBB133_19
; %bb.29:                               ;   in Loop: Header=BB133_20 Depth=3
	v_lshlrev_b32_e32 v9, 3, v19
	s_and_not1_b32 s40, s40, exec_lo
	s_delay_alu instid0(VALU_DEP_1)
	v_add3_u32 v9, 0, v9, 0x10000
	ds_add_f32 v9, v17
	ds_add_f32 v9, v18 offset:4
	s_branch .LBB133_19
.LBB133_30:
	s_or_b32 exec_lo, exec_lo, s8
.LBB133_31:
	s_delay_alu instid0(SALU_CYCLE_1)
	s_and_not1_b32 vcc_lo, exec_lo, s43
	s_cbranch_vccnz .LBB133_48
; %bb.32:
	s_waitcnt lgkmcnt(0)
	s_lshl_b64 s[0:1], s[28:29], 3
	s_mov_b32 s3, 0
	s_add_u32 s0, s10, s0
	s_addc_u32 s1, s11, s1
	s_load_b128 s[4:7], s[0:1], 0x0
	v_sub_co_u32 v1, s0, v0, s23
	s_delay_alu instid0(VALU_DEP_1) | instskip(SKIP_1) | instid1(VALU_DEP_2)
	v_sub_co_ci_u32_e64 v2, null, 0, 0, s0
	s_waitcnt lgkmcnt(0)
	v_add_co_u32 v1, vcc_lo, s4, v1
	s_delay_alu instid0(VALU_DEP_2) | instskip(SKIP_3) | instid1(VALU_DEP_1)
	v_add_co_ci_u32_e32 v2, vcc_lo, s5, v2, vcc_lo
	s_sub_u32 s0, s6, s23
	s_subb_u32 s1, s7, 0
	s_mov_b32 s4, exec_lo
	v_cmpx_gt_i64_e64 s[0:1], v[1:2]
	s_cbranch_execz .LBB133_47
; %bb.33:
	s_mov_b32 s5, s23
	s_branch .LBB133_35
.LBB133_34:                             ;   in Loop: Header=BB133_35 Depth=1
	s_or_b32 exec_lo, exec_lo, s6
	v_add_co_u32 v1, vcc_lo, 0x400, v1
	v_add_co_ci_u32_e32 v2, vcc_lo, 0, v2, vcc_lo
	s_delay_alu instid0(VALU_DEP_1) | instskip(SKIP_1) | instid1(SALU_CYCLE_1)
	v_cmp_le_i64_e32 vcc_lo, s[0:1], v[1:2]
	s_or_b32 s3, vcc_lo, s3
	s_and_not1_b32 exec_lo, exec_lo, s3
	s_cbranch_execz .LBB133_47
.LBB133_35:                             ; =>This Loop Header: Depth=1
                                        ;     Child Loop BB133_37 Depth 2
	v_lshlrev_b64 v[3:4], 3, v[1:2]
	s_mov_b32 s6, 0
	s_delay_alu instid0(VALU_DEP_1) | instskip(NEXT) | instid1(VALU_DEP_2)
	v_add_co_u32 v5, vcc_lo, s24, v3
	v_add_co_ci_u32_e32 v6, vcc_lo, s25, v4, vcc_lo
	v_add_co_u32 v3, vcc_lo, s26, v3
	v_add_co_ci_u32_e32 v4, vcc_lo, s27, v4, vcc_lo
	global_load_b64 v[5:6], v[5:6], off
	global_load_b64 v[9:10], v[3:4], off
	s_waitcnt vmcnt(1)
	v_sub_co_u32 v3, vcc_lo, v5, s5
	v_subrev_co_ci_u32_e32 v4, vcc_lo, 0, v6, vcc_lo
	s_waitcnt vmcnt(0)
	v_mul_f32_e64 v7, v10, -s33
	s_delay_alu instid0(VALU_DEP_3) | instskip(NEXT) | instid1(VALU_DEP_2)
	v_mul_lo_u32 v5, 0x89, v3
	v_dual_mul_f32 v8, s2, v10 :: v_dual_fmac_f32 v7, s2, v9
	s_delay_alu instid0(VALU_DEP_1) | instskip(NEXT) | instid1(VALU_DEP_3)
	v_fmac_f32_e32 v8, s33, v9
	v_and_b32_e32 v9, 0x1fff, v5
	s_branch .LBB133_37
.LBB133_36:                             ;   in Loop: Header=BB133_37 Depth=2
	s_or_b32 exec_lo, exec_lo, s7
	s_xor_b32 s7, s8, -1
	s_delay_alu instid0(SALU_CYCLE_1) | instskip(NEXT) | instid1(SALU_CYCLE_1)
	s_and_b32 s7, exec_lo, s7
	s_or_b32 s6, s7, s6
	s_delay_alu instid0(SALU_CYCLE_1)
	s_and_not1_b32 exec_lo, exec_lo, s6
	s_cbranch_execz .LBB133_34
.LBB133_37:                             ;   Parent Loop BB133_35 Depth=1
                                        ; =>  This Inner Loop Header: Depth=2
	s_delay_alu instid0(VALU_DEP_1)
	v_lshl_add_u32 v10, v9, 3, 0
	s_mov_b32 s7, exec_lo
                                        ; implicit-def: $sgpr8
	ds_load_b64 v[5:6], v10
	s_waitcnt lgkmcnt(0)
	v_cmpx_ne_u64_e64 v[5:6], v[3:4]
	s_xor_b32 s7, exec_lo, s7
	s_cbranch_execz .LBB133_45
; %bb.38:                               ;   in Loop: Header=BB133_37 Depth=2
	s_mov_b32 s9, exec_lo
                                        ; implicit-def: $sgpr8
	v_cmpx_ne_u64_e64 s[38:39], v[5:6]
	s_xor_b32 s9, exec_lo, s9
; %bb.39:                               ;   in Loop: Header=BB133_37 Depth=2
	v_add_nc_u32_e32 v5, 1, v9
	s_mov_b32 s8, -1
                                        ; implicit-def: $vgpr10
	s_delay_alu instid0(VALU_DEP_1)
	v_and_b32_e32 v9, 0x1fff, v5
; %bb.40:                               ;   in Loop: Header=BB133_37 Depth=2
	s_and_not1_saveexec_b32 s9, s9
	s_cbranch_execz .LBB133_44
; %bb.41:                               ;   in Loop: Header=BB133_37 Depth=2
	v_dual_mov_b32 v5, s38 :: v_dual_mov_b32 v6, s39
	s_mov_b32 s11, -1
	s_mov_b32 s10, exec_lo
	ds_cmpstore_rtn_b64 v[5:6], v10, v[3:4], v[5:6]
	s_waitcnt lgkmcnt(0)
	v_cmpx_eq_u64_e64 s[38:39], v[5:6]
	s_cbranch_execz .LBB133_43
; %bb.42:                               ;   in Loop: Header=BB133_37 Depth=2
	v_lshlrev_b32_e32 v5, 3, v9
	s_xor_b32 s11, exec_lo, -1
	s_delay_alu instid0(VALU_DEP_1)
	v_add3_u32 v5, 0, v5, 0x10000
	ds_add_f32 v5, v7
	ds_add_f32 v5, v8 offset:4
.LBB133_43:                             ;   in Loop: Header=BB133_37 Depth=2
	s_or_b32 exec_lo, exec_lo, s10
	s_delay_alu instid0(SALU_CYCLE_1) | instskip(SKIP_1) | instid1(SALU_CYCLE_1)
	s_and_not1_b32 s8, s8, exec_lo
	s_and_b32 s10, s11, exec_lo
	s_or_b32 s8, s8, s10
.LBB133_44:                             ;   in Loop: Header=BB133_37 Depth=2
	s_or_b32 exec_lo, exec_lo, s9
	s_delay_alu instid0(SALU_CYCLE_1)
	s_and_b32 s8, s8, exec_lo
.LBB133_45:                             ;   in Loop: Header=BB133_37 Depth=2
	s_and_not1_saveexec_b32 s7, s7
	s_cbranch_execz .LBB133_36
; %bb.46:                               ;   in Loop: Header=BB133_37 Depth=2
	v_lshlrev_b32_e32 v5, 3, v9
	s_and_not1_b32 s8, s8, exec_lo
	s_delay_alu instid0(VALU_DEP_1)
	v_add3_u32 v5, 0, v5, 0x10000
	ds_add_f32 v5, v7
	ds_add_f32 v5, v8 offset:4
	s_branch .LBB133_36
.LBB133_47:
	s_or_b32 exec_lo, exec_lo, s4
.LBB133_48:
	v_mbcnt_lo_u32_b32 v1, -1, 0
	v_dual_mov_b32 v5, 0 :: v_dual_lshlrev_b32 v2, 3, v11
	s_add_i32 s33, 0, 0x20078
	v_cmp_eq_u32_e32 vcc_lo, 0x3ff, v0
	s_delay_alu instid0(VALU_DEP_3) | instskip(NEXT) | instid1(VALU_DEP_3)
	v_xor_b32_e32 v1, 63, v1
	v_add3_u32 v13, 0, 0x20000, v2
	v_cmp_lt_u32_e64 s0, 63, v0
	v_cmp_lt_u32_e64 s1, 0x7f, v0
	;; [unrolled: 1-line block ×3, first 2 shown]
	v_lshrrev_b64 v[1:2], v1, -1
	v_dual_mov_b32 v2, 0 :: v_dual_mov_b32 v15, s33
	v_cmp_lt_u32_e64 s3, 0xff, v0
	v_cmp_lt_u32_e64 s4, 0x13f, v0
	;; [unrolled: 1-line block ×12, first 2 shown]
	v_or_b32_e32 v14, 0xfffffc00, v0
	v_mov_b32_e32 v3, 0
	s_mov_b32 s17, 0
	s_add_i32 s18, 0, 0x20000
	s_add_i32 s19, 0, 0x20008
	;; [unrolled: 1-line block ×15, first 2 shown]
	s_waitcnt lgkmcnt(0)
	s_barrier
	buffer_gl0_inv
	s_branch .LBB133_50
.LBB133_49:                             ;   in Loop: Header=BB133_50 Depth=1
	s_or_b32 exec_lo, exec_lo, s15
	s_waitcnt lgkmcnt(0)
	s_barrier
	buffer_gl0_inv
	ds_load_b64 v[6:7], v15
	v_add_nc_u32_e32 v14, 0x400, v14
	v_add_nc_u32_e32 v12, 0x2000, v12
	s_delay_alu instid0(VALU_DEP_2) | instskip(NEXT) | instid1(VALU_DEP_1)
	v_cmp_lt_u32_e64 s15, 0x1bff, v14
	s_or_b32 s17, s15, s17
	s_waitcnt lgkmcnt(0)
	v_add_co_u32 v2, s16, v6, v2
	s_delay_alu instid0(VALU_DEP_1)
	v_add_co_ci_u32_e64 v3, s16, v7, v3, s16
	s_and_not1_b32 exec_lo, exec_lo, s17
	s_cbranch_execz .LBB133_84
.LBB133_50:                             ; =>This Inner Loop Header: Depth=1
	ds_load_b64 v[6:7], v12
	v_add_nc_u32_e32 v4, 0x10000, v12
	ds_load_2addr_b32 v[8:9], v4 offset1:1
	s_waitcnt lgkmcnt(0)
	s_barrier
	buffer_gl0_inv
	v_cmp_gt_i64_e64 s15, s[38:39], v[6:7]
	s_delay_alu instid0(VALU_DEP_1) | instskip(SKIP_1) | instid1(SALU_CYCLE_1)
	v_and_b32_e32 v10, s15, v1
	s_bcnt1_i32_b32 s16, s15
	v_mov_b32_e32 v4, s16
	s_delay_alu instid0(VALU_DEP_2)
	v_bcnt_u32_b32 v10, v10, 0
	ds_store_b64 v13, v[4:5]
	s_waitcnt lgkmcnt(0)
	s_barrier
	buffer_gl0_inv
	s_and_saveexec_b32 s16, s0
	s_cbranch_execnz .LBB133_67
; %bb.51:                               ;   in Loop: Header=BB133_50 Depth=1
	s_or_b32 exec_lo, exec_lo, s16
	s_and_saveexec_b32 s16, s1
	s_cbranch_execnz .LBB133_68
.LBB133_52:                             ;   in Loop: Header=BB133_50 Depth=1
	s_or_b32 exec_lo, exec_lo, s16
	s_and_saveexec_b32 s16, s2
	s_cbranch_execnz .LBB133_69
.LBB133_53:                             ;   in Loop: Header=BB133_50 Depth=1
	s_or_b32 exec_lo, exec_lo, s16
	s_and_saveexec_b32 s16, s3
	s_cbranch_execnz .LBB133_70
.LBB133_54:                             ;   in Loop: Header=BB133_50 Depth=1
	s_or_b32 exec_lo, exec_lo, s16
	s_and_saveexec_b32 s16, s4
	s_cbranch_execnz .LBB133_71
.LBB133_55:                             ;   in Loop: Header=BB133_50 Depth=1
	s_or_b32 exec_lo, exec_lo, s16
	s_and_saveexec_b32 s16, s5
	s_cbranch_execnz .LBB133_72
.LBB133_56:                             ;   in Loop: Header=BB133_50 Depth=1
	s_or_b32 exec_lo, exec_lo, s16
	s_and_saveexec_b32 s16, s6
	s_cbranch_execnz .LBB133_73
.LBB133_57:                             ;   in Loop: Header=BB133_50 Depth=1
	s_or_b32 exec_lo, exec_lo, s16
	s_and_saveexec_b32 s16, s7
	s_cbranch_execnz .LBB133_74
.LBB133_58:                             ;   in Loop: Header=BB133_50 Depth=1
	s_or_b32 exec_lo, exec_lo, s16
	s_and_saveexec_b32 s16, s8
	s_cbranch_execnz .LBB133_75
.LBB133_59:                             ;   in Loop: Header=BB133_50 Depth=1
	s_or_b32 exec_lo, exec_lo, s16
	s_and_saveexec_b32 s16, s9
	s_cbranch_execnz .LBB133_76
.LBB133_60:                             ;   in Loop: Header=BB133_50 Depth=1
	s_or_b32 exec_lo, exec_lo, s16
	s_and_saveexec_b32 s16, s10
	s_cbranch_execnz .LBB133_77
.LBB133_61:                             ;   in Loop: Header=BB133_50 Depth=1
	s_or_b32 exec_lo, exec_lo, s16
	s_and_saveexec_b32 s16, s11
	s_cbranch_execnz .LBB133_78
.LBB133_62:                             ;   in Loop: Header=BB133_50 Depth=1
	s_or_b32 exec_lo, exec_lo, s16
	s_and_saveexec_b32 s16, s12
	s_cbranch_execnz .LBB133_79
.LBB133_63:                             ;   in Loop: Header=BB133_50 Depth=1
	s_or_b32 exec_lo, exec_lo, s16
	s_and_saveexec_b32 s16, s13
	s_cbranch_execnz .LBB133_80
.LBB133_64:                             ;   in Loop: Header=BB133_50 Depth=1
	s_or_b32 exec_lo, exec_lo, s16
	s_and_saveexec_b32 s16, s14
	s_cbranch_execnz .LBB133_81
.LBB133_65:                             ;   in Loop: Header=BB133_50 Depth=1
	s_or_b32 exec_lo, exec_lo, s16
	v_ashrrev_i32_e32 v11, 31, v10
	s_and_saveexec_b32 s16, s15
	s_cbranch_execnz .LBB133_82
.LBB133_66:                             ;   in Loop: Header=BB133_50 Depth=1
	s_or_b32 exec_lo, exec_lo, s16
	s_and_saveexec_b32 s15, vcc_lo
	s_cbranch_execz .LBB133_49
	s_branch .LBB133_83
.LBB133_67:                             ;   in Loop: Header=BB133_50 Depth=1
	v_mov_b32_e32 v4, s18
	ds_load_b32 v4, v4
	s_waitcnt lgkmcnt(0)
	v_add_nc_u32_e32 v10, v4, v10
	s_or_b32 exec_lo, exec_lo, s16
	s_and_saveexec_b32 s16, s1
	s_cbranch_execz .LBB133_52
.LBB133_68:                             ;   in Loop: Header=BB133_50 Depth=1
	v_mov_b32_e32 v4, s19
	ds_load_b32 v4, v4
	s_waitcnt lgkmcnt(0)
	v_add_nc_u32_e32 v10, v10, v4
	s_or_b32 exec_lo, exec_lo, s16
	s_and_saveexec_b32 s16, s2
	s_cbranch_execz .LBB133_53
.LBB133_69:                             ;   in Loop: Header=BB133_50 Depth=1
	v_mov_b32_e32 v4, s20
	ds_load_b32 v4, v4
	s_waitcnt lgkmcnt(0)
	v_add_nc_u32_e32 v10, v10, v4
	s_or_b32 exec_lo, exec_lo, s16
	s_and_saveexec_b32 s16, s3
	s_cbranch_execz .LBB133_54
.LBB133_70:                             ;   in Loop: Header=BB133_50 Depth=1
	v_mov_b32_e32 v4, s21
	ds_load_b32 v4, v4
	s_waitcnt lgkmcnt(0)
	v_add_nc_u32_e32 v10, v10, v4
	s_or_b32 exec_lo, exec_lo, s16
	s_and_saveexec_b32 s16, s4
	s_cbranch_execz .LBB133_55
.LBB133_71:                             ;   in Loop: Header=BB133_50 Depth=1
	v_mov_b32_e32 v4, s23
	ds_load_b32 v4, v4
	s_waitcnt lgkmcnt(0)
	v_add_nc_u32_e32 v10, v10, v4
	s_or_b32 exec_lo, exec_lo, s16
	s_and_saveexec_b32 s16, s5
	s_cbranch_execz .LBB133_56
.LBB133_72:                             ;   in Loop: Header=BB133_50 Depth=1
	v_mov_b32_e32 v4, s24
	ds_load_b32 v4, v4
	s_waitcnt lgkmcnt(0)
	v_add_nc_u32_e32 v10, v10, v4
	s_or_b32 exec_lo, exec_lo, s16
	s_and_saveexec_b32 s16, s6
	s_cbranch_execz .LBB133_57
.LBB133_73:                             ;   in Loop: Header=BB133_50 Depth=1
	v_mov_b32_e32 v4, s25
	ds_load_b32 v4, v4
	s_waitcnt lgkmcnt(0)
	v_add_nc_u32_e32 v10, v10, v4
	s_or_b32 exec_lo, exec_lo, s16
	s_and_saveexec_b32 s16, s7
	s_cbranch_execz .LBB133_58
.LBB133_74:                             ;   in Loop: Header=BB133_50 Depth=1
	v_mov_b32_e32 v4, s26
	ds_load_b32 v4, v4
	s_waitcnt lgkmcnt(0)
	v_add_nc_u32_e32 v10, v10, v4
	s_or_b32 exec_lo, exec_lo, s16
	s_and_saveexec_b32 s16, s8
	s_cbranch_execz .LBB133_59
.LBB133_75:                             ;   in Loop: Header=BB133_50 Depth=1
	v_mov_b32_e32 v4, s27
	ds_load_b32 v4, v4
	s_waitcnt lgkmcnt(0)
	v_add_nc_u32_e32 v10, v10, v4
	s_or_b32 exec_lo, exec_lo, s16
	s_and_saveexec_b32 s16, s9
	s_cbranch_execz .LBB133_60
.LBB133_76:                             ;   in Loop: Header=BB133_50 Depth=1
	v_mov_b32_e32 v4, s30
	ds_load_b32 v4, v4
	s_waitcnt lgkmcnt(0)
	v_add_nc_u32_e32 v10, v10, v4
	s_or_b32 exec_lo, exec_lo, s16
	s_and_saveexec_b32 s16, s10
	s_cbranch_execz .LBB133_61
.LBB133_77:                             ;   in Loop: Header=BB133_50 Depth=1
	v_mov_b32_e32 v4, s31
	ds_load_b32 v4, v4
	s_waitcnt lgkmcnt(0)
	v_add_nc_u32_e32 v10, v10, v4
	s_or_b32 exec_lo, exec_lo, s16
	s_and_saveexec_b32 s16, s11
	s_cbranch_execz .LBB133_62
.LBB133_78:                             ;   in Loop: Header=BB133_50 Depth=1
	v_mov_b32_e32 v4, s40
	ds_load_b32 v4, v4
	s_waitcnt lgkmcnt(0)
	v_add_nc_u32_e32 v10, v10, v4
	s_or_b32 exec_lo, exec_lo, s16
	s_and_saveexec_b32 s16, s12
	s_cbranch_execz .LBB133_63
.LBB133_79:                             ;   in Loop: Header=BB133_50 Depth=1
	v_mov_b32_e32 v4, s41
	ds_load_b32 v4, v4
	s_waitcnt lgkmcnt(0)
	v_add_nc_u32_e32 v10, v10, v4
	s_or_b32 exec_lo, exec_lo, s16
	s_and_saveexec_b32 s16, s13
	s_cbranch_execz .LBB133_64
.LBB133_80:                             ;   in Loop: Header=BB133_50 Depth=1
	v_mov_b32_e32 v4, s42
	ds_load_b32 v4, v4
	s_waitcnt lgkmcnt(0)
	v_add_nc_u32_e32 v10, v10, v4
	s_or_b32 exec_lo, exec_lo, s16
	s_and_saveexec_b32 s16, s14
	s_cbranch_execz .LBB133_65
.LBB133_81:                             ;   in Loop: Header=BB133_50 Depth=1
	v_mov_b32_e32 v4, s43
	ds_load_b32 v4, v4
	s_waitcnt lgkmcnt(0)
	v_add_nc_u32_e32 v10, v10, v4
	s_or_b32 exec_lo, exec_lo, s16
	s_delay_alu instid0(VALU_DEP_1)
	v_ashrrev_i32_e32 v11, 31, v10
	s_and_saveexec_b32 s16, s15
	s_cbranch_execz .LBB133_66
.LBB133_82:                             ;   in Loop: Header=BB133_50 Depth=1
	v_add3_u32 v4, v2, -1, v10
	s_delay_alu instid0(VALU_DEP_1) | instskip(NEXT) | instid1(VALU_DEP_1)
	v_lshl_add_u32 v4, v4, 3, 0
	v_add_nc_u32_e32 v16, 0x10000, v4
	ds_store_b64 v4, v[6:7]
	ds_store_2addr_b32 v16, v8, v9 offset1:1
	s_or_b32 exec_lo, exec_lo, s16
	s_and_saveexec_b32 s15, vcc_lo
	s_cbranch_execz .LBB133_49
.LBB133_83:                             ;   in Loop: Header=BB133_50 Depth=1
	v_mov_b32_e32 v4, s33
	ds_store_b64 v4, v[10:11]
	s_branch .LBB133_49
.LBB133_84:
	s_or_b32 exec_lo, exec_lo, s17
	s_lshl_b64 s[0:1], s[28:29], 3
	v_mov_b32_e32 v1, 0
	s_add_u32 s0, s36, s0
	s_addc_u32 s1, s37, s1
	s_mov_b32 s6, exec_lo
	s_load_b128 s[0:3], s[0:1], 0x0
	s_waitcnt lgkmcnt(0)
	s_sub_u32 s4, s2, s0
	s_subb_u32 s5, s3, s1
	s_delay_alu instid0(SALU_CYCLE_1)
	v_cmpx_gt_i64_e64 s[4:5], v[0:1]
	s_cbranch_execz .LBB133_94
; %bb.85:
	s_sub_u32 s8, s0, s22
	s_subb_u32 s9, s1, 0
	s_and_b32 s6, s4, 7
	s_sub_u32 s0, s0, s2
	s_subb_u32 s1, s1, s3
	s_mov_b32 s7, 0
	v_cmp_lt_u64_e64 s12, s[0:1], -7
	s_and_b32 s2, s4, -8
	s_cmp_lg_u64 s[6:7], 0
	s_mov_b32 s3, s5
	s_cselect_b32 s13, -1, 0
	s_mov_b32 s14, s7
	s_branch .LBB133_87
.LBB133_86:                             ;   in Loop: Header=BB133_87 Depth=1
	v_add_co_u32 v0, vcc_lo, 0x400, v0
	v_add_co_ci_u32_e32 v1, vcc_lo, 0, v1, vcc_lo
	s_waitcnt lgkmcnt(1)
	v_lshlrev_b64 v[4:5], 3, v[6:7]
	s_delay_alu instid0(VALU_DEP_2) | instskip(NEXT) | instid1(VALU_DEP_2)
	v_cmp_le_i64_e32 vcc_lo, s[4:5], v[0:1]
	v_add_co_u32 v4, s0, s34, v4
	s_delay_alu instid0(VALU_DEP_1)
	v_add_co_ci_u32_e64 v5, s0, s35, v5, s0
	s_or_b32 s14, vcc_lo, s14
	s_waitcnt lgkmcnt(0)
	global_store_b64 v[4:5], v[2:3], off
	s_and_not1_b32 exec_lo, exec_lo, s14
	s_cbranch_execz .LBB133_94
.LBB133_87:                             ; =>This Loop Header: Depth=1
                                        ;     Child Loop BB133_89 Depth 2
                                        ;     Child Loop BB133_93 Depth 2
	v_lshl_add_u32 v2, v0, 3, 0
	s_and_not1_b32 vcc_lo, exec_lo, s12
	s_mov_b64 s[0:1], 0
	v_dual_mov_b32 v6, s8 :: v_dual_mov_b32 v7, s9
	s_delay_alu instid0(VALU_DEP_2)
	v_add_nc_u32_e32 v3, 0x10000, v2
	ds_load_b64 v[4:5], v2
	ds_load_2addr_b32 v[2:3], v3 offset1:1
	s_cbranch_vccnz .LBB133_91
; %bb.88:                               ;   in Loop: Header=BB133_87 Depth=1
	v_dual_mov_b32 v6, s8 :: v_dual_mov_b32 v7, s9
	s_mov_b64 s[10:11], 0
	s_mov_b32 s1, 0
.LBB133_89:                             ;   Parent Loop BB133_87 Depth=1
                                        ; =>  This Inner Loop Header: Depth=2
	s_delay_alu instid0(SALU_CYCLE_1)
	v_mov_b32_e32 v20, s1
	s_add_u32 s10, s10, 8
	s_addc_u32 s11, s11, 0
	s_add_i32 s1, s1, 64
	s_cmp_eq_u64 s[2:3], s[10:11]
	ds_load_2addr_b64 v[8:11], v20 offset1:1
	ds_load_2addr_b64 v[12:15], v20 offset0:2 offset1:3
	ds_load_2addr_b64 v[16:19], v20 offset0:4 offset1:5
	ds_load_2addr_b64 v[20:23], v20 offset0:6 offset1:7
	s_waitcnt lgkmcnt(3)
	v_cmp_gt_i64_e32 vcc_lo, v[4:5], v[8:9]
	v_cndmask_b32_e64 v8, 0, 1, vcc_lo
	v_cmp_gt_i64_e32 vcc_lo, v[4:5], v[10:11]
	v_cndmask_b32_e64 v9, 0, 1, vcc_lo
	s_waitcnt lgkmcnt(2)
	v_cmp_gt_i64_e32 vcc_lo, v[4:5], v[12:13]
	v_cndmask_b32_e64 v10, 0, 1, vcc_lo
	v_cmp_gt_i64_e32 vcc_lo, v[4:5], v[14:15]
	v_cndmask_b32_e64 v11, 0, 1, vcc_lo
	s_waitcnt lgkmcnt(1)
	v_cmp_gt_i64_e32 vcc_lo, v[4:5], v[16:17]
	v_cndmask_b32_e64 v12, 0, 1, vcc_lo
	v_add_co_u32 v6, vcc_lo, v6, v8
	v_add_co_ci_u32_e32 v7, vcc_lo, 0, v7, vcc_lo
	v_cmp_gt_i64_e32 vcc_lo, v[4:5], v[18:19]
	s_delay_alu instid0(VALU_DEP_3) | instskip(NEXT) | instid1(VALU_DEP_1)
	v_add_co_u32 v6, s0, v6, v9
	v_add_co_ci_u32_e64 v7, s0, 0, v7, s0
	v_cndmask_b32_e64 v8, 0, 1, vcc_lo
	s_delay_alu instid0(VALU_DEP_3) | instskip(NEXT) | instid1(VALU_DEP_3)
	v_add_co_u32 v6, vcc_lo, v6, v10
	v_add_co_ci_u32_e32 v7, vcc_lo, 0, v7, vcc_lo
	s_waitcnt lgkmcnt(0)
	v_cmp_gt_i64_e32 vcc_lo, v[4:5], v[20:21]
	s_delay_alu instid0(VALU_DEP_3) | instskip(NEXT) | instid1(VALU_DEP_1)
	v_add_co_u32 v6, s0, v6, v11
	v_add_co_ci_u32_e64 v7, s0, 0, v7, s0
	v_cndmask_b32_e64 v9, 0, 1, vcc_lo
	s_delay_alu instid0(VALU_DEP_3) | instskip(NEXT) | instid1(VALU_DEP_3)
	v_add_co_u32 v6, vcc_lo, v6, v12
	v_add_co_ci_u32_e32 v7, vcc_lo, 0, v7, vcc_lo
	v_cmp_gt_i64_e32 vcc_lo, v[4:5], v[22:23]
	s_delay_alu instid0(VALU_DEP_3) | instskip(NEXT) | instid1(VALU_DEP_1)
	v_add_co_u32 v6, s0, v6, v8
	v_add_co_ci_u32_e64 v7, s0, 0, v7, s0
	v_cndmask_b32_e64 v8, 0, 1, vcc_lo
	s_delay_alu instid0(VALU_DEP_3) | instskip(NEXT) | instid1(VALU_DEP_3)
	v_add_co_u32 v6, vcc_lo, v6, v9
	v_add_co_ci_u32_e32 v7, vcc_lo, 0, v7, vcc_lo
	s_delay_alu instid0(VALU_DEP_2) | instskip(NEXT) | instid1(VALU_DEP_2)
	v_add_co_u32 v6, vcc_lo, v6, v8
	v_add_co_ci_u32_e32 v7, vcc_lo, 0, v7, vcc_lo
	s_cbranch_scc0 .LBB133_89
; %bb.90:                               ;   in Loop: Header=BB133_87 Depth=1
	s_mov_b64 s[0:1], s[2:3]
.LBB133_91:                             ;   in Loop: Header=BB133_87 Depth=1
	s_and_not1_b32 vcc_lo, exec_lo, s13
	s_cbranch_vccnz .LBB133_86
; %bb.92:                               ;   in Loop: Header=BB133_87 Depth=1
	s_lshl_b32 s0, s0, 3
	s_delay_alu instid0(SALU_CYCLE_1)
	s_add_i32 s10, s0, 0
	s_mov_b64 s[0:1], s[6:7]
.LBB133_93:                             ;   Parent Loop BB133_87 Depth=1
                                        ; =>  This Inner Loop Header: Depth=2
	v_mov_b32_e32 v8, s10
	s_add_i32 s10, s10, 8
	s_add_u32 s0, s0, -1
	s_addc_u32 s1, s1, -1
	s_delay_alu instid0(SALU_CYCLE_1) | instskip(SKIP_4) | instid1(VALU_DEP_1)
	s_cmp_lg_u64 s[0:1], 0
	ds_load_b64 v[8:9], v8
	s_waitcnt lgkmcnt(0)
	v_cmp_gt_i64_e32 vcc_lo, v[4:5], v[8:9]
	v_cndmask_b32_e64 v8, 0, 1, vcc_lo
	v_add_co_u32 v6, vcc_lo, v6, v8
	v_add_co_ci_u32_e32 v7, vcc_lo, 0, v7, vcc_lo
	s_cbranch_scc1 .LBB133_93
	s_branch .LBB133_86
.LBB133_94:
	s_nop 0
	s_sendmsg sendmsg(MSG_DEALLOC_VGPRS)
	s_endpgm
	.section	.rodata,"a",@progbits
	.p2align	6, 0x0
	.amdhsa_kernel _ZN9rocsparseL41csrgemm_numeric_fill_block_per_row_kernelILj1024ELj64ELj8192ELj137ELj64Ell21rocsparse_complex_numIfEEEvT5_PKS3_S5_NS_24const_host_device_scalarIT6_EEPKT4_S5_PKS7_SB_S5_SD_S8_SB_S5_SD_SB_S5_PS7_21rocsparse_index_base_SF_SF_SF_bbb
		.amdhsa_group_segment_fixed_size 0
		.amdhsa_private_segment_fixed_size 0
		.amdhsa_kernarg_size 156
		.amdhsa_user_sgpr_count 15
		.amdhsa_user_sgpr_dispatch_ptr 0
		.amdhsa_user_sgpr_queue_ptr 0
		.amdhsa_user_sgpr_kernarg_segment_ptr 1
		.amdhsa_user_sgpr_dispatch_id 0
		.amdhsa_user_sgpr_private_segment_size 0
		.amdhsa_wavefront_size32 1
		.amdhsa_uses_dynamic_stack 0
		.amdhsa_enable_private_segment 0
		.amdhsa_system_sgpr_workgroup_id_x 1
		.amdhsa_system_sgpr_workgroup_id_y 0
		.amdhsa_system_sgpr_workgroup_id_z 0
		.amdhsa_system_sgpr_workgroup_info 0
		.amdhsa_system_vgpr_workitem_id 0
		.amdhsa_next_free_vgpr 27
		.amdhsa_next_free_sgpr 48
		.amdhsa_reserve_vcc 1
		.amdhsa_float_round_mode_32 0
		.amdhsa_float_round_mode_16_64 0
		.amdhsa_float_denorm_mode_32 3
		.amdhsa_float_denorm_mode_16_64 3
		.amdhsa_dx10_clamp 1
		.amdhsa_ieee_mode 1
		.amdhsa_fp16_overflow 0
		.amdhsa_workgroup_processor_mode 1
		.amdhsa_memory_ordered 1
		.amdhsa_forward_progress 0
		.amdhsa_shared_vgpr_count 0
		.amdhsa_exception_fp_ieee_invalid_op 0
		.amdhsa_exception_fp_denorm_src 0
		.amdhsa_exception_fp_ieee_div_zero 0
		.amdhsa_exception_fp_ieee_overflow 0
		.amdhsa_exception_fp_ieee_underflow 0
		.amdhsa_exception_fp_ieee_inexact 0
		.amdhsa_exception_int_div_zero 0
	.end_amdhsa_kernel
	.section	.text._ZN9rocsparseL41csrgemm_numeric_fill_block_per_row_kernelILj1024ELj64ELj8192ELj137ELj64Ell21rocsparse_complex_numIfEEEvT5_PKS3_S5_NS_24const_host_device_scalarIT6_EEPKT4_S5_PKS7_SB_S5_SD_S8_SB_S5_SD_SB_S5_PS7_21rocsparse_index_base_SF_SF_SF_bbb,"axG",@progbits,_ZN9rocsparseL41csrgemm_numeric_fill_block_per_row_kernelILj1024ELj64ELj8192ELj137ELj64Ell21rocsparse_complex_numIfEEEvT5_PKS3_S5_NS_24const_host_device_scalarIT6_EEPKT4_S5_PKS7_SB_S5_SD_S8_SB_S5_SD_SB_S5_PS7_21rocsparse_index_base_SF_SF_SF_bbb,comdat
.Lfunc_end133:
	.size	_ZN9rocsparseL41csrgemm_numeric_fill_block_per_row_kernelILj1024ELj64ELj8192ELj137ELj64Ell21rocsparse_complex_numIfEEEvT5_PKS3_S5_NS_24const_host_device_scalarIT6_EEPKT4_S5_PKS7_SB_S5_SD_S8_SB_S5_SD_SB_S5_PS7_21rocsparse_index_base_SF_SF_SF_bbb, .Lfunc_end133-_ZN9rocsparseL41csrgemm_numeric_fill_block_per_row_kernelILj1024ELj64ELj8192ELj137ELj64Ell21rocsparse_complex_numIfEEEvT5_PKS3_S5_NS_24const_host_device_scalarIT6_EEPKT4_S5_PKS7_SB_S5_SD_S8_SB_S5_SD_SB_S5_PS7_21rocsparse_index_base_SF_SF_SF_bbb
                                        ; -- End function
	.section	.AMDGPU.csdata,"",@progbits
; Kernel info:
; codeLenInByte = 4004
; NumSgprs: 50
; NumVgprs: 27
; ScratchSize: 0
; MemoryBound: 0
; FloatMode: 240
; IeeeMode: 1
; LDSByteSize: 0 bytes/workgroup (compile time only)
; SGPRBlocks: 6
; VGPRBlocks: 3
; NumSGPRsForWavesPerEU: 50
; NumVGPRsForWavesPerEU: 27
; Occupancy: 16
; WaveLimiterHint : 1
; COMPUTE_PGM_RSRC2:SCRATCH_EN: 0
; COMPUTE_PGM_RSRC2:USER_SGPR: 15
; COMPUTE_PGM_RSRC2:TRAP_HANDLER: 0
; COMPUTE_PGM_RSRC2:TGID_X_EN: 1
; COMPUTE_PGM_RSRC2:TGID_Y_EN: 0
; COMPUTE_PGM_RSRC2:TGID_Z_EN: 0
; COMPUTE_PGM_RSRC2:TIDIG_COMP_CNT: 0
	.section	.text._ZN9rocsparseL41csrgemm_numeric_fill_block_per_row_kernelILj1024ELj64ELj16384ELj137ELj32Ell21rocsparse_complex_numIfEEEvT5_PKS3_S5_NS_24const_host_device_scalarIT6_EEPKT4_S5_PKS7_SB_S5_SD_S8_SB_S5_SD_SB_S5_PS7_21rocsparse_index_base_SF_SF_SF_bbb,"axG",@progbits,_ZN9rocsparseL41csrgemm_numeric_fill_block_per_row_kernelILj1024ELj64ELj16384ELj137ELj32Ell21rocsparse_complex_numIfEEEvT5_PKS3_S5_NS_24const_host_device_scalarIT6_EEPKT4_S5_PKS7_SB_S5_SD_S8_SB_S5_SD_SB_S5_PS7_21rocsparse_index_base_SF_SF_SF_bbb,comdat
	.globl	_ZN9rocsparseL41csrgemm_numeric_fill_block_per_row_kernelILj1024ELj64ELj16384ELj137ELj32Ell21rocsparse_complex_numIfEEEvT5_PKS3_S5_NS_24const_host_device_scalarIT6_EEPKT4_S5_PKS7_SB_S5_SD_S8_SB_S5_SD_SB_S5_PS7_21rocsparse_index_base_SF_SF_SF_bbb ; -- Begin function _ZN9rocsparseL41csrgemm_numeric_fill_block_per_row_kernelILj1024ELj64ELj16384ELj137ELj32Ell21rocsparse_complex_numIfEEEvT5_PKS3_S5_NS_24const_host_device_scalarIT6_EEPKT4_S5_PKS7_SB_S5_SD_S8_SB_S5_SD_SB_S5_PS7_21rocsparse_index_base_SF_SF_SF_bbb
	.p2align	8
	.type	_ZN9rocsparseL41csrgemm_numeric_fill_block_per_row_kernelILj1024ELj64ELj16384ELj137ELj32Ell21rocsparse_complex_numIfEEEvT5_PKS3_S5_NS_24const_host_device_scalarIT6_EEPKT4_S5_PKS7_SB_S5_SD_S8_SB_S5_SD_SB_S5_PS7_21rocsparse_index_base_SF_SF_SF_bbb,@function
_ZN9rocsparseL41csrgemm_numeric_fill_block_per_row_kernelILj1024ELj64ELj16384ELj137ELj32Ell21rocsparse_complex_numIfEEEvT5_PKS3_S5_NS_24const_host_device_scalarIT6_EEPKT4_S5_PKS7_SB_S5_SD_S8_SB_S5_SD_SB_S5_PS7_21rocsparse_index_base_SF_SF_SF_bbb: ; @_ZN9rocsparseL41csrgemm_numeric_fill_block_per_row_kernelILj1024ELj64ELj16384ELj137ELj32Ell21rocsparse_complex_numIfEEEvT5_PKS3_S5_NS_24const_host_device_scalarIT6_EEPKT4_S5_PKS7_SB_S5_SD_S8_SB_S5_SD_SB_S5_PS7_21rocsparse_index_base_SF_SF_SF_bbb
; %bb.0:
	s_mov_b32 s28, s15
	s_clause 0x7
	s_load_b32 s29, s[0:1], 0x98
	s_load_b64 s[40:41], s[0:1], 0x70
	s_load_b128 s[20:23], s[0:1], 0x60
	s_load_b256 s[4:11], s[0:1], 0x40
	s_load_b128 s[24:27], s[0:1], 0x8
	s_load_b256 s[12:19], s[0:1], 0x20
	s_load_b64 s[34:35], s[0:1], 0x80
	s_load_b128 s[36:39], s[0:1], 0x88
	s_mov_b32 s3, 0
	s_mov_b32 s31, 0
	s_waitcnt lgkmcnt(0)
	s_bitcmp1_b32 s29, 0
	s_cselect_b32 s46, -1, 0
	s_bitcmp1_b32 s29, 16
	s_cselect_b32 s2, -1, 0
	s_delay_alu instid0(SALU_CYCLE_1) | instskip(SKIP_2) | instid1(VALU_DEP_1)
	s_xor_b32 s30, s2, -1
	s_bitcmp0_b32 s29, 0
	v_cndmask_b32_e64 v1, 0, 1, s30
	v_cmp_ne_u32_e32 vcc_lo, 1, v1
	s_cbranch_scc1 .LBB134_5
; %bb.1:
	s_load_b64 s[2:3], s[0:1], 0x18
	s_and_b32 vcc_lo, exec_lo, vcc_lo
	s_waitcnt lgkmcnt(0)
	s_mov_b32 s31, s2
	s_cbranch_vccnz .LBB134_3
; %bb.2:
	s_load_b32 s31, s[2:3], 0x0
.LBB134_3:
	s_and_not1_b32 vcc_lo, exec_lo, s30
	s_cbranch_vccnz .LBB134_5
; %bb.4:
	s_load_b32 s3, s[2:3], 0x4
.LBB134_5:
	s_bitcmp1_b32 s29, 8
	s_mov_b32 s30, 0
	s_cselect_b32 s33, -1, 0
	s_bfe_u32 s2, s29, 0x10008
	s_delay_alu instid0(SALU_CYCLE_1)
	s_cmp_eq_u32 s2, 0
	s_mov_b32 s2, 0
	s_cbranch_scc1 .LBB134_11
; %bb.6:
	v_cmp_ne_u32_e32 vcc_lo, 1, v1
	s_mov_b32 s2, s8
	s_cbranch_vccnz .LBB134_8
; %bb.7:
	s_load_b32 s2, s[8:9], 0x0
.LBB134_8:
	v_cmp_ne_u32_e32 vcc_lo, 1, v1
	s_cbranch_vccnz .LBB134_10
; %bb.9:
	s_load_b32 s9, s[8:9], 0x4
.LBB134_10:
	s_waitcnt lgkmcnt(0)
	s_mov_b32 s30, s9
.LBB134_11:
	s_load_b64 s[42:43], s[0:1], 0x0
	v_lshl_add_u32 v12, v0, 3, 0
	v_or_b32_e32 v13, 0xfffffc00, v0
	v_mov_b32_e32 v3, 0
	s_mov_b32 s0, 0
	s_delay_alu instid0(VALU_DEP_2)
	v_dual_mov_b32 v4, v12 :: v_dual_mov_b32 v5, v13
	s_waitcnt lgkmcnt(0)
	v_dual_mov_b32 v1, s42 :: v_dual_mov_b32 v2, s43
.LBB134_12:                             ; =>This Inner Loop Header: Depth=1
	s_delay_alu instid0(VALU_DEP_2) | instskip(NEXT) | instid1(VALU_DEP_3)
	v_add_nc_u32_e32 v5, 0x400, v5
	v_add_nc_u32_e32 v6, 0x20000, v4
	ds_store_b64 v4, v[1:2]
	v_add_nc_u32_e32 v4, 0x2000, v4
	v_cmp_lt_u32_e32 vcc_lo, 0x3bff, v5
	ds_store_2addr_b32 v6, v3, v3 offset1:1
	s_or_b32 s0, vcc_lo, s0
	s_delay_alu instid0(SALU_CYCLE_1)
	s_and_not1_b32 exec_lo, exec_lo, s0
	s_cbranch_execnz .LBB134_12
; %bb.13:
	s_or_b32 exec_lo, exec_lo, s0
	s_waitcnt lgkmcnt(0)
	s_barrier
	buffer_gl0_inv
	s_load_b64 s[0:1], s[24:25], 0x0
	s_mov_b32 s29, 0
	s_waitcnt lgkmcnt(0)
	s_lshl_b64 s[0:1], s[0:1], 3
	s_delay_alu instid0(SALU_CYCLE_1) | instskip(SKIP_2) | instid1(SALU_CYCLE_1)
	s_add_u32 s8, s26, s0
	s_addc_u32 s9, s27, s1
	s_lshl_b64 s[0:1], s[28:29], 3
	s_add_u32 s0, s8, s0
	s_addc_u32 s1, s9, s1
	s_and_b32 vcc_lo, exec_lo, s46
	s_load_b64 s[44:45], s[0:1], 0x0
	s_cbranch_vccz .LBB134_33
; %bb.14:
	s_waitcnt lgkmcnt(0)
	s_lshl_b64 s[0:1], s[44:45], 3
	v_lshrrev_b32_e32 v1, 6, v0
	s_add_u32 s0, s12, s0
	s_addc_u32 s1, s13, s1
	s_mov_b32 s8, exec_lo
	s_load_b128 s[24:27], s[0:1], 0x0
	v_sub_co_u32 v1, s0, v1, s36
	s_delay_alu instid0(VALU_DEP_1) | instskip(SKIP_1) | instid1(VALU_DEP_2)
	v_sub_co_ci_u32_e64 v2, null, 0, 0, s0
	s_waitcnt lgkmcnt(0)
	v_add_co_u32 v1, vcc_lo, s24, v1
	s_delay_alu instid0(VALU_DEP_2)
	v_add_co_ci_u32_e32 v2, vcc_lo, s25, v2, vcc_lo
	s_sub_u32 s0, s26, s36
	s_subb_u32 s1, s27, 0
	s_delay_alu instid0(VALU_DEP_1) | instid1(SALU_CYCLE_1)
	v_cmpx_gt_i64_e64 s[0:1], v[1:2]
	s_cbranch_execz .LBB134_32
; %bb.15:
	v_and_b32_e32 v3, 63, v0
	s_mov_b32 s12, s37
	s_delay_alu instid0(VALU_DEP_1) | instskip(NEXT) | instid1(VALU_DEP_1)
	v_sub_co_u32 v11, s9, v3, s37
	v_sub_co_ci_u32_e64 v14, null, 0, 0, s9
	s_mov_b32 s9, 0
	s_branch .LBB134_17
.LBB134_16:                             ;   in Loop: Header=BB134_17 Depth=1
	s_or_b32 exec_lo, exec_lo, s13
	v_add_co_u32 v1, vcc_lo, v1, 16
	v_add_co_ci_u32_e32 v2, vcc_lo, 0, v2, vcc_lo
	s_delay_alu instid0(VALU_DEP_1) | instskip(SKIP_1) | instid1(SALU_CYCLE_1)
	v_cmp_le_i64_e32 vcc_lo, s[0:1], v[1:2]
	s_or_b32 s9, vcc_lo, s9
	s_and_not1_b32 exec_lo, exec_lo, s9
	s_cbranch_execz .LBB134_32
.LBB134_17:                             ; =>This Loop Header: Depth=1
                                        ;     Child Loop BB134_20 Depth 2
                                        ;       Child Loop BB134_22 Depth 3
	v_lshlrev_b64 v[7:8], 3, v[1:2]
	s_mov_b32 s13, exec_lo
	s_delay_alu instid0(VALU_DEP_1) | instskip(NEXT) | instid1(VALU_DEP_2)
	v_add_co_u32 v3, vcc_lo, s14, v7
	v_add_co_ci_u32_e32 v4, vcc_lo, s15, v8, vcc_lo
	global_load_b64 v[3:4], v[3:4], off
	s_waitcnt vmcnt(0)
	v_sub_co_u32 v3, vcc_lo, v3, s36
	v_subrev_co_ci_u32_e32 v4, vcc_lo, 0, v4, vcc_lo
	s_delay_alu instid0(VALU_DEP_1) | instskip(NEXT) | instid1(VALU_DEP_1)
	v_lshlrev_b64 v[3:4], 3, v[3:4]
	v_add_co_u32 v3, vcc_lo, s18, v3
	s_delay_alu instid0(VALU_DEP_2)
	v_add_co_ci_u32_e32 v4, vcc_lo, s19, v4, vcc_lo
	global_load_b128 v[15:18], v[3:4], off
	s_waitcnt vmcnt(0)
	v_sub_co_u32 v3, vcc_lo, v17, s12
	v_subrev_co_ci_u32_e32 v4, vcc_lo, 0, v18, vcc_lo
	v_add_co_u32 v5, vcc_lo, v15, v11
	v_add_co_ci_u32_e32 v6, vcc_lo, v16, v14, vcc_lo
	s_delay_alu instid0(VALU_DEP_1)
	v_cmpx_lt_i64_e64 v[5:6], v[3:4]
	s_cbranch_execz .LBB134_16
; %bb.18:                               ;   in Loop: Header=BB134_17 Depth=1
	v_add_co_u32 v7, vcc_lo, s16, v7
	v_add_co_ci_u32_e32 v8, vcc_lo, s17, v8, vcc_lo
	s_mov_b32 s24, 0
	global_load_b64 v[7:8], v[7:8], off
	s_waitcnt vmcnt(0)
	v_mul_f32_e64 v15, v8, -s3
	s_delay_alu instid0(VALU_DEP_1) | instskip(NEXT) | instid1(VALU_DEP_1)
	v_dual_mul_f32 v16, s31, v8 :: v_dual_fmac_f32 v15, s31, v7
	v_fmac_f32_e32 v16, s3, v7
	s_branch .LBB134_20
.LBB134_19:                             ;   in Loop: Header=BB134_20 Depth=2
	s_or_b32 exec_lo, exec_lo, s25
	v_add_co_u32 v5, vcc_lo, v5, 64
	v_add_co_ci_u32_e32 v6, vcc_lo, 0, v6, vcc_lo
	s_delay_alu instid0(VALU_DEP_1) | instskip(SKIP_1) | instid1(SALU_CYCLE_1)
	v_cmp_ge_i64_e32 vcc_lo, v[5:6], v[3:4]
	s_or_b32 s24, vcc_lo, s24
	s_and_not1_b32 exec_lo, exec_lo, s24
	s_cbranch_execz .LBB134_16
.LBB134_20:                             ;   Parent Loop BB134_17 Depth=1
                                        ; =>  This Loop Header: Depth=2
                                        ;       Child Loop BB134_22 Depth 3
	v_lshlrev_b64 v[7:8], 3, v[5:6]
	s_mov_b32 s25, 0
	s_delay_alu instid0(VALU_DEP_1) | instskip(NEXT) | instid1(VALU_DEP_2)
	v_add_co_u32 v9, vcc_lo, s4, v7
	v_add_co_ci_u32_e32 v10, vcc_lo, s5, v8, vcc_lo
	v_add_co_u32 v7, vcc_lo, s6, v7
	v_add_co_ci_u32_e32 v8, vcc_lo, s7, v8, vcc_lo
	global_load_b64 v[9:10], v[9:10], off
	global_load_b64 v[19:20], v[7:8], off
	s_waitcnt vmcnt(1)
	v_sub_co_u32 v7, vcc_lo, v9, s12
	v_subrev_co_ci_u32_e32 v8, vcc_lo, 0, v10, vcc_lo
	s_waitcnt vmcnt(0)
	v_mul_f32_e64 v17, v20, -v16
	s_delay_alu instid0(VALU_DEP_3) | instskip(SKIP_1) | instid1(VALU_DEP_3)
	v_mul_lo_u32 v9, 0x89, v7
	v_mul_f32_e32 v18, v15, v20
	v_fmac_f32_e32 v17, v15, v19
	s_delay_alu instid0(VALU_DEP_2)
	v_dual_fmac_f32 v18, v16, v19 :: v_dual_and_b32 v19, 0x3fff, v9
	s_branch .LBB134_22
.LBB134_21:                             ;   in Loop: Header=BB134_22 Depth=3
	s_or_b32 exec_lo, exec_lo, s26
	s_xor_b32 s26, s27, -1
	s_delay_alu instid0(SALU_CYCLE_1) | instskip(NEXT) | instid1(SALU_CYCLE_1)
	s_and_b32 s26, exec_lo, s26
	s_or_b32 s25, s26, s25
	s_delay_alu instid0(SALU_CYCLE_1)
	s_and_not1_b32 exec_lo, exec_lo, s25
	s_cbranch_execz .LBB134_19
.LBB134_22:                             ;   Parent Loop BB134_17 Depth=1
                                        ;     Parent Loop BB134_20 Depth=2
                                        ; =>    This Inner Loop Header: Depth=3
	s_delay_alu instid0(VALU_DEP_1)
	v_lshl_add_u32 v20, v19, 3, 0
	s_mov_b32 s26, exec_lo
                                        ; implicit-def: $sgpr27
	ds_load_b64 v[9:10], v20
	s_waitcnt lgkmcnt(0)
	v_cmpx_ne_u64_e64 v[9:10], v[7:8]
	s_xor_b32 s26, exec_lo, s26
	s_cbranch_execz .LBB134_30
; %bb.23:                               ;   in Loop: Header=BB134_22 Depth=3
	s_mov_b32 s28, exec_lo
                                        ; implicit-def: $sgpr27
	v_cmpx_ne_u64_e64 s[42:43], v[9:10]
	s_xor_b32 s28, exec_lo, s28
; %bb.24:                               ;   in Loop: Header=BB134_22 Depth=3
	v_add_nc_u32_e32 v9, 1, v19
	s_mov_b32 s27, -1
                                        ; implicit-def: $vgpr20
	s_delay_alu instid0(VALU_DEP_1)
	v_and_b32_e32 v19, 0x3fff, v9
; %bb.25:                               ;   in Loop: Header=BB134_22 Depth=3
	s_and_not1_saveexec_b32 s28, s28
	s_cbranch_execz .LBB134_29
; %bb.26:                               ;   in Loop: Header=BB134_22 Depth=3
	v_dual_mov_b32 v9, s42 :: v_dual_mov_b32 v10, s43
	s_mov_b32 s37, -1
	s_mov_b32 s29, exec_lo
	ds_cmpstore_rtn_b64 v[9:10], v20, v[7:8], v[9:10]
	s_waitcnt lgkmcnt(0)
	v_cmpx_eq_u64_e64 s[42:43], v[9:10]
	s_cbranch_execz .LBB134_28
; %bb.27:                               ;   in Loop: Header=BB134_22 Depth=3
	v_lshlrev_b32_e32 v9, 3, v19
	s_xor_b32 s37, exec_lo, -1
	s_delay_alu instid0(VALU_DEP_1)
	v_add3_u32 v9, 0, v9, 0x20000
	ds_add_f32 v9, v17
	ds_add_f32 v9, v18 offset:4
.LBB134_28:                             ;   in Loop: Header=BB134_22 Depth=3
	s_or_b32 exec_lo, exec_lo, s29
	s_delay_alu instid0(SALU_CYCLE_1) | instskip(SKIP_1) | instid1(SALU_CYCLE_1)
	s_and_not1_b32 s27, s27, exec_lo
	s_and_b32 s29, s37, exec_lo
	s_or_b32 s27, s27, s29
.LBB134_29:                             ;   in Loop: Header=BB134_22 Depth=3
	s_or_b32 exec_lo, exec_lo, s28
	s_delay_alu instid0(SALU_CYCLE_1)
	s_and_b32 s27, s27, exec_lo
.LBB134_30:                             ;   in Loop: Header=BB134_22 Depth=3
	s_and_not1_saveexec_b32 s26, s26
	s_cbranch_execz .LBB134_21
; %bb.31:                               ;   in Loop: Header=BB134_22 Depth=3
	v_lshlrev_b32_e32 v9, 3, v19
	s_and_not1_b32 s27, s27, exec_lo
	s_delay_alu instid0(VALU_DEP_1)
	v_add3_u32 v9, 0, v9, 0x20000
	ds_add_f32 v9, v17
	ds_add_f32 v9, v18 offset:4
	s_branch .LBB134_21
.LBB134_32:
	s_or_b32 exec_lo, exec_lo, s8
.LBB134_33:
	s_delay_alu instid0(SALU_CYCLE_1)
	s_and_not1_b32 vcc_lo, exec_lo, s33
	s_cbranch_vccnz .LBB134_50
; %bb.34:
	s_waitcnt lgkmcnt(0)
	s_lshl_b64 s[0:1], s[44:45], 3
	s_mov_b32 s3, 0
	s_add_u32 s0, s10, s0
	s_addc_u32 s1, s11, s1
	s_load_b128 s[4:7], s[0:1], 0x0
	v_sub_co_u32 v1, s0, v0, s39
	s_delay_alu instid0(VALU_DEP_1) | instskip(SKIP_1) | instid1(VALU_DEP_2)
	v_sub_co_ci_u32_e64 v2, null, 0, 0, s0
	s_waitcnt lgkmcnt(0)
	v_add_co_u32 v1, vcc_lo, s4, v1
	s_delay_alu instid0(VALU_DEP_2) | instskip(SKIP_3) | instid1(VALU_DEP_1)
	v_add_co_ci_u32_e32 v2, vcc_lo, s5, v2, vcc_lo
	s_sub_u32 s0, s6, s39
	s_subb_u32 s1, s7, 0
	s_mov_b32 s4, exec_lo
	v_cmpx_gt_i64_e64 s[0:1], v[1:2]
	s_cbranch_execz .LBB134_49
; %bb.35:
	s_mov_b32 s5, s39
	s_branch .LBB134_37
.LBB134_36:                             ;   in Loop: Header=BB134_37 Depth=1
	s_or_b32 exec_lo, exec_lo, s6
	v_add_co_u32 v1, vcc_lo, 0x400, v1
	v_add_co_ci_u32_e32 v2, vcc_lo, 0, v2, vcc_lo
	s_delay_alu instid0(VALU_DEP_1) | instskip(SKIP_1) | instid1(SALU_CYCLE_1)
	v_cmp_le_i64_e32 vcc_lo, s[0:1], v[1:2]
	s_or_b32 s3, vcc_lo, s3
	s_and_not1_b32 exec_lo, exec_lo, s3
	s_cbranch_execz .LBB134_49
.LBB134_37:                             ; =>This Loop Header: Depth=1
                                        ;     Child Loop BB134_39 Depth 2
	v_lshlrev_b64 v[3:4], 3, v[1:2]
	s_mov_b32 s6, 0
	s_delay_alu instid0(VALU_DEP_1) | instskip(NEXT) | instid1(VALU_DEP_2)
	v_add_co_u32 v5, vcc_lo, s20, v3
	v_add_co_ci_u32_e32 v6, vcc_lo, s21, v4, vcc_lo
	v_add_co_u32 v3, vcc_lo, s22, v3
	v_add_co_ci_u32_e32 v4, vcc_lo, s23, v4, vcc_lo
	global_load_b64 v[5:6], v[5:6], off
	global_load_b64 v[9:10], v[3:4], off
	s_waitcnt vmcnt(1)
	v_sub_co_u32 v3, vcc_lo, v5, s5
	v_subrev_co_ci_u32_e32 v4, vcc_lo, 0, v6, vcc_lo
	s_waitcnt vmcnt(0)
	v_mul_f32_e64 v7, v10, -s30
	s_delay_alu instid0(VALU_DEP_3) | instskip(NEXT) | instid1(VALU_DEP_2)
	v_mul_lo_u32 v5, 0x89, v3
	v_dual_mul_f32 v8, s2, v10 :: v_dual_fmac_f32 v7, s2, v9
	s_delay_alu instid0(VALU_DEP_1) | instskip(NEXT) | instid1(VALU_DEP_3)
	v_fmac_f32_e32 v8, s30, v9
	v_and_b32_e32 v9, 0x3fff, v5
	s_branch .LBB134_39
.LBB134_38:                             ;   in Loop: Header=BB134_39 Depth=2
	s_or_b32 exec_lo, exec_lo, s7
	s_xor_b32 s7, s8, -1
	s_delay_alu instid0(SALU_CYCLE_1) | instskip(NEXT) | instid1(SALU_CYCLE_1)
	s_and_b32 s7, exec_lo, s7
	s_or_b32 s6, s7, s6
	s_delay_alu instid0(SALU_CYCLE_1)
	s_and_not1_b32 exec_lo, exec_lo, s6
	s_cbranch_execz .LBB134_36
.LBB134_39:                             ;   Parent Loop BB134_37 Depth=1
                                        ; =>  This Inner Loop Header: Depth=2
	s_delay_alu instid0(VALU_DEP_1)
	v_lshl_add_u32 v10, v9, 3, 0
	s_mov_b32 s7, exec_lo
                                        ; implicit-def: $sgpr8
	ds_load_b64 v[5:6], v10
	s_waitcnt lgkmcnt(0)
	v_cmpx_ne_u64_e64 v[5:6], v[3:4]
	s_xor_b32 s7, exec_lo, s7
	s_cbranch_execz .LBB134_47
; %bb.40:                               ;   in Loop: Header=BB134_39 Depth=2
	s_mov_b32 s9, exec_lo
                                        ; implicit-def: $sgpr8
	v_cmpx_ne_u64_e64 s[42:43], v[5:6]
	s_xor_b32 s9, exec_lo, s9
; %bb.41:                               ;   in Loop: Header=BB134_39 Depth=2
	v_add_nc_u32_e32 v5, 1, v9
	s_mov_b32 s8, -1
                                        ; implicit-def: $vgpr10
	s_delay_alu instid0(VALU_DEP_1)
	v_and_b32_e32 v9, 0x3fff, v5
; %bb.42:                               ;   in Loop: Header=BB134_39 Depth=2
	s_and_not1_saveexec_b32 s9, s9
	s_cbranch_execz .LBB134_46
; %bb.43:                               ;   in Loop: Header=BB134_39 Depth=2
	v_dual_mov_b32 v5, s42 :: v_dual_mov_b32 v6, s43
	s_mov_b32 s11, -1
	s_mov_b32 s10, exec_lo
	ds_cmpstore_rtn_b64 v[5:6], v10, v[3:4], v[5:6]
	s_waitcnt lgkmcnt(0)
	v_cmpx_eq_u64_e64 s[42:43], v[5:6]
	s_cbranch_execz .LBB134_45
; %bb.44:                               ;   in Loop: Header=BB134_39 Depth=2
	v_lshlrev_b32_e32 v5, 3, v9
	s_xor_b32 s11, exec_lo, -1
	s_delay_alu instid0(VALU_DEP_1)
	v_add3_u32 v5, 0, v5, 0x20000
	ds_add_f32 v5, v7
	ds_add_f32 v5, v8 offset:4
.LBB134_45:                             ;   in Loop: Header=BB134_39 Depth=2
	s_or_b32 exec_lo, exec_lo, s10
	s_delay_alu instid0(SALU_CYCLE_1) | instskip(SKIP_1) | instid1(SALU_CYCLE_1)
	s_and_not1_b32 s8, s8, exec_lo
	s_and_b32 s10, s11, exec_lo
	s_or_b32 s8, s8, s10
.LBB134_46:                             ;   in Loop: Header=BB134_39 Depth=2
	s_or_b32 exec_lo, exec_lo, s9
	s_delay_alu instid0(SALU_CYCLE_1)
	s_and_b32 s8, s8, exec_lo
.LBB134_47:                             ;   in Loop: Header=BB134_39 Depth=2
	s_and_not1_saveexec_b32 s7, s7
	s_cbranch_execz .LBB134_38
; %bb.48:                               ;   in Loop: Header=BB134_39 Depth=2
	v_lshlrev_b32_e32 v5, 3, v9
	s_and_not1_b32 s8, s8, exec_lo
	s_delay_alu instid0(VALU_DEP_1)
	v_add3_u32 v5, 0, v5, 0x20000
	ds_add_f32 v5, v7
	ds_add_f32 v5, v8 offset:4
	s_branch .LBB134_38
.LBB134_49:
	s_or_b32 exec_lo, exec_lo, s4
.LBB134_50:
	v_mbcnt_lo_u32_b32 v1, -1, 0
	v_lshrrev_b32_e32 v2, 2, v0
	s_add_i32 s71, 0, 0x400f8
	v_cmp_eq_u32_e32 vcc_lo, 0x3ff, v0
	v_cmp_lt_u32_e64 s0, 31, v0
	v_xor_b32_e32 v1, 63, v1
	v_and_b32_e32 v3, 0xf8, v2
	v_cmp_lt_u32_e64 s1, 63, v0
	v_cmp_lt_u32_e64 s2, 0x5f, v0
	;; [unrolled: 1-line block ×3, first 2 shown]
	v_lshrrev_b64 v[1:2], v1, -1
	v_add3_u32 v14, 0, 0x40000, v3
	v_dual_mov_b32 v2, 0 :: v_dual_mov_b32 v5, 0
	v_cmp_lt_u32_e64 s4, 0x9f, v0
	v_cmp_lt_u32_e64 s5, 0xbf, v0
	;; [unrolled: 1-line block ×27, first 2 shown]
	v_mov_b32_e32 v3, 0
	v_mov_b32_e32 v15, s71
	s_mov_b32 s36, 0
	s_add_i32 s37, 0, 0x40000
	s_add_i32 s39, 0, 0x40008
	;; [unrolled: 1-line block ×31, first 2 shown]
	s_waitcnt lgkmcnt(0)
	s_barrier
	buffer_gl0_inv
	s_branch .LBB134_52
.LBB134_51:                             ;   in Loop: Header=BB134_52 Depth=1
	s_or_b32 exec_lo, exec_lo, s31
	s_waitcnt lgkmcnt(0)
	s_barrier
	buffer_gl0_inv
	ds_load_b64 v[6:7], v15
	v_add_nc_u32_e32 v13, 0x400, v13
	v_add_nc_u32_e32 v12, 0x2000, v12
	s_delay_alu instid0(VALU_DEP_2) | instskip(NEXT) | instid1(VALU_DEP_1)
	v_cmp_lt_u32_e64 s31, 0x3bff, v13
	s_or_b32 s36, s31, s36
	s_waitcnt lgkmcnt(0)
	v_add_co_u32 v2, s33, v6, v2
	s_delay_alu instid0(VALU_DEP_1)
	v_add_co_ci_u32_e64 v3, s33, v7, v3, s33
	s_and_not1_b32 exec_lo, exec_lo, s36
	s_cbranch_execz .LBB134_118
.LBB134_52:                             ; =>This Inner Loop Header: Depth=1
	ds_load_b64 v[6:7], v12
	v_add_nc_u32_e32 v4, 0x20000, v12
	ds_load_2addr_b32 v[8:9], v4 offset1:1
	s_waitcnt lgkmcnt(0)
	s_barrier
	buffer_gl0_inv
	v_cmp_gt_i64_e64 s31, s[42:43], v[6:7]
	s_delay_alu instid0(VALU_DEP_1) | instskip(SKIP_1) | instid1(SALU_CYCLE_1)
	v_and_b32_e32 v10, s31, v1
	s_bcnt1_i32_b32 s33, s31
	v_mov_b32_e32 v4, s33
	s_delay_alu instid0(VALU_DEP_2)
	v_bcnt_u32_b32 v10, v10, 0
	ds_store_b64 v14, v[4:5]
	s_waitcnt lgkmcnt(0)
	s_barrier
	buffer_gl0_inv
	s_and_saveexec_b32 s33, s0
	s_cbranch_execnz .LBB134_85
; %bb.53:                               ;   in Loop: Header=BB134_52 Depth=1
	s_or_b32 exec_lo, exec_lo, s33
	s_and_saveexec_b32 s33, s1
	s_cbranch_execnz .LBB134_86
.LBB134_54:                             ;   in Loop: Header=BB134_52 Depth=1
	s_or_b32 exec_lo, exec_lo, s33
	s_and_saveexec_b32 s33, s2
	s_cbranch_execnz .LBB134_87
.LBB134_55:                             ;   in Loop: Header=BB134_52 Depth=1
	s_or_b32 exec_lo, exec_lo, s33
	s_and_saveexec_b32 s33, s3
	s_cbranch_execnz .LBB134_88
.LBB134_56:                             ;   in Loop: Header=BB134_52 Depth=1
	s_or_b32 exec_lo, exec_lo, s33
	s_and_saveexec_b32 s33, s4
	s_cbranch_execnz .LBB134_89
.LBB134_57:                             ;   in Loop: Header=BB134_52 Depth=1
	s_or_b32 exec_lo, exec_lo, s33
	s_and_saveexec_b32 s33, s5
	s_cbranch_execnz .LBB134_90
.LBB134_58:                             ;   in Loop: Header=BB134_52 Depth=1
	s_or_b32 exec_lo, exec_lo, s33
	s_and_saveexec_b32 s33, s6
	s_cbranch_execnz .LBB134_91
.LBB134_59:                             ;   in Loop: Header=BB134_52 Depth=1
	s_or_b32 exec_lo, exec_lo, s33
	s_and_saveexec_b32 s33, s7
	s_cbranch_execnz .LBB134_92
.LBB134_60:                             ;   in Loop: Header=BB134_52 Depth=1
	s_or_b32 exec_lo, exec_lo, s33
	s_and_saveexec_b32 s33, s8
	s_cbranch_execnz .LBB134_93
.LBB134_61:                             ;   in Loop: Header=BB134_52 Depth=1
	s_or_b32 exec_lo, exec_lo, s33
	s_and_saveexec_b32 s33, s9
	s_cbranch_execnz .LBB134_94
.LBB134_62:                             ;   in Loop: Header=BB134_52 Depth=1
	s_or_b32 exec_lo, exec_lo, s33
	s_and_saveexec_b32 s33, s10
	s_cbranch_execnz .LBB134_95
.LBB134_63:                             ;   in Loop: Header=BB134_52 Depth=1
	s_or_b32 exec_lo, exec_lo, s33
	s_and_saveexec_b32 s33, s11
	s_cbranch_execnz .LBB134_96
.LBB134_64:                             ;   in Loop: Header=BB134_52 Depth=1
	s_or_b32 exec_lo, exec_lo, s33
	s_and_saveexec_b32 s33, s12
	s_cbranch_execnz .LBB134_97
.LBB134_65:                             ;   in Loop: Header=BB134_52 Depth=1
	s_or_b32 exec_lo, exec_lo, s33
	s_and_saveexec_b32 s33, s13
	s_cbranch_execnz .LBB134_98
.LBB134_66:                             ;   in Loop: Header=BB134_52 Depth=1
	s_or_b32 exec_lo, exec_lo, s33
	s_and_saveexec_b32 s33, s14
	s_cbranch_execnz .LBB134_99
.LBB134_67:                             ;   in Loop: Header=BB134_52 Depth=1
	s_or_b32 exec_lo, exec_lo, s33
	s_and_saveexec_b32 s33, s15
	s_cbranch_execnz .LBB134_100
.LBB134_68:                             ;   in Loop: Header=BB134_52 Depth=1
	s_or_b32 exec_lo, exec_lo, s33
	s_and_saveexec_b32 s33, s16
	s_cbranch_execnz .LBB134_101
.LBB134_69:                             ;   in Loop: Header=BB134_52 Depth=1
	s_or_b32 exec_lo, exec_lo, s33
	s_and_saveexec_b32 s33, s17
	s_cbranch_execnz .LBB134_102
.LBB134_70:                             ;   in Loop: Header=BB134_52 Depth=1
	s_or_b32 exec_lo, exec_lo, s33
	s_and_saveexec_b32 s33, s18
	s_cbranch_execnz .LBB134_103
.LBB134_71:                             ;   in Loop: Header=BB134_52 Depth=1
	s_or_b32 exec_lo, exec_lo, s33
	s_and_saveexec_b32 s33, s19
	s_cbranch_execnz .LBB134_104
.LBB134_72:                             ;   in Loop: Header=BB134_52 Depth=1
	s_or_b32 exec_lo, exec_lo, s33
	s_and_saveexec_b32 s33, s20
	s_cbranch_execnz .LBB134_105
.LBB134_73:                             ;   in Loop: Header=BB134_52 Depth=1
	s_or_b32 exec_lo, exec_lo, s33
	s_and_saveexec_b32 s33, s21
	s_cbranch_execnz .LBB134_106
.LBB134_74:                             ;   in Loop: Header=BB134_52 Depth=1
	s_or_b32 exec_lo, exec_lo, s33
	s_and_saveexec_b32 s33, s22
	s_cbranch_execnz .LBB134_107
.LBB134_75:                             ;   in Loop: Header=BB134_52 Depth=1
	s_or_b32 exec_lo, exec_lo, s33
	s_and_saveexec_b32 s33, s23
	s_cbranch_execnz .LBB134_108
.LBB134_76:                             ;   in Loop: Header=BB134_52 Depth=1
	s_or_b32 exec_lo, exec_lo, s33
	s_and_saveexec_b32 s33, s24
	s_cbranch_execnz .LBB134_109
.LBB134_77:                             ;   in Loop: Header=BB134_52 Depth=1
	s_or_b32 exec_lo, exec_lo, s33
	s_and_saveexec_b32 s33, s25
	s_cbranch_execnz .LBB134_110
.LBB134_78:                             ;   in Loop: Header=BB134_52 Depth=1
	s_or_b32 exec_lo, exec_lo, s33
	s_and_saveexec_b32 s33, s26
	s_cbranch_execnz .LBB134_111
.LBB134_79:                             ;   in Loop: Header=BB134_52 Depth=1
	s_or_b32 exec_lo, exec_lo, s33
	s_and_saveexec_b32 s33, s27
	s_cbranch_execnz .LBB134_112
.LBB134_80:                             ;   in Loop: Header=BB134_52 Depth=1
	s_or_b32 exec_lo, exec_lo, s33
	s_and_saveexec_b32 s33, s28
	s_cbranch_execnz .LBB134_113
.LBB134_81:                             ;   in Loop: Header=BB134_52 Depth=1
	s_or_b32 exec_lo, exec_lo, s33
	s_and_saveexec_b32 s33, s29
	s_cbranch_execnz .LBB134_114
.LBB134_82:                             ;   in Loop: Header=BB134_52 Depth=1
	s_or_b32 exec_lo, exec_lo, s33
	s_and_saveexec_b32 s33, s30
	s_cbranch_execnz .LBB134_115
.LBB134_83:                             ;   in Loop: Header=BB134_52 Depth=1
	s_or_b32 exec_lo, exec_lo, s33
	v_ashrrev_i32_e32 v11, 31, v10
	s_and_saveexec_b32 s33, s31
	s_cbranch_execnz .LBB134_116
.LBB134_84:                             ;   in Loop: Header=BB134_52 Depth=1
	s_or_b32 exec_lo, exec_lo, s33
	s_and_saveexec_b32 s31, vcc_lo
	s_cbranch_execz .LBB134_51
	s_branch .LBB134_117
.LBB134_85:                             ;   in Loop: Header=BB134_52 Depth=1
	v_mov_b32_e32 v4, s37
	ds_load_b32 v4, v4
	s_waitcnt lgkmcnt(0)
	v_add_nc_u32_e32 v10, v4, v10
	s_or_b32 exec_lo, exec_lo, s33
	s_and_saveexec_b32 s33, s1
	s_cbranch_execz .LBB134_54
.LBB134_86:                             ;   in Loop: Header=BB134_52 Depth=1
	v_mov_b32_e32 v4, s39
	ds_load_b32 v4, v4
	s_waitcnt lgkmcnt(0)
	v_add_nc_u32_e32 v10, v10, v4
	s_or_b32 exec_lo, exec_lo, s33
	s_and_saveexec_b32 s33, s2
	s_cbranch_execz .LBB134_55
.LBB134_87:                             ;   in Loop: Header=BB134_52 Depth=1
	v_mov_b32_e32 v4, s46
	ds_load_b32 v4, v4
	s_waitcnt lgkmcnt(0)
	v_add_nc_u32_e32 v10, v10, v4
	s_or_b32 exec_lo, exec_lo, s33
	s_and_saveexec_b32 s33, s3
	s_cbranch_execz .LBB134_56
.LBB134_88:                             ;   in Loop: Header=BB134_52 Depth=1
	v_mov_b32_e32 v4, s47
	ds_load_b32 v4, v4
	s_waitcnt lgkmcnt(0)
	v_add_nc_u32_e32 v10, v10, v4
	s_or_b32 exec_lo, exec_lo, s33
	s_and_saveexec_b32 s33, s4
	s_cbranch_execz .LBB134_57
.LBB134_89:                             ;   in Loop: Header=BB134_52 Depth=1
	v_mov_b32_e32 v4, s48
	ds_load_b32 v4, v4
	s_waitcnt lgkmcnt(0)
	v_add_nc_u32_e32 v10, v10, v4
	s_or_b32 exec_lo, exec_lo, s33
	s_and_saveexec_b32 s33, s5
	s_cbranch_execz .LBB134_58
.LBB134_90:                             ;   in Loop: Header=BB134_52 Depth=1
	v_mov_b32_e32 v4, s49
	ds_load_b32 v4, v4
	s_waitcnt lgkmcnt(0)
	v_add_nc_u32_e32 v10, v10, v4
	s_or_b32 exec_lo, exec_lo, s33
	s_and_saveexec_b32 s33, s6
	s_cbranch_execz .LBB134_59
.LBB134_91:                             ;   in Loop: Header=BB134_52 Depth=1
	v_mov_b32_e32 v4, s50
	ds_load_b32 v4, v4
	s_waitcnt lgkmcnt(0)
	v_add_nc_u32_e32 v10, v10, v4
	s_or_b32 exec_lo, exec_lo, s33
	s_and_saveexec_b32 s33, s7
	s_cbranch_execz .LBB134_60
.LBB134_92:                             ;   in Loop: Header=BB134_52 Depth=1
	v_mov_b32_e32 v4, s51
	ds_load_b32 v4, v4
	s_waitcnt lgkmcnt(0)
	v_add_nc_u32_e32 v10, v10, v4
	s_or_b32 exec_lo, exec_lo, s33
	s_and_saveexec_b32 s33, s8
	s_cbranch_execz .LBB134_61
.LBB134_93:                             ;   in Loop: Header=BB134_52 Depth=1
	v_mov_b32_e32 v4, s52
	ds_load_b32 v4, v4
	s_waitcnt lgkmcnt(0)
	v_add_nc_u32_e32 v10, v10, v4
	s_or_b32 exec_lo, exec_lo, s33
	s_and_saveexec_b32 s33, s9
	s_cbranch_execz .LBB134_62
.LBB134_94:                             ;   in Loop: Header=BB134_52 Depth=1
	v_mov_b32_e32 v4, s53
	ds_load_b32 v4, v4
	s_waitcnt lgkmcnt(0)
	v_add_nc_u32_e32 v10, v10, v4
	s_or_b32 exec_lo, exec_lo, s33
	s_and_saveexec_b32 s33, s10
	s_cbranch_execz .LBB134_63
.LBB134_95:                             ;   in Loop: Header=BB134_52 Depth=1
	v_mov_b32_e32 v4, s54
	ds_load_b32 v4, v4
	s_waitcnt lgkmcnt(0)
	v_add_nc_u32_e32 v10, v10, v4
	s_or_b32 exec_lo, exec_lo, s33
	s_and_saveexec_b32 s33, s11
	s_cbranch_execz .LBB134_64
.LBB134_96:                             ;   in Loop: Header=BB134_52 Depth=1
	v_mov_b32_e32 v4, s55
	ds_load_b32 v4, v4
	s_waitcnt lgkmcnt(0)
	v_add_nc_u32_e32 v10, v10, v4
	s_or_b32 exec_lo, exec_lo, s33
	s_and_saveexec_b32 s33, s12
	s_cbranch_execz .LBB134_65
.LBB134_97:                             ;   in Loop: Header=BB134_52 Depth=1
	v_mov_b32_e32 v4, s56
	ds_load_b32 v4, v4
	s_waitcnt lgkmcnt(0)
	v_add_nc_u32_e32 v10, v10, v4
	s_or_b32 exec_lo, exec_lo, s33
	s_and_saveexec_b32 s33, s13
	s_cbranch_execz .LBB134_66
.LBB134_98:                             ;   in Loop: Header=BB134_52 Depth=1
	v_mov_b32_e32 v4, s57
	ds_load_b32 v4, v4
	s_waitcnt lgkmcnt(0)
	v_add_nc_u32_e32 v10, v10, v4
	s_or_b32 exec_lo, exec_lo, s33
	s_and_saveexec_b32 s33, s14
	s_cbranch_execz .LBB134_67
.LBB134_99:                             ;   in Loop: Header=BB134_52 Depth=1
	v_mov_b32_e32 v4, s58
	ds_load_b32 v4, v4
	s_waitcnt lgkmcnt(0)
	v_add_nc_u32_e32 v10, v10, v4
	s_or_b32 exec_lo, exec_lo, s33
	s_and_saveexec_b32 s33, s15
	s_cbranch_execz .LBB134_68
.LBB134_100:                            ;   in Loop: Header=BB134_52 Depth=1
	v_mov_b32_e32 v4, s59
	ds_load_b32 v4, v4
	s_waitcnt lgkmcnt(0)
	v_add_nc_u32_e32 v10, v10, v4
	s_or_b32 exec_lo, exec_lo, s33
	s_and_saveexec_b32 s33, s16
	s_cbranch_execz .LBB134_69
.LBB134_101:                            ;   in Loop: Header=BB134_52 Depth=1
	v_mov_b32_e32 v4, s60
	ds_load_b32 v4, v4
	s_waitcnt lgkmcnt(0)
	v_add_nc_u32_e32 v10, v10, v4
	s_or_b32 exec_lo, exec_lo, s33
	s_and_saveexec_b32 s33, s17
	s_cbranch_execz .LBB134_70
.LBB134_102:                            ;   in Loop: Header=BB134_52 Depth=1
	v_mov_b32_e32 v4, s61
	ds_load_b32 v4, v4
	s_waitcnt lgkmcnt(0)
	v_add_nc_u32_e32 v10, v10, v4
	s_or_b32 exec_lo, exec_lo, s33
	s_and_saveexec_b32 s33, s18
	s_cbranch_execz .LBB134_71
.LBB134_103:                            ;   in Loop: Header=BB134_52 Depth=1
	v_mov_b32_e32 v4, s62
	ds_load_b32 v4, v4
	s_waitcnt lgkmcnt(0)
	v_add_nc_u32_e32 v10, v10, v4
	s_or_b32 exec_lo, exec_lo, s33
	s_and_saveexec_b32 s33, s19
	s_cbranch_execz .LBB134_72
.LBB134_104:                            ;   in Loop: Header=BB134_52 Depth=1
	v_mov_b32_e32 v4, s63
	ds_load_b32 v4, v4
	s_waitcnt lgkmcnt(0)
	v_add_nc_u32_e32 v10, v10, v4
	s_or_b32 exec_lo, exec_lo, s33
	s_and_saveexec_b32 s33, s20
	s_cbranch_execz .LBB134_73
.LBB134_105:                            ;   in Loop: Header=BB134_52 Depth=1
	v_mov_b32_e32 v4, s64
	ds_load_b32 v4, v4
	s_waitcnt lgkmcnt(0)
	v_add_nc_u32_e32 v10, v10, v4
	s_or_b32 exec_lo, exec_lo, s33
	s_and_saveexec_b32 s33, s21
	s_cbranch_execz .LBB134_74
.LBB134_106:                            ;   in Loop: Header=BB134_52 Depth=1
	v_mov_b32_e32 v4, s65
	ds_load_b32 v4, v4
	s_waitcnt lgkmcnt(0)
	v_add_nc_u32_e32 v10, v10, v4
	s_or_b32 exec_lo, exec_lo, s33
	s_and_saveexec_b32 s33, s22
	s_cbranch_execz .LBB134_75
.LBB134_107:                            ;   in Loop: Header=BB134_52 Depth=1
	v_mov_b32_e32 v4, s66
	ds_load_b32 v4, v4
	s_waitcnt lgkmcnt(0)
	v_add_nc_u32_e32 v10, v10, v4
	s_or_b32 exec_lo, exec_lo, s33
	s_and_saveexec_b32 s33, s23
	s_cbranch_execz .LBB134_76
.LBB134_108:                            ;   in Loop: Header=BB134_52 Depth=1
	v_mov_b32_e32 v4, s67
	ds_load_b32 v4, v4
	s_waitcnt lgkmcnt(0)
	v_add_nc_u32_e32 v10, v10, v4
	s_or_b32 exec_lo, exec_lo, s33
	s_and_saveexec_b32 s33, s24
	s_cbranch_execz .LBB134_77
.LBB134_109:                            ;   in Loop: Header=BB134_52 Depth=1
	v_mov_b32_e32 v4, s68
	ds_load_b32 v4, v4
	s_waitcnt lgkmcnt(0)
	v_add_nc_u32_e32 v10, v10, v4
	s_or_b32 exec_lo, exec_lo, s33
	s_and_saveexec_b32 s33, s25
	s_cbranch_execz .LBB134_78
.LBB134_110:                            ;   in Loop: Header=BB134_52 Depth=1
	v_mov_b32_e32 v4, s69
	ds_load_b32 v4, v4
	s_waitcnt lgkmcnt(0)
	v_add_nc_u32_e32 v10, v10, v4
	s_or_b32 exec_lo, exec_lo, s33
	s_and_saveexec_b32 s33, s26
	s_cbranch_execz .LBB134_79
.LBB134_111:                            ;   in Loop: Header=BB134_52 Depth=1
	v_mov_b32_e32 v4, s70
	ds_load_b32 v4, v4
	s_waitcnt lgkmcnt(0)
	v_add_nc_u32_e32 v10, v10, v4
	s_or_b32 exec_lo, exec_lo, s33
	s_and_saveexec_b32 s33, s27
	s_cbranch_execz .LBB134_80
.LBB134_112:                            ;   in Loop: Header=BB134_52 Depth=1
	v_mov_b32_e32 v4, s72
	ds_load_b32 v4, v4
	s_waitcnt lgkmcnt(0)
	v_add_nc_u32_e32 v10, v10, v4
	s_or_b32 exec_lo, exec_lo, s33
	s_and_saveexec_b32 s33, s28
	s_cbranch_execz .LBB134_81
.LBB134_113:                            ;   in Loop: Header=BB134_52 Depth=1
	v_mov_b32_e32 v4, s73
	ds_load_b32 v4, v4
	s_waitcnt lgkmcnt(0)
	v_add_nc_u32_e32 v10, v10, v4
	s_or_b32 exec_lo, exec_lo, s33
	s_and_saveexec_b32 s33, s29
	s_cbranch_execz .LBB134_82
.LBB134_114:                            ;   in Loop: Header=BB134_52 Depth=1
	v_mov_b32_e32 v4, s74
	ds_load_b32 v4, v4
	s_waitcnt lgkmcnt(0)
	v_add_nc_u32_e32 v10, v10, v4
	s_or_b32 exec_lo, exec_lo, s33
	s_and_saveexec_b32 s33, s30
	s_cbranch_execz .LBB134_83
.LBB134_115:                            ;   in Loop: Header=BB134_52 Depth=1
	v_mov_b32_e32 v4, s75
	ds_load_b32 v4, v4
	s_waitcnt lgkmcnt(0)
	v_add_nc_u32_e32 v10, v10, v4
	s_or_b32 exec_lo, exec_lo, s33
	s_delay_alu instid0(VALU_DEP_1)
	v_ashrrev_i32_e32 v11, 31, v10
	s_and_saveexec_b32 s33, s31
	s_cbranch_execz .LBB134_84
.LBB134_116:                            ;   in Loop: Header=BB134_52 Depth=1
	v_add3_u32 v4, v2, -1, v10
	s_delay_alu instid0(VALU_DEP_1) | instskip(NEXT) | instid1(VALU_DEP_1)
	v_lshl_add_u32 v4, v4, 3, 0
	v_add_nc_u32_e32 v16, 0x20000, v4
	ds_store_b64 v4, v[6:7]
	ds_store_2addr_b32 v16, v8, v9 offset1:1
	s_or_b32 exec_lo, exec_lo, s33
	s_and_saveexec_b32 s31, vcc_lo
	s_cbranch_execz .LBB134_51
.LBB134_117:                            ;   in Loop: Header=BB134_52 Depth=1
	v_mov_b32_e32 v4, s71
	ds_store_b64 v4, v[10:11]
	s_branch .LBB134_51
.LBB134_118:
	s_or_b32 exec_lo, exec_lo, s36
	s_lshl_b64 s[0:1], s[44:45], 3
	v_mov_b32_e32 v1, 0
	s_add_u32 s0, s40, s0
	s_addc_u32 s1, s41, s1
	s_mov_b32 s6, exec_lo
	s_load_b128 s[0:3], s[0:1], 0x0
	s_waitcnt lgkmcnt(0)
	s_sub_u32 s4, s2, s0
	s_subb_u32 s5, s3, s1
	s_delay_alu instid0(SALU_CYCLE_1)
	v_cmpx_gt_i64_e64 s[4:5], v[0:1]
	s_cbranch_execz .LBB134_128
; %bb.119:
	s_sub_u32 s8, s0, s38
	s_subb_u32 s9, s1, 0
	s_and_b32 s6, s4, 7
	s_sub_u32 s0, s0, s2
	s_subb_u32 s1, s1, s3
	s_mov_b32 s7, 0
	v_cmp_lt_u64_e64 s12, s[0:1], -7
	s_and_b32 s2, s4, -8
	s_cmp_lg_u64 s[6:7], 0
	s_mov_b32 s3, s5
	s_cselect_b32 s13, -1, 0
	s_mov_b32 s14, s7
	s_branch .LBB134_121
.LBB134_120:                            ;   in Loop: Header=BB134_121 Depth=1
	v_add_co_u32 v0, vcc_lo, 0x400, v0
	v_add_co_ci_u32_e32 v1, vcc_lo, 0, v1, vcc_lo
	s_waitcnt lgkmcnt(1)
	v_lshlrev_b64 v[4:5], 3, v[6:7]
	s_delay_alu instid0(VALU_DEP_2) | instskip(NEXT) | instid1(VALU_DEP_2)
	v_cmp_le_i64_e32 vcc_lo, s[4:5], v[0:1]
	v_add_co_u32 v4, s0, s34, v4
	s_delay_alu instid0(VALU_DEP_1)
	v_add_co_ci_u32_e64 v5, s0, s35, v5, s0
	s_or_b32 s14, vcc_lo, s14
	s_waitcnt lgkmcnt(0)
	global_store_b64 v[4:5], v[2:3], off
	s_and_not1_b32 exec_lo, exec_lo, s14
	s_cbranch_execz .LBB134_128
.LBB134_121:                            ; =>This Loop Header: Depth=1
                                        ;     Child Loop BB134_123 Depth 2
                                        ;     Child Loop BB134_127 Depth 2
	v_lshl_add_u32 v2, v0, 3, 0
	s_and_not1_b32 vcc_lo, exec_lo, s12
	s_mov_b64 s[0:1], 0
	v_dual_mov_b32 v6, s8 :: v_dual_mov_b32 v7, s9
	s_delay_alu instid0(VALU_DEP_2)
	v_add_nc_u32_e32 v3, 0x20000, v2
	ds_load_b64 v[4:5], v2
	ds_load_2addr_b32 v[2:3], v3 offset1:1
	s_cbranch_vccnz .LBB134_125
; %bb.122:                              ;   in Loop: Header=BB134_121 Depth=1
	v_dual_mov_b32 v6, s8 :: v_dual_mov_b32 v7, s9
	s_mov_b64 s[10:11], 0
	s_mov_b32 s1, 0
.LBB134_123:                            ;   Parent Loop BB134_121 Depth=1
                                        ; =>  This Inner Loop Header: Depth=2
	s_delay_alu instid0(SALU_CYCLE_1)
	v_mov_b32_e32 v20, s1
	s_add_u32 s10, s10, 8
	s_addc_u32 s11, s11, 0
	s_add_i32 s1, s1, 64
	s_cmp_eq_u64 s[2:3], s[10:11]
	ds_load_2addr_b64 v[8:11], v20 offset1:1
	ds_load_2addr_b64 v[12:15], v20 offset0:2 offset1:3
	ds_load_2addr_b64 v[16:19], v20 offset0:4 offset1:5
	;; [unrolled: 1-line block ×3, first 2 shown]
	s_waitcnt lgkmcnt(3)
	v_cmp_gt_i64_e32 vcc_lo, v[4:5], v[8:9]
	v_cndmask_b32_e64 v8, 0, 1, vcc_lo
	v_cmp_gt_i64_e32 vcc_lo, v[4:5], v[10:11]
	v_cndmask_b32_e64 v9, 0, 1, vcc_lo
	s_waitcnt lgkmcnt(2)
	v_cmp_gt_i64_e32 vcc_lo, v[4:5], v[12:13]
	v_cndmask_b32_e64 v10, 0, 1, vcc_lo
	v_cmp_gt_i64_e32 vcc_lo, v[4:5], v[14:15]
	v_cndmask_b32_e64 v11, 0, 1, vcc_lo
	s_waitcnt lgkmcnt(1)
	v_cmp_gt_i64_e32 vcc_lo, v[4:5], v[16:17]
	v_cndmask_b32_e64 v12, 0, 1, vcc_lo
	v_add_co_u32 v6, vcc_lo, v6, v8
	v_add_co_ci_u32_e32 v7, vcc_lo, 0, v7, vcc_lo
	v_cmp_gt_i64_e32 vcc_lo, v[4:5], v[18:19]
	s_delay_alu instid0(VALU_DEP_3) | instskip(NEXT) | instid1(VALU_DEP_1)
	v_add_co_u32 v6, s0, v6, v9
	v_add_co_ci_u32_e64 v7, s0, 0, v7, s0
	v_cndmask_b32_e64 v8, 0, 1, vcc_lo
	s_delay_alu instid0(VALU_DEP_3) | instskip(NEXT) | instid1(VALU_DEP_3)
	v_add_co_u32 v6, vcc_lo, v6, v10
	v_add_co_ci_u32_e32 v7, vcc_lo, 0, v7, vcc_lo
	s_waitcnt lgkmcnt(0)
	v_cmp_gt_i64_e32 vcc_lo, v[4:5], v[20:21]
	s_delay_alu instid0(VALU_DEP_3) | instskip(NEXT) | instid1(VALU_DEP_1)
	v_add_co_u32 v6, s0, v6, v11
	v_add_co_ci_u32_e64 v7, s0, 0, v7, s0
	v_cndmask_b32_e64 v9, 0, 1, vcc_lo
	s_delay_alu instid0(VALU_DEP_3) | instskip(NEXT) | instid1(VALU_DEP_3)
	v_add_co_u32 v6, vcc_lo, v6, v12
	v_add_co_ci_u32_e32 v7, vcc_lo, 0, v7, vcc_lo
	v_cmp_gt_i64_e32 vcc_lo, v[4:5], v[22:23]
	s_delay_alu instid0(VALU_DEP_3) | instskip(NEXT) | instid1(VALU_DEP_1)
	v_add_co_u32 v6, s0, v6, v8
	v_add_co_ci_u32_e64 v7, s0, 0, v7, s0
	v_cndmask_b32_e64 v8, 0, 1, vcc_lo
	s_delay_alu instid0(VALU_DEP_3) | instskip(NEXT) | instid1(VALU_DEP_3)
	v_add_co_u32 v6, vcc_lo, v6, v9
	v_add_co_ci_u32_e32 v7, vcc_lo, 0, v7, vcc_lo
	s_delay_alu instid0(VALU_DEP_2) | instskip(NEXT) | instid1(VALU_DEP_2)
	v_add_co_u32 v6, vcc_lo, v6, v8
	v_add_co_ci_u32_e32 v7, vcc_lo, 0, v7, vcc_lo
	s_cbranch_scc0 .LBB134_123
; %bb.124:                              ;   in Loop: Header=BB134_121 Depth=1
	s_mov_b64 s[0:1], s[2:3]
.LBB134_125:                            ;   in Loop: Header=BB134_121 Depth=1
	s_and_not1_b32 vcc_lo, exec_lo, s13
	s_cbranch_vccnz .LBB134_120
; %bb.126:                              ;   in Loop: Header=BB134_121 Depth=1
	s_lshl_b32 s0, s0, 3
	s_delay_alu instid0(SALU_CYCLE_1)
	s_add_i32 s10, s0, 0
	s_mov_b64 s[0:1], s[6:7]
.LBB134_127:                            ;   Parent Loop BB134_121 Depth=1
                                        ; =>  This Inner Loop Header: Depth=2
	v_mov_b32_e32 v8, s10
	s_add_i32 s10, s10, 8
	s_add_u32 s0, s0, -1
	s_addc_u32 s1, s1, -1
	s_delay_alu instid0(SALU_CYCLE_1) | instskip(SKIP_4) | instid1(VALU_DEP_1)
	s_cmp_lg_u64 s[0:1], 0
	ds_load_b64 v[8:9], v8
	s_waitcnt lgkmcnt(0)
	v_cmp_gt_i64_e32 vcc_lo, v[4:5], v[8:9]
	v_cndmask_b32_e64 v8, 0, 1, vcc_lo
	v_add_co_u32 v6, vcc_lo, v6, v8
	v_add_co_ci_u32_e32 v7, vcc_lo, 0, v7, vcc_lo
	s_cbranch_scc1 .LBB134_127
	s_branch .LBB134_120
.LBB134_128:
	s_nop 0
	s_sendmsg sendmsg(MSG_DEALLOC_VGPRS)
	s_endpgm
	.section	.rodata,"a",@progbits
	.p2align	6, 0x0
	.amdhsa_kernel _ZN9rocsparseL41csrgemm_numeric_fill_block_per_row_kernelILj1024ELj64ELj16384ELj137ELj32Ell21rocsparse_complex_numIfEEEvT5_PKS3_S5_NS_24const_host_device_scalarIT6_EEPKT4_S5_PKS7_SB_S5_SD_S8_SB_S5_SD_SB_S5_PS7_21rocsparse_index_base_SF_SF_SF_bbb
		.amdhsa_group_segment_fixed_size 0
		.amdhsa_private_segment_fixed_size 0
		.amdhsa_kernarg_size 156
		.amdhsa_user_sgpr_count 15
		.amdhsa_user_sgpr_dispatch_ptr 0
		.amdhsa_user_sgpr_queue_ptr 0
		.amdhsa_user_sgpr_kernarg_segment_ptr 1
		.amdhsa_user_sgpr_dispatch_id 0
		.amdhsa_user_sgpr_private_segment_size 0
		.amdhsa_wavefront_size32 1
		.amdhsa_uses_dynamic_stack 0
		.amdhsa_enable_private_segment 0
		.amdhsa_system_sgpr_workgroup_id_x 1
		.amdhsa_system_sgpr_workgroup_id_y 0
		.amdhsa_system_sgpr_workgroup_id_z 0
		.amdhsa_system_sgpr_workgroup_info 0
		.amdhsa_system_vgpr_workitem_id 0
		.amdhsa_next_free_vgpr 24
		.amdhsa_next_free_sgpr 76
		.amdhsa_reserve_vcc 1
		.amdhsa_float_round_mode_32 0
		.amdhsa_float_round_mode_16_64 0
		.amdhsa_float_denorm_mode_32 3
		.amdhsa_float_denorm_mode_16_64 3
		.amdhsa_dx10_clamp 1
		.amdhsa_ieee_mode 1
		.amdhsa_fp16_overflow 0
		.amdhsa_workgroup_processor_mode 1
		.amdhsa_memory_ordered 1
		.amdhsa_forward_progress 0
		.amdhsa_shared_vgpr_count 0
		.amdhsa_exception_fp_ieee_invalid_op 0
		.amdhsa_exception_fp_denorm_src 0
		.amdhsa_exception_fp_ieee_div_zero 0
		.amdhsa_exception_fp_ieee_overflow 0
		.amdhsa_exception_fp_ieee_underflow 0
		.amdhsa_exception_fp_ieee_inexact 0
		.amdhsa_exception_int_div_zero 0
	.end_amdhsa_kernel
	.section	.text._ZN9rocsparseL41csrgemm_numeric_fill_block_per_row_kernelILj1024ELj64ELj16384ELj137ELj32Ell21rocsparse_complex_numIfEEEvT5_PKS3_S5_NS_24const_host_device_scalarIT6_EEPKT4_S5_PKS7_SB_S5_SD_S8_SB_S5_SD_SB_S5_PS7_21rocsparse_index_base_SF_SF_SF_bbb,"axG",@progbits,_ZN9rocsparseL41csrgemm_numeric_fill_block_per_row_kernelILj1024ELj64ELj16384ELj137ELj32Ell21rocsparse_complex_numIfEEEvT5_PKS3_S5_NS_24const_host_device_scalarIT6_EEPKT4_S5_PKS7_SB_S5_SD_S8_SB_S5_SD_SB_S5_PS7_21rocsparse_index_base_SF_SF_SF_bbb,comdat
.Lfunc_end134:
	.size	_ZN9rocsparseL41csrgemm_numeric_fill_block_per_row_kernelILj1024ELj64ELj16384ELj137ELj32Ell21rocsparse_complex_numIfEEEvT5_PKS3_S5_NS_24const_host_device_scalarIT6_EEPKT4_S5_PKS7_SB_S5_SD_S8_SB_S5_SD_SB_S5_PS7_21rocsparse_index_base_SF_SF_SF_bbb, .Lfunc_end134-_ZN9rocsparseL41csrgemm_numeric_fill_block_per_row_kernelILj1024ELj64ELj16384ELj137ELj32Ell21rocsparse_complex_numIfEEEvT5_PKS3_S5_NS_24const_host_device_scalarIT6_EEPKT4_S5_PKS7_SB_S5_SD_S8_SB_S5_SD_SB_S5_PS7_21rocsparse_index_base_SF_SF_SF_bbb
                                        ; -- End function
	.section	.AMDGPU.csdata,"",@progbits
; Kernel info:
; codeLenInByte = 4900
; NumSgprs: 78
; NumVgprs: 24
; ScratchSize: 0
; MemoryBound: 0
; FloatMode: 240
; IeeeMode: 1
; LDSByteSize: 0 bytes/workgroup (compile time only)
; SGPRBlocks: 9
; VGPRBlocks: 2
; NumSGPRsForWavesPerEU: 78
; NumVGPRsForWavesPerEU: 24
; Occupancy: 16
; WaveLimiterHint : 1
; COMPUTE_PGM_RSRC2:SCRATCH_EN: 0
; COMPUTE_PGM_RSRC2:USER_SGPR: 15
; COMPUTE_PGM_RSRC2:TRAP_HANDLER: 0
; COMPUTE_PGM_RSRC2:TGID_X_EN: 1
; COMPUTE_PGM_RSRC2:TGID_Y_EN: 0
; COMPUTE_PGM_RSRC2:TGID_Z_EN: 0
; COMPUTE_PGM_RSRC2:TIDIG_COMP_CNT: 0
	.section	.text._ZN9rocsparseL41csrgemm_numeric_fill_block_per_row_kernelILj1024ELj64ELj16384ELj137ELj64Ell21rocsparse_complex_numIfEEEvT5_PKS3_S5_NS_24const_host_device_scalarIT6_EEPKT4_S5_PKS7_SB_S5_SD_S8_SB_S5_SD_SB_S5_PS7_21rocsparse_index_base_SF_SF_SF_bbb,"axG",@progbits,_ZN9rocsparseL41csrgemm_numeric_fill_block_per_row_kernelILj1024ELj64ELj16384ELj137ELj64Ell21rocsparse_complex_numIfEEEvT5_PKS3_S5_NS_24const_host_device_scalarIT6_EEPKT4_S5_PKS7_SB_S5_SD_S8_SB_S5_SD_SB_S5_PS7_21rocsparse_index_base_SF_SF_SF_bbb,comdat
	.globl	_ZN9rocsparseL41csrgemm_numeric_fill_block_per_row_kernelILj1024ELj64ELj16384ELj137ELj64Ell21rocsparse_complex_numIfEEEvT5_PKS3_S5_NS_24const_host_device_scalarIT6_EEPKT4_S5_PKS7_SB_S5_SD_S8_SB_S5_SD_SB_S5_PS7_21rocsparse_index_base_SF_SF_SF_bbb ; -- Begin function _ZN9rocsparseL41csrgemm_numeric_fill_block_per_row_kernelILj1024ELj64ELj16384ELj137ELj64Ell21rocsparse_complex_numIfEEEvT5_PKS3_S5_NS_24const_host_device_scalarIT6_EEPKT4_S5_PKS7_SB_S5_SD_S8_SB_S5_SD_SB_S5_PS7_21rocsparse_index_base_SF_SF_SF_bbb
	.p2align	8
	.type	_ZN9rocsparseL41csrgemm_numeric_fill_block_per_row_kernelILj1024ELj64ELj16384ELj137ELj64Ell21rocsparse_complex_numIfEEEvT5_PKS3_S5_NS_24const_host_device_scalarIT6_EEPKT4_S5_PKS7_SB_S5_SD_S8_SB_S5_SD_SB_S5_PS7_21rocsparse_index_base_SF_SF_SF_bbb,@function
_ZN9rocsparseL41csrgemm_numeric_fill_block_per_row_kernelILj1024ELj64ELj16384ELj137ELj64Ell21rocsparse_complex_numIfEEEvT5_PKS3_S5_NS_24const_host_device_scalarIT6_EEPKT4_S5_PKS7_SB_S5_SD_S8_SB_S5_SD_SB_S5_PS7_21rocsparse_index_base_SF_SF_SF_bbb: ; @_ZN9rocsparseL41csrgemm_numeric_fill_block_per_row_kernelILj1024ELj64ELj16384ELj137ELj64Ell21rocsparse_complex_numIfEEEvT5_PKS3_S5_NS_24const_host_device_scalarIT6_EEPKT4_S5_PKS7_SB_S5_SD_S8_SB_S5_SD_SB_S5_PS7_21rocsparse_index_base_SF_SF_SF_bbb
; %bb.0:
	s_mov_b32 s40, s15
	s_clause 0x7
	s_load_b32 s33, s[0:1], 0x98
	s_load_b64 s[36:37], s[0:1], 0x70
	s_load_b128 s[24:27], s[0:1], 0x60
	s_load_b256 s[4:11], s[0:1], 0x40
	s_load_b128 s[28:31], s[0:1], 0x8
	s_load_b256 s[12:19], s[0:1], 0x20
	s_load_b64 s[34:35], s[0:1], 0x80
	s_load_b128 s[20:23], s[0:1], 0x88
	s_mov_b32 s3, 0
	s_mov_b32 s42, 0
	s_waitcnt lgkmcnt(0)
	s_bitcmp1_b32 s33, 0
	s_cselect_b32 s44, -1, 0
	s_bitcmp1_b32 s33, 16
	s_cselect_b32 s2, -1, 0
	s_delay_alu instid0(SALU_CYCLE_1) | instskip(SKIP_2) | instid1(VALU_DEP_1)
	s_xor_b32 s38, s2, -1
	s_bitcmp0_b32 s33, 0
	v_cndmask_b32_e64 v1, 0, 1, s38
	v_cmp_ne_u32_e32 vcc_lo, 1, v1
	s_cbranch_scc1 .LBB135_5
; %bb.1:
	s_load_b64 s[2:3], s[0:1], 0x18
	s_and_b32 vcc_lo, exec_lo, vcc_lo
	s_waitcnt lgkmcnt(0)
	s_mov_b32 s42, s2
	s_cbranch_vccnz .LBB135_3
; %bb.2:
	s_load_b32 s42, s[2:3], 0x0
.LBB135_3:
	s_and_not1_b32 vcc_lo, exec_lo, s38
	s_cbranch_vccnz .LBB135_5
; %bb.4:
	s_load_b32 s3, s[2:3], 0x4
.LBB135_5:
	s_bitcmp1_b32 s33, 8
	s_cselect_b32 s43, -1, 0
	s_bfe_u32 s2, s33, 0x10008
	s_mov_b32 s33, 0
	s_cmp_eq_u32 s2, 0
	s_mov_b32 s2, 0
	s_cbranch_scc1 .LBB135_11
; %bb.6:
	v_cmp_ne_u32_e32 vcc_lo, 1, v1
	s_mov_b32 s2, s8
	s_cbranch_vccnz .LBB135_8
; %bb.7:
	s_load_b32 s2, s[8:9], 0x0
.LBB135_8:
	v_cmp_ne_u32_e32 vcc_lo, 1, v1
	s_cbranch_vccnz .LBB135_10
; %bb.9:
	s_load_b32 s9, s[8:9], 0x4
.LBB135_10:
	s_waitcnt lgkmcnt(0)
	s_mov_b32 s33, s9
.LBB135_11:
	s_load_b64 s[38:39], s[0:1], 0x0
	v_lshl_add_u32 v12, v0, 3, 0
	v_or_b32_e32 v13, 0xfffffc00, v0
	v_mov_b32_e32 v3, 0
	s_mov_b32 s0, 0
	s_delay_alu instid0(VALU_DEP_2)
	v_dual_mov_b32 v4, v12 :: v_dual_mov_b32 v5, v13
	s_waitcnt lgkmcnt(0)
	v_dual_mov_b32 v1, s38 :: v_dual_mov_b32 v2, s39
.LBB135_12:                             ; =>This Inner Loop Header: Depth=1
	s_delay_alu instid0(VALU_DEP_2) | instskip(NEXT) | instid1(VALU_DEP_3)
	v_add_nc_u32_e32 v5, 0x400, v5
	v_add_nc_u32_e32 v6, 0x20000, v4
	ds_store_b64 v4, v[1:2]
	v_add_nc_u32_e32 v4, 0x2000, v4
	v_cmp_lt_u32_e32 vcc_lo, 0x3bff, v5
	ds_store_2addr_b32 v6, v3, v3 offset1:1
	s_or_b32 s0, vcc_lo, s0
	s_delay_alu instid0(SALU_CYCLE_1)
	s_and_not1_b32 exec_lo, exec_lo, s0
	s_cbranch_execnz .LBB135_12
; %bb.13:
	s_or_b32 exec_lo, exec_lo, s0
	s_waitcnt lgkmcnt(0)
	s_barrier
	buffer_gl0_inv
	s_load_b64 s[0:1], s[28:29], 0x0
	s_mov_b32 s41, 0
	v_lshrrev_b32_e32 v11, 6, v0
	s_waitcnt lgkmcnt(0)
	s_lshl_b64 s[0:1], s[0:1], 3
	s_delay_alu instid0(SALU_CYCLE_1) | instskip(SKIP_2) | instid1(SALU_CYCLE_1)
	s_add_u32 s8, s30, s0
	s_addc_u32 s9, s31, s1
	s_lshl_b64 s[0:1], s[40:41], 3
	s_add_u32 s0, s8, s0
	s_addc_u32 s1, s9, s1
	s_and_b32 vcc_lo, exec_lo, s44
	s_load_b64 s[28:29], s[0:1], 0x0
	s_cbranch_vccz .LBB135_33
; %bb.14:
	s_waitcnt lgkmcnt(0)
	s_lshl_b64 s[0:1], s[28:29], 3
	s_mov_b32 s8, exec_lo
	s_add_u32 s0, s12, s0
	s_addc_u32 s1, s13, s1
	s_load_b128 s[44:47], s[0:1], 0x0
	v_sub_co_u32 v1, s0, v11, s20
	s_delay_alu instid0(VALU_DEP_1) | instskip(SKIP_1) | instid1(VALU_DEP_2)
	v_sub_co_ci_u32_e64 v2, null, 0, 0, s0
	s_waitcnt lgkmcnt(0)
	v_add_co_u32 v1, vcc_lo, s44, v1
	s_delay_alu instid0(VALU_DEP_2)
	v_add_co_ci_u32_e32 v2, vcc_lo, s45, v2, vcc_lo
	s_sub_u32 s0, s46, s20
	s_subb_u32 s1, s47, 0
	s_delay_alu instid0(VALU_DEP_1) | instid1(SALU_CYCLE_1)
	v_cmpx_gt_i64_e64 s[0:1], v[1:2]
	s_cbranch_execz .LBB135_32
; %bb.15:
	v_and_b32_e32 v3, 63, v0
	s_mov_b32 s12, s21
	s_delay_alu instid0(VALU_DEP_1) | instskip(NEXT) | instid1(VALU_DEP_1)
	v_sub_co_u32 v14, s9, v3, s21
	v_sub_co_ci_u32_e64 v15, null, 0, 0, s9
	s_mov_b32 s9, 0
	s_branch .LBB135_17
.LBB135_16:                             ;   in Loop: Header=BB135_17 Depth=1
	s_or_b32 exec_lo, exec_lo, s13
	v_add_co_u32 v1, vcc_lo, v1, 16
	v_add_co_ci_u32_e32 v2, vcc_lo, 0, v2, vcc_lo
	s_delay_alu instid0(VALU_DEP_1) | instskip(SKIP_1) | instid1(SALU_CYCLE_1)
	v_cmp_le_i64_e32 vcc_lo, s[0:1], v[1:2]
	s_or_b32 s9, vcc_lo, s9
	s_and_not1_b32 exec_lo, exec_lo, s9
	s_cbranch_execz .LBB135_32
.LBB135_17:                             ; =>This Loop Header: Depth=1
                                        ;     Child Loop BB135_20 Depth 2
                                        ;       Child Loop BB135_22 Depth 3
	v_lshlrev_b64 v[7:8], 3, v[1:2]
	s_mov_b32 s13, exec_lo
	s_delay_alu instid0(VALU_DEP_1) | instskip(NEXT) | instid1(VALU_DEP_2)
	v_add_co_u32 v3, vcc_lo, s14, v7
	v_add_co_ci_u32_e32 v4, vcc_lo, s15, v8, vcc_lo
	global_load_b64 v[3:4], v[3:4], off
	s_waitcnt vmcnt(0)
	v_sub_co_u32 v3, vcc_lo, v3, s20
	v_subrev_co_ci_u32_e32 v4, vcc_lo, 0, v4, vcc_lo
	s_delay_alu instid0(VALU_DEP_1) | instskip(NEXT) | instid1(VALU_DEP_1)
	v_lshlrev_b64 v[3:4], 3, v[3:4]
	v_add_co_u32 v3, vcc_lo, s18, v3
	s_delay_alu instid0(VALU_DEP_2)
	v_add_co_ci_u32_e32 v4, vcc_lo, s19, v4, vcc_lo
	global_load_b128 v[16:19], v[3:4], off
	s_waitcnt vmcnt(0)
	v_sub_co_u32 v3, vcc_lo, v18, s12
	v_subrev_co_ci_u32_e32 v4, vcc_lo, 0, v19, vcc_lo
	v_add_co_u32 v5, vcc_lo, v16, v14
	v_add_co_ci_u32_e32 v6, vcc_lo, v17, v15, vcc_lo
	s_delay_alu instid0(VALU_DEP_1)
	v_cmpx_lt_i64_e64 v[5:6], v[3:4]
	s_cbranch_execz .LBB135_16
; %bb.18:                               ;   in Loop: Header=BB135_17 Depth=1
	v_add_co_u32 v7, vcc_lo, s16, v7
	v_add_co_ci_u32_e32 v8, vcc_lo, s17, v8, vcc_lo
	s_mov_b32 s21, 0
	global_load_b64 v[7:8], v[7:8], off
	s_waitcnt vmcnt(0)
	v_mul_f32_e64 v16, v8, -s3
	s_delay_alu instid0(VALU_DEP_1) | instskip(NEXT) | instid1(VALU_DEP_1)
	v_dual_mul_f32 v17, s42, v8 :: v_dual_fmac_f32 v16, s42, v7
	v_fmac_f32_e32 v17, s3, v7
	s_branch .LBB135_20
.LBB135_19:                             ;   in Loop: Header=BB135_20 Depth=2
	s_or_b32 exec_lo, exec_lo, s30
	v_add_co_u32 v5, vcc_lo, v5, 64
	v_add_co_ci_u32_e32 v6, vcc_lo, 0, v6, vcc_lo
	s_delay_alu instid0(VALU_DEP_1) | instskip(SKIP_1) | instid1(SALU_CYCLE_1)
	v_cmp_ge_i64_e32 vcc_lo, v[5:6], v[3:4]
	s_or_b32 s21, vcc_lo, s21
	s_and_not1_b32 exec_lo, exec_lo, s21
	s_cbranch_execz .LBB135_16
.LBB135_20:                             ;   Parent Loop BB135_17 Depth=1
                                        ; =>  This Loop Header: Depth=2
                                        ;       Child Loop BB135_22 Depth 3
	v_lshlrev_b64 v[7:8], 3, v[5:6]
	s_mov_b32 s30, 0
	s_delay_alu instid0(VALU_DEP_1) | instskip(NEXT) | instid1(VALU_DEP_2)
	v_add_co_u32 v9, vcc_lo, s4, v7
	v_add_co_ci_u32_e32 v10, vcc_lo, s5, v8, vcc_lo
	v_add_co_u32 v7, vcc_lo, s6, v7
	v_add_co_ci_u32_e32 v8, vcc_lo, s7, v8, vcc_lo
	global_load_b64 v[9:10], v[9:10], off
	global_load_b64 v[20:21], v[7:8], off
	s_waitcnt vmcnt(1)
	v_sub_co_u32 v7, vcc_lo, v9, s12
	v_subrev_co_ci_u32_e32 v8, vcc_lo, 0, v10, vcc_lo
	s_waitcnt vmcnt(0)
	v_mul_f32_e64 v18, v21, -v17
	s_delay_alu instid0(VALU_DEP_3) | instskip(SKIP_1) | instid1(VALU_DEP_3)
	v_mul_lo_u32 v9, 0x89, v7
	v_mul_f32_e32 v19, v16, v21
	v_fmac_f32_e32 v18, v16, v20
	s_delay_alu instid0(VALU_DEP_2)
	v_dual_fmac_f32 v19, v17, v20 :: v_dual_and_b32 v20, 0x3fff, v9
	s_branch .LBB135_22
.LBB135_21:                             ;   in Loop: Header=BB135_22 Depth=3
	s_or_b32 exec_lo, exec_lo, s31
	s_xor_b32 s31, s40, -1
	s_delay_alu instid0(SALU_CYCLE_1) | instskip(NEXT) | instid1(SALU_CYCLE_1)
	s_and_b32 s31, exec_lo, s31
	s_or_b32 s30, s31, s30
	s_delay_alu instid0(SALU_CYCLE_1)
	s_and_not1_b32 exec_lo, exec_lo, s30
	s_cbranch_execz .LBB135_19
.LBB135_22:                             ;   Parent Loop BB135_17 Depth=1
                                        ;     Parent Loop BB135_20 Depth=2
                                        ; =>    This Inner Loop Header: Depth=3
	s_delay_alu instid0(VALU_DEP_1)
	v_lshl_add_u32 v21, v20, 3, 0
	s_mov_b32 s31, exec_lo
                                        ; implicit-def: $sgpr40
	ds_load_b64 v[9:10], v21
	s_waitcnt lgkmcnt(0)
	v_cmpx_ne_u64_e64 v[9:10], v[7:8]
	s_xor_b32 s31, exec_lo, s31
	s_cbranch_execz .LBB135_30
; %bb.23:                               ;   in Loop: Header=BB135_22 Depth=3
	s_mov_b32 s41, exec_lo
                                        ; implicit-def: $sgpr40
	v_cmpx_ne_u64_e64 s[38:39], v[9:10]
	s_xor_b32 s41, exec_lo, s41
; %bb.24:                               ;   in Loop: Header=BB135_22 Depth=3
	v_add_nc_u32_e32 v9, 1, v20
	s_mov_b32 s40, -1
                                        ; implicit-def: $vgpr21
	s_delay_alu instid0(VALU_DEP_1)
	v_and_b32_e32 v20, 0x3fff, v9
; %bb.25:                               ;   in Loop: Header=BB135_22 Depth=3
	s_and_not1_saveexec_b32 s41, s41
	s_cbranch_execz .LBB135_29
; %bb.26:                               ;   in Loop: Header=BB135_22 Depth=3
	v_dual_mov_b32 v9, s38 :: v_dual_mov_b32 v10, s39
	s_mov_b32 s45, -1
	s_mov_b32 s44, exec_lo
	ds_cmpstore_rtn_b64 v[9:10], v21, v[7:8], v[9:10]
	s_waitcnt lgkmcnt(0)
	v_cmpx_eq_u64_e64 s[38:39], v[9:10]
	s_cbranch_execz .LBB135_28
; %bb.27:                               ;   in Loop: Header=BB135_22 Depth=3
	v_lshlrev_b32_e32 v9, 3, v20
	s_xor_b32 s45, exec_lo, -1
	s_delay_alu instid0(VALU_DEP_1)
	v_add3_u32 v9, 0, v9, 0x20000
	ds_add_f32 v9, v18
	ds_add_f32 v9, v19 offset:4
.LBB135_28:                             ;   in Loop: Header=BB135_22 Depth=3
	s_or_b32 exec_lo, exec_lo, s44
	s_delay_alu instid0(SALU_CYCLE_1) | instskip(SKIP_1) | instid1(SALU_CYCLE_1)
	s_and_not1_b32 s40, s40, exec_lo
	s_and_b32 s44, s45, exec_lo
	s_or_b32 s40, s40, s44
.LBB135_29:                             ;   in Loop: Header=BB135_22 Depth=3
	s_or_b32 exec_lo, exec_lo, s41
	s_delay_alu instid0(SALU_CYCLE_1)
	s_and_b32 s40, s40, exec_lo
.LBB135_30:                             ;   in Loop: Header=BB135_22 Depth=3
	s_and_not1_saveexec_b32 s31, s31
	s_cbranch_execz .LBB135_21
; %bb.31:                               ;   in Loop: Header=BB135_22 Depth=3
	v_lshlrev_b32_e32 v9, 3, v20
	s_and_not1_b32 s40, s40, exec_lo
	s_delay_alu instid0(VALU_DEP_1)
	v_add3_u32 v9, 0, v9, 0x20000
	ds_add_f32 v9, v18
	ds_add_f32 v9, v19 offset:4
	s_branch .LBB135_21
.LBB135_32:
	s_or_b32 exec_lo, exec_lo, s8
.LBB135_33:
	s_delay_alu instid0(SALU_CYCLE_1)
	s_and_not1_b32 vcc_lo, exec_lo, s43
	s_cbranch_vccnz .LBB135_50
; %bb.34:
	s_waitcnt lgkmcnt(0)
	s_lshl_b64 s[0:1], s[28:29], 3
	s_mov_b32 s3, 0
	s_add_u32 s0, s10, s0
	s_addc_u32 s1, s11, s1
	s_load_b128 s[4:7], s[0:1], 0x0
	v_sub_co_u32 v1, s0, v0, s23
	s_delay_alu instid0(VALU_DEP_1) | instskip(SKIP_1) | instid1(VALU_DEP_2)
	v_sub_co_ci_u32_e64 v2, null, 0, 0, s0
	s_waitcnt lgkmcnt(0)
	v_add_co_u32 v1, vcc_lo, s4, v1
	s_delay_alu instid0(VALU_DEP_2) | instskip(SKIP_3) | instid1(VALU_DEP_1)
	v_add_co_ci_u32_e32 v2, vcc_lo, s5, v2, vcc_lo
	s_sub_u32 s0, s6, s23
	s_subb_u32 s1, s7, 0
	s_mov_b32 s4, exec_lo
	v_cmpx_gt_i64_e64 s[0:1], v[1:2]
	s_cbranch_execz .LBB135_49
; %bb.35:
	s_mov_b32 s5, s23
	s_branch .LBB135_37
.LBB135_36:                             ;   in Loop: Header=BB135_37 Depth=1
	s_or_b32 exec_lo, exec_lo, s6
	v_add_co_u32 v1, vcc_lo, 0x400, v1
	v_add_co_ci_u32_e32 v2, vcc_lo, 0, v2, vcc_lo
	s_delay_alu instid0(VALU_DEP_1) | instskip(SKIP_1) | instid1(SALU_CYCLE_1)
	v_cmp_le_i64_e32 vcc_lo, s[0:1], v[1:2]
	s_or_b32 s3, vcc_lo, s3
	s_and_not1_b32 exec_lo, exec_lo, s3
	s_cbranch_execz .LBB135_49
.LBB135_37:                             ; =>This Loop Header: Depth=1
                                        ;     Child Loop BB135_39 Depth 2
	v_lshlrev_b64 v[3:4], 3, v[1:2]
	s_mov_b32 s6, 0
	s_delay_alu instid0(VALU_DEP_1) | instskip(NEXT) | instid1(VALU_DEP_2)
	v_add_co_u32 v5, vcc_lo, s24, v3
	v_add_co_ci_u32_e32 v6, vcc_lo, s25, v4, vcc_lo
	v_add_co_u32 v3, vcc_lo, s26, v3
	v_add_co_ci_u32_e32 v4, vcc_lo, s27, v4, vcc_lo
	global_load_b64 v[5:6], v[5:6], off
	global_load_b64 v[9:10], v[3:4], off
	s_waitcnt vmcnt(1)
	v_sub_co_u32 v3, vcc_lo, v5, s5
	v_subrev_co_ci_u32_e32 v4, vcc_lo, 0, v6, vcc_lo
	s_waitcnt vmcnt(0)
	v_mul_f32_e64 v7, v10, -s33
	s_delay_alu instid0(VALU_DEP_3) | instskip(NEXT) | instid1(VALU_DEP_2)
	v_mul_lo_u32 v5, 0x89, v3
	v_dual_mul_f32 v8, s2, v10 :: v_dual_fmac_f32 v7, s2, v9
	s_delay_alu instid0(VALU_DEP_1) | instskip(NEXT) | instid1(VALU_DEP_3)
	v_fmac_f32_e32 v8, s33, v9
	v_and_b32_e32 v9, 0x3fff, v5
	s_branch .LBB135_39
.LBB135_38:                             ;   in Loop: Header=BB135_39 Depth=2
	s_or_b32 exec_lo, exec_lo, s7
	s_xor_b32 s7, s8, -1
	s_delay_alu instid0(SALU_CYCLE_1) | instskip(NEXT) | instid1(SALU_CYCLE_1)
	s_and_b32 s7, exec_lo, s7
	s_or_b32 s6, s7, s6
	s_delay_alu instid0(SALU_CYCLE_1)
	s_and_not1_b32 exec_lo, exec_lo, s6
	s_cbranch_execz .LBB135_36
.LBB135_39:                             ;   Parent Loop BB135_37 Depth=1
                                        ; =>  This Inner Loop Header: Depth=2
	s_delay_alu instid0(VALU_DEP_1)
	v_lshl_add_u32 v10, v9, 3, 0
	s_mov_b32 s7, exec_lo
                                        ; implicit-def: $sgpr8
	ds_load_b64 v[5:6], v10
	s_waitcnt lgkmcnt(0)
	v_cmpx_ne_u64_e64 v[5:6], v[3:4]
	s_xor_b32 s7, exec_lo, s7
	s_cbranch_execz .LBB135_47
; %bb.40:                               ;   in Loop: Header=BB135_39 Depth=2
	s_mov_b32 s9, exec_lo
                                        ; implicit-def: $sgpr8
	v_cmpx_ne_u64_e64 s[38:39], v[5:6]
	s_xor_b32 s9, exec_lo, s9
; %bb.41:                               ;   in Loop: Header=BB135_39 Depth=2
	v_add_nc_u32_e32 v5, 1, v9
	s_mov_b32 s8, -1
                                        ; implicit-def: $vgpr10
	s_delay_alu instid0(VALU_DEP_1)
	v_and_b32_e32 v9, 0x3fff, v5
; %bb.42:                               ;   in Loop: Header=BB135_39 Depth=2
	s_and_not1_saveexec_b32 s9, s9
	s_cbranch_execz .LBB135_46
; %bb.43:                               ;   in Loop: Header=BB135_39 Depth=2
	v_dual_mov_b32 v5, s38 :: v_dual_mov_b32 v6, s39
	s_mov_b32 s11, -1
	s_mov_b32 s10, exec_lo
	ds_cmpstore_rtn_b64 v[5:6], v10, v[3:4], v[5:6]
	s_waitcnt lgkmcnt(0)
	v_cmpx_eq_u64_e64 s[38:39], v[5:6]
	s_cbranch_execz .LBB135_45
; %bb.44:                               ;   in Loop: Header=BB135_39 Depth=2
	v_lshlrev_b32_e32 v5, 3, v9
	s_xor_b32 s11, exec_lo, -1
	s_delay_alu instid0(VALU_DEP_1)
	v_add3_u32 v5, 0, v5, 0x20000
	ds_add_f32 v5, v7
	ds_add_f32 v5, v8 offset:4
.LBB135_45:                             ;   in Loop: Header=BB135_39 Depth=2
	s_or_b32 exec_lo, exec_lo, s10
	s_delay_alu instid0(SALU_CYCLE_1) | instskip(SKIP_1) | instid1(SALU_CYCLE_1)
	s_and_not1_b32 s8, s8, exec_lo
	s_and_b32 s10, s11, exec_lo
	s_or_b32 s8, s8, s10
.LBB135_46:                             ;   in Loop: Header=BB135_39 Depth=2
	s_or_b32 exec_lo, exec_lo, s9
	s_delay_alu instid0(SALU_CYCLE_1)
	s_and_b32 s8, s8, exec_lo
.LBB135_47:                             ;   in Loop: Header=BB135_39 Depth=2
	s_and_not1_saveexec_b32 s7, s7
	s_cbranch_execz .LBB135_38
; %bb.48:                               ;   in Loop: Header=BB135_39 Depth=2
	v_lshlrev_b32_e32 v5, 3, v9
	s_and_not1_b32 s8, s8, exec_lo
	s_delay_alu instid0(VALU_DEP_1)
	v_add3_u32 v5, 0, v5, 0x20000
	ds_add_f32 v5, v7
	ds_add_f32 v5, v8 offset:4
	s_branch .LBB135_38
.LBB135_49:
	s_or_b32 exec_lo, exec_lo, s4
.LBB135_50:
	v_mbcnt_lo_u32_b32 v1, -1, 0
	v_dual_mov_b32 v5, 0 :: v_dual_lshlrev_b32 v2, 3, v11
	s_add_i32 s33, 0, 0x40078
	v_cmp_eq_u32_e32 vcc_lo, 0x3ff, v0
	s_delay_alu instid0(VALU_DEP_3) | instskip(NEXT) | instid1(VALU_DEP_3)
	v_xor_b32_e32 v1, 63, v1
	v_add3_u32 v14, 0, 0x40000, v2
	v_cmp_lt_u32_e64 s0, 63, v0
	v_cmp_lt_u32_e64 s1, 0x7f, v0
	;; [unrolled: 1-line block ×3, first 2 shown]
	v_lshrrev_b64 v[1:2], v1, -1
	v_dual_mov_b32 v2, 0 :: v_dual_mov_b32 v15, s33
	v_cmp_lt_u32_e64 s3, 0xff, v0
	v_cmp_lt_u32_e64 s4, 0x13f, v0
	;; [unrolled: 1-line block ×12, first 2 shown]
	v_mov_b32_e32 v3, 0
	s_mov_b32 s17, 0
	s_add_i32 s18, 0, 0x40000
	s_add_i32 s19, 0, 0x40008
	;; [unrolled: 1-line block ×15, first 2 shown]
	s_waitcnt lgkmcnt(0)
	s_barrier
	buffer_gl0_inv
	s_branch .LBB135_52
.LBB135_51:                             ;   in Loop: Header=BB135_52 Depth=1
	s_or_b32 exec_lo, exec_lo, s15
	s_waitcnt lgkmcnt(0)
	s_barrier
	buffer_gl0_inv
	ds_load_b64 v[6:7], v15
	v_add_nc_u32_e32 v13, 0x400, v13
	v_add_nc_u32_e32 v12, 0x2000, v12
	s_delay_alu instid0(VALU_DEP_2) | instskip(NEXT) | instid1(VALU_DEP_1)
	v_cmp_lt_u32_e64 s15, 0x3bff, v13
	s_or_b32 s17, s15, s17
	s_waitcnt lgkmcnt(0)
	v_add_co_u32 v2, s16, v6, v2
	s_delay_alu instid0(VALU_DEP_1)
	v_add_co_ci_u32_e64 v3, s16, v7, v3, s16
	s_and_not1_b32 exec_lo, exec_lo, s17
	s_cbranch_execz .LBB135_86
.LBB135_52:                             ; =>This Inner Loop Header: Depth=1
	ds_load_b64 v[6:7], v12
	v_add_nc_u32_e32 v4, 0x20000, v12
	ds_load_2addr_b32 v[8:9], v4 offset1:1
	s_waitcnt lgkmcnt(0)
	s_barrier
	buffer_gl0_inv
	v_cmp_gt_i64_e64 s15, s[38:39], v[6:7]
	s_delay_alu instid0(VALU_DEP_1) | instskip(SKIP_1) | instid1(SALU_CYCLE_1)
	v_and_b32_e32 v10, s15, v1
	s_bcnt1_i32_b32 s16, s15
	v_mov_b32_e32 v4, s16
	s_delay_alu instid0(VALU_DEP_2)
	v_bcnt_u32_b32 v10, v10, 0
	ds_store_b64 v14, v[4:5]
	s_waitcnt lgkmcnt(0)
	s_barrier
	buffer_gl0_inv
	s_and_saveexec_b32 s16, s0
	s_cbranch_execnz .LBB135_69
; %bb.53:                               ;   in Loop: Header=BB135_52 Depth=1
	s_or_b32 exec_lo, exec_lo, s16
	s_and_saveexec_b32 s16, s1
	s_cbranch_execnz .LBB135_70
.LBB135_54:                             ;   in Loop: Header=BB135_52 Depth=1
	s_or_b32 exec_lo, exec_lo, s16
	s_and_saveexec_b32 s16, s2
	s_cbranch_execnz .LBB135_71
.LBB135_55:                             ;   in Loop: Header=BB135_52 Depth=1
	s_or_b32 exec_lo, exec_lo, s16
	s_and_saveexec_b32 s16, s3
	s_cbranch_execnz .LBB135_72
.LBB135_56:                             ;   in Loop: Header=BB135_52 Depth=1
	s_or_b32 exec_lo, exec_lo, s16
	s_and_saveexec_b32 s16, s4
	s_cbranch_execnz .LBB135_73
.LBB135_57:                             ;   in Loop: Header=BB135_52 Depth=1
	s_or_b32 exec_lo, exec_lo, s16
	s_and_saveexec_b32 s16, s5
	s_cbranch_execnz .LBB135_74
.LBB135_58:                             ;   in Loop: Header=BB135_52 Depth=1
	s_or_b32 exec_lo, exec_lo, s16
	s_and_saveexec_b32 s16, s6
	s_cbranch_execnz .LBB135_75
.LBB135_59:                             ;   in Loop: Header=BB135_52 Depth=1
	s_or_b32 exec_lo, exec_lo, s16
	s_and_saveexec_b32 s16, s7
	s_cbranch_execnz .LBB135_76
.LBB135_60:                             ;   in Loop: Header=BB135_52 Depth=1
	s_or_b32 exec_lo, exec_lo, s16
	s_and_saveexec_b32 s16, s8
	s_cbranch_execnz .LBB135_77
.LBB135_61:                             ;   in Loop: Header=BB135_52 Depth=1
	s_or_b32 exec_lo, exec_lo, s16
	s_and_saveexec_b32 s16, s9
	s_cbranch_execnz .LBB135_78
.LBB135_62:                             ;   in Loop: Header=BB135_52 Depth=1
	s_or_b32 exec_lo, exec_lo, s16
	s_and_saveexec_b32 s16, s10
	s_cbranch_execnz .LBB135_79
.LBB135_63:                             ;   in Loop: Header=BB135_52 Depth=1
	s_or_b32 exec_lo, exec_lo, s16
	s_and_saveexec_b32 s16, s11
	s_cbranch_execnz .LBB135_80
.LBB135_64:                             ;   in Loop: Header=BB135_52 Depth=1
	s_or_b32 exec_lo, exec_lo, s16
	s_and_saveexec_b32 s16, s12
	s_cbranch_execnz .LBB135_81
.LBB135_65:                             ;   in Loop: Header=BB135_52 Depth=1
	s_or_b32 exec_lo, exec_lo, s16
	s_and_saveexec_b32 s16, s13
	s_cbranch_execnz .LBB135_82
.LBB135_66:                             ;   in Loop: Header=BB135_52 Depth=1
	s_or_b32 exec_lo, exec_lo, s16
	s_and_saveexec_b32 s16, s14
	s_cbranch_execnz .LBB135_83
.LBB135_67:                             ;   in Loop: Header=BB135_52 Depth=1
	s_or_b32 exec_lo, exec_lo, s16
	v_ashrrev_i32_e32 v11, 31, v10
	s_and_saveexec_b32 s16, s15
	s_cbranch_execnz .LBB135_84
.LBB135_68:                             ;   in Loop: Header=BB135_52 Depth=1
	s_or_b32 exec_lo, exec_lo, s16
	s_and_saveexec_b32 s15, vcc_lo
	s_cbranch_execz .LBB135_51
	s_branch .LBB135_85
.LBB135_69:                             ;   in Loop: Header=BB135_52 Depth=1
	v_mov_b32_e32 v4, s18
	ds_load_b32 v4, v4
	s_waitcnt lgkmcnt(0)
	v_add_nc_u32_e32 v10, v4, v10
	s_or_b32 exec_lo, exec_lo, s16
	s_and_saveexec_b32 s16, s1
	s_cbranch_execz .LBB135_54
.LBB135_70:                             ;   in Loop: Header=BB135_52 Depth=1
	v_mov_b32_e32 v4, s19
	ds_load_b32 v4, v4
	s_waitcnt lgkmcnt(0)
	v_add_nc_u32_e32 v10, v10, v4
	s_or_b32 exec_lo, exec_lo, s16
	s_and_saveexec_b32 s16, s2
	s_cbranch_execz .LBB135_55
.LBB135_71:                             ;   in Loop: Header=BB135_52 Depth=1
	v_mov_b32_e32 v4, s20
	ds_load_b32 v4, v4
	s_waitcnt lgkmcnt(0)
	v_add_nc_u32_e32 v10, v10, v4
	s_or_b32 exec_lo, exec_lo, s16
	s_and_saveexec_b32 s16, s3
	s_cbranch_execz .LBB135_56
.LBB135_72:                             ;   in Loop: Header=BB135_52 Depth=1
	v_mov_b32_e32 v4, s21
	ds_load_b32 v4, v4
	s_waitcnt lgkmcnt(0)
	v_add_nc_u32_e32 v10, v10, v4
	s_or_b32 exec_lo, exec_lo, s16
	s_and_saveexec_b32 s16, s4
	s_cbranch_execz .LBB135_57
.LBB135_73:                             ;   in Loop: Header=BB135_52 Depth=1
	v_mov_b32_e32 v4, s23
	ds_load_b32 v4, v4
	s_waitcnt lgkmcnt(0)
	v_add_nc_u32_e32 v10, v10, v4
	s_or_b32 exec_lo, exec_lo, s16
	s_and_saveexec_b32 s16, s5
	s_cbranch_execz .LBB135_58
.LBB135_74:                             ;   in Loop: Header=BB135_52 Depth=1
	v_mov_b32_e32 v4, s24
	ds_load_b32 v4, v4
	s_waitcnt lgkmcnt(0)
	v_add_nc_u32_e32 v10, v10, v4
	s_or_b32 exec_lo, exec_lo, s16
	s_and_saveexec_b32 s16, s6
	s_cbranch_execz .LBB135_59
.LBB135_75:                             ;   in Loop: Header=BB135_52 Depth=1
	v_mov_b32_e32 v4, s25
	ds_load_b32 v4, v4
	s_waitcnt lgkmcnt(0)
	v_add_nc_u32_e32 v10, v10, v4
	s_or_b32 exec_lo, exec_lo, s16
	s_and_saveexec_b32 s16, s7
	s_cbranch_execz .LBB135_60
.LBB135_76:                             ;   in Loop: Header=BB135_52 Depth=1
	v_mov_b32_e32 v4, s26
	ds_load_b32 v4, v4
	s_waitcnt lgkmcnt(0)
	v_add_nc_u32_e32 v10, v10, v4
	s_or_b32 exec_lo, exec_lo, s16
	s_and_saveexec_b32 s16, s8
	s_cbranch_execz .LBB135_61
.LBB135_77:                             ;   in Loop: Header=BB135_52 Depth=1
	v_mov_b32_e32 v4, s27
	ds_load_b32 v4, v4
	s_waitcnt lgkmcnt(0)
	v_add_nc_u32_e32 v10, v10, v4
	s_or_b32 exec_lo, exec_lo, s16
	s_and_saveexec_b32 s16, s9
	s_cbranch_execz .LBB135_62
.LBB135_78:                             ;   in Loop: Header=BB135_52 Depth=1
	v_mov_b32_e32 v4, s30
	ds_load_b32 v4, v4
	s_waitcnt lgkmcnt(0)
	v_add_nc_u32_e32 v10, v10, v4
	s_or_b32 exec_lo, exec_lo, s16
	s_and_saveexec_b32 s16, s10
	s_cbranch_execz .LBB135_63
.LBB135_79:                             ;   in Loop: Header=BB135_52 Depth=1
	v_mov_b32_e32 v4, s31
	ds_load_b32 v4, v4
	s_waitcnt lgkmcnt(0)
	v_add_nc_u32_e32 v10, v10, v4
	s_or_b32 exec_lo, exec_lo, s16
	s_and_saveexec_b32 s16, s11
	s_cbranch_execz .LBB135_64
.LBB135_80:                             ;   in Loop: Header=BB135_52 Depth=1
	v_mov_b32_e32 v4, s40
	ds_load_b32 v4, v4
	s_waitcnt lgkmcnt(0)
	v_add_nc_u32_e32 v10, v10, v4
	s_or_b32 exec_lo, exec_lo, s16
	s_and_saveexec_b32 s16, s12
	s_cbranch_execz .LBB135_65
.LBB135_81:                             ;   in Loop: Header=BB135_52 Depth=1
	v_mov_b32_e32 v4, s41
	ds_load_b32 v4, v4
	s_waitcnt lgkmcnt(0)
	v_add_nc_u32_e32 v10, v10, v4
	s_or_b32 exec_lo, exec_lo, s16
	s_and_saveexec_b32 s16, s13
	s_cbranch_execz .LBB135_66
.LBB135_82:                             ;   in Loop: Header=BB135_52 Depth=1
	v_mov_b32_e32 v4, s42
	ds_load_b32 v4, v4
	s_waitcnt lgkmcnt(0)
	v_add_nc_u32_e32 v10, v10, v4
	s_or_b32 exec_lo, exec_lo, s16
	s_and_saveexec_b32 s16, s14
	s_cbranch_execz .LBB135_67
.LBB135_83:                             ;   in Loop: Header=BB135_52 Depth=1
	v_mov_b32_e32 v4, s43
	ds_load_b32 v4, v4
	s_waitcnt lgkmcnt(0)
	v_add_nc_u32_e32 v10, v10, v4
	s_or_b32 exec_lo, exec_lo, s16
	s_delay_alu instid0(VALU_DEP_1)
	v_ashrrev_i32_e32 v11, 31, v10
	s_and_saveexec_b32 s16, s15
	s_cbranch_execz .LBB135_68
.LBB135_84:                             ;   in Loop: Header=BB135_52 Depth=1
	v_add3_u32 v4, v2, -1, v10
	s_delay_alu instid0(VALU_DEP_1) | instskip(NEXT) | instid1(VALU_DEP_1)
	v_lshl_add_u32 v4, v4, 3, 0
	v_add_nc_u32_e32 v16, 0x20000, v4
	ds_store_b64 v4, v[6:7]
	ds_store_2addr_b32 v16, v8, v9 offset1:1
	s_or_b32 exec_lo, exec_lo, s16
	s_and_saveexec_b32 s15, vcc_lo
	s_cbranch_execz .LBB135_51
.LBB135_85:                             ;   in Loop: Header=BB135_52 Depth=1
	v_mov_b32_e32 v4, s33
	ds_store_b64 v4, v[10:11]
	s_branch .LBB135_51
.LBB135_86:
	s_or_b32 exec_lo, exec_lo, s17
	s_lshl_b64 s[0:1], s[28:29], 3
	v_mov_b32_e32 v1, 0
	s_add_u32 s0, s36, s0
	s_addc_u32 s1, s37, s1
	s_mov_b32 s6, exec_lo
	s_load_b128 s[0:3], s[0:1], 0x0
	s_waitcnt lgkmcnt(0)
	s_sub_u32 s4, s2, s0
	s_subb_u32 s5, s3, s1
	s_delay_alu instid0(SALU_CYCLE_1)
	v_cmpx_gt_i64_e64 s[4:5], v[0:1]
	s_cbranch_execz .LBB135_96
; %bb.87:
	s_sub_u32 s8, s0, s22
	s_subb_u32 s9, s1, 0
	s_and_b32 s6, s4, 7
	s_sub_u32 s0, s0, s2
	s_subb_u32 s1, s1, s3
	s_mov_b32 s7, 0
	v_cmp_lt_u64_e64 s12, s[0:1], -7
	s_and_b32 s2, s4, -8
	s_cmp_lg_u64 s[6:7], 0
	s_mov_b32 s3, s5
	s_cselect_b32 s13, -1, 0
	s_mov_b32 s14, s7
	s_branch .LBB135_89
.LBB135_88:                             ;   in Loop: Header=BB135_89 Depth=1
	v_add_co_u32 v0, vcc_lo, 0x400, v0
	v_add_co_ci_u32_e32 v1, vcc_lo, 0, v1, vcc_lo
	s_waitcnt lgkmcnt(1)
	v_lshlrev_b64 v[4:5], 3, v[6:7]
	s_delay_alu instid0(VALU_DEP_2) | instskip(NEXT) | instid1(VALU_DEP_2)
	v_cmp_le_i64_e32 vcc_lo, s[4:5], v[0:1]
	v_add_co_u32 v4, s0, s34, v4
	s_delay_alu instid0(VALU_DEP_1)
	v_add_co_ci_u32_e64 v5, s0, s35, v5, s0
	s_or_b32 s14, vcc_lo, s14
	s_waitcnt lgkmcnt(0)
	global_store_b64 v[4:5], v[2:3], off
	s_and_not1_b32 exec_lo, exec_lo, s14
	s_cbranch_execz .LBB135_96
.LBB135_89:                             ; =>This Loop Header: Depth=1
                                        ;     Child Loop BB135_91 Depth 2
                                        ;     Child Loop BB135_95 Depth 2
	v_lshl_add_u32 v2, v0, 3, 0
	s_and_not1_b32 vcc_lo, exec_lo, s12
	s_mov_b64 s[0:1], 0
	v_dual_mov_b32 v6, s8 :: v_dual_mov_b32 v7, s9
	s_delay_alu instid0(VALU_DEP_2)
	v_add_nc_u32_e32 v3, 0x20000, v2
	ds_load_b64 v[4:5], v2
	ds_load_2addr_b32 v[2:3], v3 offset1:1
	s_cbranch_vccnz .LBB135_93
; %bb.90:                               ;   in Loop: Header=BB135_89 Depth=1
	v_dual_mov_b32 v6, s8 :: v_dual_mov_b32 v7, s9
	s_mov_b64 s[10:11], 0
	s_mov_b32 s1, 0
.LBB135_91:                             ;   Parent Loop BB135_89 Depth=1
                                        ; =>  This Inner Loop Header: Depth=2
	s_delay_alu instid0(SALU_CYCLE_1)
	v_mov_b32_e32 v20, s1
	s_add_u32 s10, s10, 8
	s_addc_u32 s11, s11, 0
	s_add_i32 s1, s1, 64
	s_cmp_eq_u64 s[2:3], s[10:11]
	ds_load_2addr_b64 v[8:11], v20 offset1:1
	ds_load_2addr_b64 v[12:15], v20 offset0:2 offset1:3
	ds_load_2addr_b64 v[16:19], v20 offset0:4 offset1:5
	;; [unrolled: 1-line block ×3, first 2 shown]
	s_waitcnt lgkmcnt(3)
	v_cmp_gt_i64_e32 vcc_lo, v[4:5], v[8:9]
	v_cndmask_b32_e64 v8, 0, 1, vcc_lo
	v_cmp_gt_i64_e32 vcc_lo, v[4:5], v[10:11]
	v_cndmask_b32_e64 v9, 0, 1, vcc_lo
	s_waitcnt lgkmcnt(2)
	v_cmp_gt_i64_e32 vcc_lo, v[4:5], v[12:13]
	v_cndmask_b32_e64 v10, 0, 1, vcc_lo
	v_cmp_gt_i64_e32 vcc_lo, v[4:5], v[14:15]
	v_cndmask_b32_e64 v11, 0, 1, vcc_lo
	s_waitcnt lgkmcnt(1)
	v_cmp_gt_i64_e32 vcc_lo, v[4:5], v[16:17]
	v_cndmask_b32_e64 v12, 0, 1, vcc_lo
	v_add_co_u32 v6, vcc_lo, v6, v8
	v_add_co_ci_u32_e32 v7, vcc_lo, 0, v7, vcc_lo
	v_cmp_gt_i64_e32 vcc_lo, v[4:5], v[18:19]
	s_delay_alu instid0(VALU_DEP_3) | instskip(NEXT) | instid1(VALU_DEP_1)
	v_add_co_u32 v6, s0, v6, v9
	v_add_co_ci_u32_e64 v7, s0, 0, v7, s0
	v_cndmask_b32_e64 v8, 0, 1, vcc_lo
	s_delay_alu instid0(VALU_DEP_3) | instskip(NEXT) | instid1(VALU_DEP_3)
	v_add_co_u32 v6, vcc_lo, v6, v10
	v_add_co_ci_u32_e32 v7, vcc_lo, 0, v7, vcc_lo
	s_waitcnt lgkmcnt(0)
	v_cmp_gt_i64_e32 vcc_lo, v[4:5], v[20:21]
	s_delay_alu instid0(VALU_DEP_3) | instskip(NEXT) | instid1(VALU_DEP_1)
	v_add_co_u32 v6, s0, v6, v11
	v_add_co_ci_u32_e64 v7, s0, 0, v7, s0
	v_cndmask_b32_e64 v9, 0, 1, vcc_lo
	s_delay_alu instid0(VALU_DEP_3) | instskip(NEXT) | instid1(VALU_DEP_3)
	v_add_co_u32 v6, vcc_lo, v6, v12
	v_add_co_ci_u32_e32 v7, vcc_lo, 0, v7, vcc_lo
	v_cmp_gt_i64_e32 vcc_lo, v[4:5], v[22:23]
	s_delay_alu instid0(VALU_DEP_3) | instskip(NEXT) | instid1(VALU_DEP_1)
	v_add_co_u32 v6, s0, v6, v8
	v_add_co_ci_u32_e64 v7, s0, 0, v7, s0
	v_cndmask_b32_e64 v8, 0, 1, vcc_lo
	s_delay_alu instid0(VALU_DEP_3) | instskip(NEXT) | instid1(VALU_DEP_3)
	v_add_co_u32 v6, vcc_lo, v6, v9
	v_add_co_ci_u32_e32 v7, vcc_lo, 0, v7, vcc_lo
	s_delay_alu instid0(VALU_DEP_2) | instskip(NEXT) | instid1(VALU_DEP_2)
	v_add_co_u32 v6, vcc_lo, v6, v8
	v_add_co_ci_u32_e32 v7, vcc_lo, 0, v7, vcc_lo
	s_cbranch_scc0 .LBB135_91
; %bb.92:                               ;   in Loop: Header=BB135_89 Depth=1
	s_mov_b64 s[0:1], s[2:3]
.LBB135_93:                             ;   in Loop: Header=BB135_89 Depth=1
	s_and_not1_b32 vcc_lo, exec_lo, s13
	s_cbranch_vccnz .LBB135_88
; %bb.94:                               ;   in Loop: Header=BB135_89 Depth=1
	s_lshl_b32 s0, s0, 3
	s_delay_alu instid0(SALU_CYCLE_1)
	s_add_i32 s10, s0, 0
	s_mov_b64 s[0:1], s[6:7]
.LBB135_95:                             ;   Parent Loop BB135_89 Depth=1
                                        ; =>  This Inner Loop Header: Depth=2
	v_mov_b32_e32 v8, s10
	s_add_i32 s10, s10, 8
	s_add_u32 s0, s0, -1
	s_addc_u32 s1, s1, -1
	s_delay_alu instid0(SALU_CYCLE_1) | instskip(SKIP_4) | instid1(VALU_DEP_1)
	s_cmp_lg_u64 s[0:1], 0
	ds_load_b64 v[8:9], v8
	s_waitcnt lgkmcnt(0)
	v_cmp_gt_i64_e32 vcc_lo, v[4:5], v[8:9]
	v_cndmask_b32_e64 v8, 0, 1, vcc_lo
	v_add_co_u32 v6, vcc_lo, v6, v8
	v_add_co_ci_u32_e32 v7, vcc_lo, 0, v7, vcc_lo
	s_cbranch_scc1 .LBB135_95
	s_branch .LBB135_88
.LBB135_96:
	s_nop 0
	s_sendmsg sendmsg(MSG_DEALLOC_VGPRS)
	s_endpgm
	.section	.rodata,"a",@progbits
	.p2align	6, 0x0
	.amdhsa_kernel _ZN9rocsparseL41csrgemm_numeric_fill_block_per_row_kernelILj1024ELj64ELj16384ELj137ELj64Ell21rocsparse_complex_numIfEEEvT5_PKS3_S5_NS_24const_host_device_scalarIT6_EEPKT4_S5_PKS7_SB_S5_SD_S8_SB_S5_SD_SB_S5_PS7_21rocsparse_index_base_SF_SF_SF_bbb
		.amdhsa_group_segment_fixed_size 0
		.amdhsa_private_segment_fixed_size 0
		.amdhsa_kernarg_size 156
		.amdhsa_user_sgpr_count 15
		.amdhsa_user_sgpr_dispatch_ptr 0
		.amdhsa_user_sgpr_queue_ptr 0
		.amdhsa_user_sgpr_kernarg_segment_ptr 1
		.amdhsa_user_sgpr_dispatch_id 0
		.amdhsa_user_sgpr_private_segment_size 0
		.amdhsa_wavefront_size32 1
		.amdhsa_uses_dynamic_stack 0
		.amdhsa_enable_private_segment 0
		.amdhsa_system_sgpr_workgroup_id_x 1
		.amdhsa_system_sgpr_workgroup_id_y 0
		.amdhsa_system_sgpr_workgroup_id_z 0
		.amdhsa_system_sgpr_workgroup_info 0
		.amdhsa_system_vgpr_workitem_id 0
		.amdhsa_next_free_vgpr 24
		.amdhsa_next_free_sgpr 48
		.amdhsa_reserve_vcc 1
		.amdhsa_float_round_mode_32 0
		.amdhsa_float_round_mode_16_64 0
		.amdhsa_float_denorm_mode_32 3
		.amdhsa_float_denorm_mode_16_64 3
		.amdhsa_dx10_clamp 1
		.amdhsa_ieee_mode 1
		.amdhsa_fp16_overflow 0
		.amdhsa_workgroup_processor_mode 1
		.amdhsa_memory_ordered 1
		.amdhsa_forward_progress 0
		.amdhsa_shared_vgpr_count 0
		.amdhsa_exception_fp_ieee_invalid_op 0
		.amdhsa_exception_fp_denorm_src 0
		.amdhsa_exception_fp_ieee_div_zero 0
		.amdhsa_exception_fp_ieee_overflow 0
		.amdhsa_exception_fp_ieee_underflow 0
		.amdhsa_exception_fp_ieee_inexact 0
		.amdhsa_exception_int_div_zero 0
	.end_amdhsa_kernel
	.section	.text._ZN9rocsparseL41csrgemm_numeric_fill_block_per_row_kernelILj1024ELj64ELj16384ELj137ELj64Ell21rocsparse_complex_numIfEEEvT5_PKS3_S5_NS_24const_host_device_scalarIT6_EEPKT4_S5_PKS7_SB_S5_SD_S8_SB_S5_SD_SB_S5_PS7_21rocsparse_index_base_SF_SF_SF_bbb,"axG",@progbits,_ZN9rocsparseL41csrgemm_numeric_fill_block_per_row_kernelILj1024ELj64ELj16384ELj137ELj64Ell21rocsparse_complex_numIfEEEvT5_PKS3_S5_NS_24const_host_device_scalarIT6_EEPKT4_S5_PKS7_SB_S5_SD_S8_SB_S5_SD_SB_S5_PS7_21rocsparse_index_base_SF_SF_SF_bbb,comdat
.Lfunc_end135:
	.size	_ZN9rocsparseL41csrgemm_numeric_fill_block_per_row_kernelILj1024ELj64ELj16384ELj137ELj64Ell21rocsparse_complex_numIfEEEvT5_PKS3_S5_NS_24const_host_device_scalarIT6_EEPKT4_S5_PKS7_SB_S5_SD_S8_SB_S5_SD_SB_S5_PS7_21rocsparse_index_base_SF_SF_SF_bbb, .Lfunc_end135-_ZN9rocsparseL41csrgemm_numeric_fill_block_per_row_kernelILj1024ELj64ELj16384ELj137ELj64Ell21rocsparse_complex_numIfEEEvT5_PKS3_S5_NS_24const_host_device_scalarIT6_EEPKT4_S5_PKS7_SB_S5_SD_S8_SB_S5_SD_SB_S5_PS7_21rocsparse_index_base_SF_SF_SF_bbb
                                        ; -- End function
	.section	.AMDGPU.csdata,"",@progbits
; Kernel info:
; codeLenInByte = 3872
; NumSgprs: 50
; NumVgprs: 24
; ScratchSize: 0
; MemoryBound: 0
; FloatMode: 240
; IeeeMode: 1
; LDSByteSize: 0 bytes/workgroup (compile time only)
; SGPRBlocks: 6
; VGPRBlocks: 2
; NumSGPRsForWavesPerEU: 50
; NumVGPRsForWavesPerEU: 24
; Occupancy: 16
; WaveLimiterHint : 1
; COMPUTE_PGM_RSRC2:SCRATCH_EN: 0
; COMPUTE_PGM_RSRC2:USER_SGPR: 15
; COMPUTE_PGM_RSRC2:TRAP_HANDLER: 0
; COMPUTE_PGM_RSRC2:TGID_X_EN: 1
; COMPUTE_PGM_RSRC2:TGID_Y_EN: 0
; COMPUTE_PGM_RSRC2:TGID_Z_EN: 0
; COMPUTE_PGM_RSRC2:TIDIG_COMP_CNT: 0
	.section	.text._ZN9rocsparseL41csrgemm_numeric_fill_block_per_row_kernelILj1024ELj64ELj32768ELj137ELj32Ell21rocsparse_complex_numIfEEEvT5_PKS3_S5_NS_24const_host_device_scalarIT6_EEPKT4_S5_PKS7_SB_S5_SD_S8_SB_S5_SD_SB_S5_PS7_21rocsparse_index_base_SF_SF_SF_bbb,"axG",@progbits,_ZN9rocsparseL41csrgemm_numeric_fill_block_per_row_kernelILj1024ELj64ELj32768ELj137ELj32Ell21rocsparse_complex_numIfEEEvT5_PKS3_S5_NS_24const_host_device_scalarIT6_EEPKT4_S5_PKS7_SB_S5_SD_S8_SB_S5_SD_SB_S5_PS7_21rocsparse_index_base_SF_SF_SF_bbb,comdat
	.globl	_ZN9rocsparseL41csrgemm_numeric_fill_block_per_row_kernelILj1024ELj64ELj32768ELj137ELj32Ell21rocsparse_complex_numIfEEEvT5_PKS3_S5_NS_24const_host_device_scalarIT6_EEPKT4_S5_PKS7_SB_S5_SD_S8_SB_S5_SD_SB_S5_PS7_21rocsparse_index_base_SF_SF_SF_bbb ; -- Begin function _ZN9rocsparseL41csrgemm_numeric_fill_block_per_row_kernelILj1024ELj64ELj32768ELj137ELj32Ell21rocsparse_complex_numIfEEEvT5_PKS3_S5_NS_24const_host_device_scalarIT6_EEPKT4_S5_PKS7_SB_S5_SD_S8_SB_S5_SD_SB_S5_PS7_21rocsparse_index_base_SF_SF_SF_bbb
	.p2align	8
	.type	_ZN9rocsparseL41csrgemm_numeric_fill_block_per_row_kernelILj1024ELj64ELj32768ELj137ELj32Ell21rocsparse_complex_numIfEEEvT5_PKS3_S5_NS_24const_host_device_scalarIT6_EEPKT4_S5_PKS7_SB_S5_SD_S8_SB_S5_SD_SB_S5_PS7_21rocsparse_index_base_SF_SF_SF_bbb,@function
_ZN9rocsparseL41csrgemm_numeric_fill_block_per_row_kernelILj1024ELj64ELj32768ELj137ELj32Ell21rocsparse_complex_numIfEEEvT5_PKS3_S5_NS_24const_host_device_scalarIT6_EEPKT4_S5_PKS7_SB_S5_SD_S8_SB_S5_SD_SB_S5_PS7_21rocsparse_index_base_SF_SF_SF_bbb: ; @_ZN9rocsparseL41csrgemm_numeric_fill_block_per_row_kernelILj1024ELj64ELj32768ELj137ELj32Ell21rocsparse_complex_numIfEEEvT5_PKS3_S5_NS_24const_host_device_scalarIT6_EEPKT4_S5_PKS7_SB_S5_SD_S8_SB_S5_SD_SB_S5_PS7_21rocsparse_index_base_SF_SF_SF_bbb
; %bb.0:
	s_mov_b32 s28, s15
	s_clause 0x7
	s_load_b32 s29, s[0:1], 0x98
	s_load_b64 s[40:41], s[0:1], 0x70
	s_load_b128 s[20:23], s[0:1], 0x60
	s_load_b256 s[4:11], s[0:1], 0x40
	s_load_b128 s[24:27], s[0:1], 0x8
	s_load_b256 s[12:19], s[0:1], 0x20
	s_load_b64 s[34:35], s[0:1], 0x80
	s_load_b128 s[36:39], s[0:1], 0x88
	s_mov_b32 s3, 0
	s_mov_b32 s31, 0
	s_waitcnt lgkmcnt(0)
	s_bitcmp1_b32 s29, 0
	s_cselect_b32 s46, -1, 0
	s_bitcmp1_b32 s29, 16
	s_cselect_b32 s2, -1, 0
	s_delay_alu instid0(SALU_CYCLE_1) | instskip(SKIP_2) | instid1(VALU_DEP_1)
	s_xor_b32 s30, s2, -1
	s_bitcmp0_b32 s29, 0
	v_cndmask_b32_e64 v1, 0, 1, s30
	v_cmp_ne_u32_e32 vcc_lo, 1, v1
	s_cbranch_scc1 .LBB136_5
; %bb.1:
	s_load_b64 s[2:3], s[0:1], 0x18
	s_and_b32 vcc_lo, exec_lo, vcc_lo
	s_waitcnt lgkmcnt(0)
	s_mov_b32 s31, s2
	s_cbranch_vccnz .LBB136_3
; %bb.2:
	s_load_b32 s31, s[2:3], 0x0
.LBB136_3:
	s_and_not1_b32 vcc_lo, exec_lo, s30
	s_cbranch_vccnz .LBB136_5
; %bb.4:
	s_load_b32 s3, s[2:3], 0x4
.LBB136_5:
	s_bitcmp1_b32 s29, 8
	s_mov_b32 s30, 0
	s_cselect_b32 s33, -1, 0
	s_bfe_u32 s2, s29, 0x10008
	s_delay_alu instid0(SALU_CYCLE_1)
	s_cmp_eq_u32 s2, 0
	s_mov_b32 s2, 0
	s_cbranch_scc1 .LBB136_11
; %bb.6:
	v_cmp_ne_u32_e32 vcc_lo, 1, v1
	s_mov_b32 s2, s8
	s_cbranch_vccnz .LBB136_8
; %bb.7:
	s_load_b32 s2, s[8:9], 0x0
.LBB136_8:
	v_cmp_ne_u32_e32 vcc_lo, 1, v1
	s_cbranch_vccnz .LBB136_10
; %bb.9:
	s_load_b32 s9, s[8:9], 0x4
.LBB136_10:
	s_waitcnt lgkmcnt(0)
	s_mov_b32 s30, s9
.LBB136_11:
	s_load_b64 s[42:43], s[0:1], 0x0
	v_lshl_add_u32 v12, v0, 3, 0
	v_or_b32_e32 v13, 0xfffffc00, v0
	v_mov_b32_e32 v3, 0
	s_mov_b32 s0, 0
	s_delay_alu instid0(VALU_DEP_2)
	v_dual_mov_b32 v4, v12 :: v_dual_mov_b32 v5, v13
	s_waitcnt lgkmcnt(0)
	v_dual_mov_b32 v1, s42 :: v_dual_mov_b32 v2, s43
.LBB136_12:                             ; =>This Inner Loop Header: Depth=1
	s_delay_alu instid0(VALU_DEP_2) | instskip(NEXT) | instid1(VALU_DEP_3)
	v_add_nc_u32_e32 v5, 0x400, v5
	v_add_nc_u32_e32 v6, 0x40000, v4
	ds_store_b64 v4, v[1:2]
	v_add_nc_u32_e32 v4, 0x2000, v4
	v_cmp_lt_u32_e32 vcc_lo, 0x7bff, v5
	ds_store_2addr_b32 v6, v3, v3 offset1:1
	s_or_b32 s0, vcc_lo, s0
	s_delay_alu instid0(SALU_CYCLE_1)
	s_and_not1_b32 exec_lo, exec_lo, s0
	s_cbranch_execnz .LBB136_12
; %bb.13:
	s_or_b32 exec_lo, exec_lo, s0
	s_waitcnt lgkmcnt(0)
	s_barrier
	buffer_gl0_inv
	s_load_b64 s[0:1], s[24:25], 0x0
	s_mov_b32 s29, 0
	s_waitcnt lgkmcnt(0)
	s_lshl_b64 s[0:1], s[0:1], 3
	s_delay_alu instid0(SALU_CYCLE_1) | instskip(SKIP_2) | instid1(SALU_CYCLE_1)
	s_add_u32 s8, s26, s0
	s_addc_u32 s9, s27, s1
	s_lshl_b64 s[0:1], s[28:29], 3
	s_add_u32 s0, s8, s0
	s_addc_u32 s1, s9, s1
	s_and_b32 vcc_lo, exec_lo, s46
	s_load_b64 s[44:45], s[0:1], 0x0
	s_cbranch_vccz .LBB136_33
; %bb.14:
	s_waitcnt lgkmcnt(0)
	s_lshl_b64 s[0:1], s[44:45], 3
	v_lshrrev_b32_e32 v1, 6, v0
	s_add_u32 s0, s12, s0
	s_addc_u32 s1, s13, s1
	s_mov_b32 s8, exec_lo
	s_load_b128 s[24:27], s[0:1], 0x0
	v_sub_co_u32 v1, s0, v1, s36
	s_delay_alu instid0(VALU_DEP_1) | instskip(SKIP_1) | instid1(VALU_DEP_2)
	v_sub_co_ci_u32_e64 v2, null, 0, 0, s0
	s_waitcnt lgkmcnt(0)
	v_add_co_u32 v1, vcc_lo, s24, v1
	s_delay_alu instid0(VALU_DEP_2)
	v_add_co_ci_u32_e32 v2, vcc_lo, s25, v2, vcc_lo
	s_sub_u32 s0, s26, s36
	s_subb_u32 s1, s27, 0
	s_delay_alu instid0(VALU_DEP_1) | instid1(SALU_CYCLE_1)
	v_cmpx_gt_i64_e64 s[0:1], v[1:2]
	s_cbranch_execz .LBB136_32
; %bb.15:
	v_and_b32_e32 v3, 63, v0
	s_mov_b32 s12, s37
	s_delay_alu instid0(VALU_DEP_1) | instskip(NEXT) | instid1(VALU_DEP_1)
	v_sub_co_u32 v11, s9, v3, s37
	v_sub_co_ci_u32_e64 v14, null, 0, 0, s9
	s_mov_b32 s9, 0
	s_branch .LBB136_17
.LBB136_16:                             ;   in Loop: Header=BB136_17 Depth=1
	s_or_b32 exec_lo, exec_lo, s13
	v_add_co_u32 v1, vcc_lo, v1, 16
	v_add_co_ci_u32_e32 v2, vcc_lo, 0, v2, vcc_lo
	s_delay_alu instid0(VALU_DEP_1) | instskip(SKIP_1) | instid1(SALU_CYCLE_1)
	v_cmp_le_i64_e32 vcc_lo, s[0:1], v[1:2]
	s_or_b32 s9, vcc_lo, s9
	s_and_not1_b32 exec_lo, exec_lo, s9
	s_cbranch_execz .LBB136_32
.LBB136_17:                             ; =>This Loop Header: Depth=1
                                        ;     Child Loop BB136_20 Depth 2
                                        ;       Child Loop BB136_22 Depth 3
	v_lshlrev_b64 v[7:8], 3, v[1:2]
	s_mov_b32 s13, exec_lo
	s_delay_alu instid0(VALU_DEP_1) | instskip(NEXT) | instid1(VALU_DEP_2)
	v_add_co_u32 v3, vcc_lo, s14, v7
	v_add_co_ci_u32_e32 v4, vcc_lo, s15, v8, vcc_lo
	global_load_b64 v[3:4], v[3:4], off
	s_waitcnt vmcnt(0)
	v_sub_co_u32 v3, vcc_lo, v3, s36
	v_subrev_co_ci_u32_e32 v4, vcc_lo, 0, v4, vcc_lo
	s_delay_alu instid0(VALU_DEP_1) | instskip(NEXT) | instid1(VALU_DEP_1)
	v_lshlrev_b64 v[3:4], 3, v[3:4]
	v_add_co_u32 v3, vcc_lo, s18, v3
	s_delay_alu instid0(VALU_DEP_2)
	v_add_co_ci_u32_e32 v4, vcc_lo, s19, v4, vcc_lo
	global_load_b128 v[15:18], v[3:4], off
	s_waitcnt vmcnt(0)
	v_sub_co_u32 v3, vcc_lo, v17, s12
	v_subrev_co_ci_u32_e32 v4, vcc_lo, 0, v18, vcc_lo
	v_add_co_u32 v5, vcc_lo, v15, v11
	v_add_co_ci_u32_e32 v6, vcc_lo, v16, v14, vcc_lo
	s_delay_alu instid0(VALU_DEP_1)
	v_cmpx_lt_i64_e64 v[5:6], v[3:4]
	s_cbranch_execz .LBB136_16
; %bb.18:                               ;   in Loop: Header=BB136_17 Depth=1
	v_add_co_u32 v7, vcc_lo, s16, v7
	v_add_co_ci_u32_e32 v8, vcc_lo, s17, v8, vcc_lo
	s_mov_b32 s24, 0
	global_load_b64 v[7:8], v[7:8], off
	s_waitcnt vmcnt(0)
	v_mul_f32_e64 v15, v8, -s3
	s_delay_alu instid0(VALU_DEP_1) | instskip(NEXT) | instid1(VALU_DEP_1)
	v_dual_mul_f32 v16, s31, v8 :: v_dual_fmac_f32 v15, s31, v7
	v_fmac_f32_e32 v16, s3, v7
	s_branch .LBB136_20
.LBB136_19:                             ;   in Loop: Header=BB136_20 Depth=2
	s_or_b32 exec_lo, exec_lo, s25
	v_add_co_u32 v5, vcc_lo, v5, 64
	v_add_co_ci_u32_e32 v6, vcc_lo, 0, v6, vcc_lo
	s_delay_alu instid0(VALU_DEP_1) | instskip(SKIP_1) | instid1(SALU_CYCLE_1)
	v_cmp_ge_i64_e32 vcc_lo, v[5:6], v[3:4]
	s_or_b32 s24, vcc_lo, s24
	s_and_not1_b32 exec_lo, exec_lo, s24
	s_cbranch_execz .LBB136_16
.LBB136_20:                             ;   Parent Loop BB136_17 Depth=1
                                        ; =>  This Loop Header: Depth=2
                                        ;       Child Loop BB136_22 Depth 3
	v_lshlrev_b64 v[7:8], 3, v[5:6]
	s_mov_b32 s25, 0
	s_delay_alu instid0(VALU_DEP_1) | instskip(NEXT) | instid1(VALU_DEP_2)
	v_add_co_u32 v9, vcc_lo, s4, v7
	v_add_co_ci_u32_e32 v10, vcc_lo, s5, v8, vcc_lo
	v_add_co_u32 v7, vcc_lo, s6, v7
	v_add_co_ci_u32_e32 v8, vcc_lo, s7, v8, vcc_lo
	global_load_b64 v[9:10], v[9:10], off
	global_load_b64 v[19:20], v[7:8], off
	s_waitcnt vmcnt(1)
	v_sub_co_u32 v7, vcc_lo, v9, s12
	v_subrev_co_ci_u32_e32 v8, vcc_lo, 0, v10, vcc_lo
	s_waitcnt vmcnt(0)
	v_mul_f32_e64 v17, v20, -v16
	s_delay_alu instid0(VALU_DEP_3) | instskip(SKIP_1) | instid1(VALU_DEP_3)
	v_mul_lo_u32 v9, 0x89, v7
	v_mul_f32_e32 v18, v15, v20
	v_fmac_f32_e32 v17, v15, v19
	s_delay_alu instid0(VALU_DEP_2)
	v_dual_fmac_f32 v18, v16, v19 :: v_dual_and_b32 v19, 0x7fff, v9
	s_branch .LBB136_22
.LBB136_21:                             ;   in Loop: Header=BB136_22 Depth=3
	s_or_b32 exec_lo, exec_lo, s26
	s_xor_b32 s26, s27, -1
	s_delay_alu instid0(SALU_CYCLE_1) | instskip(NEXT) | instid1(SALU_CYCLE_1)
	s_and_b32 s26, exec_lo, s26
	s_or_b32 s25, s26, s25
	s_delay_alu instid0(SALU_CYCLE_1)
	s_and_not1_b32 exec_lo, exec_lo, s25
	s_cbranch_execz .LBB136_19
.LBB136_22:                             ;   Parent Loop BB136_17 Depth=1
                                        ;     Parent Loop BB136_20 Depth=2
                                        ; =>    This Inner Loop Header: Depth=3
	s_delay_alu instid0(VALU_DEP_1)
	v_lshl_add_u32 v20, v19, 3, 0
	s_mov_b32 s26, exec_lo
                                        ; implicit-def: $sgpr27
	ds_load_b64 v[9:10], v20
	s_waitcnt lgkmcnt(0)
	v_cmpx_ne_u64_e64 v[9:10], v[7:8]
	s_xor_b32 s26, exec_lo, s26
	s_cbranch_execz .LBB136_30
; %bb.23:                               ;   in Loop: Header=BB136_22 Depth=3
	s_mov_b32 s28, exec_lo
                                        ; implicit-def: $sgpr27
	v_cmpx_ne_u64_e64 s[42:43], v[9:10]
	s_xor_b32 s28, exec_lo, s28
; %bb.24:                               ;   in Loop: Header=BB136_22 Depth=3
	v_add_nc_u32_e32 v9, 1, v19
	s_mov_b32 s27, -1
                                        ; implicit-def: $vgpr20
	s_delay_alu instid0(VALU_DEP_1)
	v_and_b32_e32 v19, 0x7fff, v9
; %bb.25:                               ;   in Loop: Header=BB136_22 Depth=3
	s_and_not1_saveexec_b32 s28, s28
	s_cbranch_execz .LBB136_29
; %bb.26:                               ;   in Loop: Header=BB136_22 Depth=3
	v_dual_mov_b32 v9, s42 :: v_dual_mov_b32 v10, s43
	s_mov_b32 s37, -1
	s_mov_b32 s29, exec_lo
	ds_cmpstore_rtn_b64 v[9:10], v20, v[7:8], v[9:10]
	s_waitcnt lgkmcnt(0)
	v_cmpx_eq_u64_e64 s[42:43], v[9:10]
	s_cbranch_execz .LBB136_28
; %bb.27:                               ;   in Loop: Header=BB136_22 Depth=3
	v_lshlrev_b32_e32 v9, 3, v19
	s_xor_b32 s37, exec_lo, -1
	s_delay_alu instid0(VALU_DEP_1)
	v_add3_u32 v9, 0, v9, 0x40000
	ds_add_f32 v9, v17
	ds_add_f32 v9, v18 offset:4
.LBB136_28:                             ;   in Loop: Header=BB136_22 Depth=3
	s_or_b32 exec_lo, exec_lo, s29
	s_delay_alu instid0(SALU_CYCLE_1) | instskip(SKIP_1) | instid1(SALU_CYCLE_1)
	s_and_not1_b32 s27, s27, exec_lo
	s_and_b32 s29, s37, exec_lo
	s_or_b32 s27, s27, s29
.LBB136_29:                             ;   in Loop: Header=BB136_22 Depth=3
	s_or_b32 exec_lo, exec_lo, s28
	s_delay_alu instid0(SALU_CYCLE_1)
	s_and_b32 s27, s27, exec_lo
.LBB136_30:                             ;   in Loop: Header=BB136_22 Depth=3
	s_and_not1_saveexec_b32 s26, s26
	s_cbranch_execz .LBB136_21
; %bb.31:                               ;   in Loop: Header=BB136_22 Depth=3
	v_lshlrev_b32_e32 v9, 3, v19
	s_and_not1_b32 s27, s27, exec_lo
	s_delay_alu instid0(VALU_DEP_1)
	v_add3_u32 v9, 0, v9, 0x40000
	ds_add_f32 v9, v17
	ds_add_f32 v9, v18 offset:4
	s_branch .LBB136_21
.LBB136_32:
	s_or_b32 exec_lo, exec_lo, s8
.LBB136_33:
	s_delay_alu instid0(SALU_CYCLE_1)
	s_and_not1_b32 vcc_lo, exec_lo, s33
	s_cbranch_vccnz .LBB136_50
; %bb.34:
	s_waitcnt lgkmcnt(0)
	s_lshl_b64 s[0:1], s[44:45], 3
	s_mov_b32 s3, 0
	s_add_u32 s0, s10, s0
	s_addc_u32 s1, s11, s1
	s_load_b128 s[4:7], s[0:1], 0x0
	v_sub_co_u32 v1, s0, v0, s39
	s_delay_alu instid0(VALU_DEP_1) | instskip(SKIP_1) | instid1(VALU_DEP_2)
	v_sub_co_ci_u32_e64 v2, null, 0, 0, s0
	s_waitcnt lgkmcnt(0)
	v_add_co_u32 v1, vcc_lo, s4, v1
	s_delay_alu instid0(VALU_DEP_2) | instskip(SKIP_3) | instid1(VALU_DEP_1)
	v_add_co_ci_u32_e32 v2, vcc_lo, s5, v2, vcc_lo
	s_sub_u32 s0, s6, s39
	s_subb_u32 s1, s7, 0
	s_mov_b32 s4, exec_lo
	v_cmpx_gt_i64_e64 s[0:1], v[1:2]
	s_cbranch_execz .LBB136_49
; %bb.35:
	s_mov_b32 s5, s39
	s_branch .LBB136_37
.LBB136_36:                             ;   in Loop: Header=BB136_37 Depth=1
	s_or_b32 exec_lo, exec_lo, s6
	v_add_co_u32 v1, vcc_lo, 0x400, v1
	v_add_co_ci_u32_e32 v2, vcc_lo, 0, v2, vcc_lo
	s_delay_alu instid0(VALU_DEP_1) | instskip(SKIP_1) | instid1(SALU_CYCLE_1)
	v_cmp_le_i64_e32 vcc_lo, s[0:1], v[1:2]
	s_or_b32 s3, vcc_lo, s3
	s_and_not1_b32 exec_lo, exec_lo, s3
	s_cbranch_execz .LBB136_49
.LBB136_37:                             ; =>This Loop Header: Depth=1
                                        ;     Child Loop BB136_39 Depth 2
	v_lshlrev_b64 v[3:4], 3, v[1:2]
	s_mov_b32 s6, 0
	s_delay_alu instid0(VALU_DEP_1) | instskip(NEXT) | instid1(VALU_DEP_2)
	v_add_co_u32 v5, vcc_lo, s20, v3
	v_add_co_ci_u32_e32 v6, vcc_lo, s21, v4, vcc_lo
	v_add_co_u32 v3, vcc_lo, s22, v3
	v_add_co_ci_u32_e32 v4, vcc_lo, s23, v4, vcc_lo
	global_load_b64 v[5:6], v[5:6], off
	global_load_b64 v[9:10], v[3:4], off
	s_waitcnt vmcnt(1)
	v_sub_co_u32 v3, vcc_lo, v5, s5
	v_subrev_co_ci_u32_e32 v4, vcc_lo, 0, v6, vcc_lo
	s_waitcnt vmcnt(0)
	v_mul_f32_e64 v7, v10, -s30
	s_delay_alu instid0(VALU_DEP_3) | instskip(NEXT) | instid1(VALU_DEP_2)
	v_mul_lo_u32 v5, 0x89, v3
	v_dual_mul_f32 v8, s2, v10 :: v_dual_fmac_f32 v7, s2, v9
	s_delay_alu instid0(VALU_DEP_1) | instskip(NEXT) | instid1(VALU_DEP_3)
	v_fmac_f32_e32 v8, s30, v9
	v_and_b32_e32 v9, 0x7fff, v5
	s_branch .LBB136_39
.LBB136_38:                             ;   in Loop: Header=BB136_39 Depth=2
	s_or_b32 exec_lo, exec_lo, s7
	s_xor_b32 s7, s8, -1
	s_delay_alu instid0(SALU_CYCLE_1) | instskip(NEXT) | instid1(SALU_CYCLE_1)
	s_and_b32 s7, exec_lo, s7
	s_or_b32 s6, s7, s6
	s_delay_alu instid0(SALU_CYCLE_1)
	s_and_not1_b32 exec_lo, exec_lo, s6
	s_cbranch_execz .LBB136_36
.LBB136_39:                             ;   Parent Loop BB136_37 Depth=1
                                        ; =>  This Inner Loop Header: Depth=2
	s_delay_alu instid0(VALU_DEP_1)
	v_lshl_add_u32 v10, v9, 3, 0
	s_mov_b32 s7, exec_lo
                                        ; implicit-def: $sgpr8
	ds_load_b64 v[5:6], v10
	s_waitcnt lgkmcnt(0)
	v_cmpx_ne_u64_e64 v[5:6], v[3:4]
	s_xor_b32 s7, exec_lo, s7
	s_cbranch_execz .LBB136_47
; %bb.40:                               ;   in Loop: Header=BB136_39 Depth=2
	s_mov_b32 s9, exec_lo
                                        ; implicit-def: $sgpr8
	v_cmpx_ne_u64_e64 s[42:43], v[5:6]
	s_xor_b32 s9, exec_lo, s9
; %bb.41:                               ;   in Loop: Header=BB136_39 Depth=2
	v_add_nc_u32_e32 v5, 1, v9
	s_mov_b32 s8, -1
                                        ; implicit-def: $vgpr10
	s_delay_alu instid0(VALU_DEP_1)
	v_and_b32_e32 v9, 0x7fff, v5
; %bb.42:                               ;   in Loop: Header=BB136_39 Depth=2
	s_and_not1_saveexec_b32 s9, s9
	s_cbranch_execz .LBB136_46
; %bb.43:                               ;   in Loop: Header=BB136_39 Depth=2
	v_dual_mov_b32 v5, s42 :: v_dual_mov_b32 v6, s43
	s_mov_b32 s11, -1
	s_mov_b32 s10, exec_lo
	ds_cmpstore_rtn_b64 v[5:6], v10, v[3:4], v[5:6]
	s_waitcnt lgkmcnt(0)
	v_cmpx_eq_u64_e64 s[42:43], v[5:6]
	s_cbranch_execz .LBB136_45
; %bb.44:                               ;   in Loop: Header=BB136_39 Depth=2
	v_lshlrev_b32_e32 v5, 3, v9
	s_xor_b32 s11, exec_lo, -1
	s_delay_alu instid0(VALU_DEP_1)
	v_add3_u32 v5, 0, v5, 0x40000
	ds_add_f32 v5, v7
	ds_add_f32 v5, v8 offset:4
.LBB136_45:                             ;   in Loop: Header=BB136_39 Depth=2
	s_or_b32 exec_lo, exec_lo, s10
	s_delay_alu instid0(SALU_CYCLE_1) | instskip(SKIP_1) | instid1(SALU_CYCLE_1)
	s_and_not1_b32 s8, s8, exec_lo
	s_and_b32 s10, s11, exec_lo
	s_or_b32 s8, s8, s10
.LBB136_46:                             ;   in Loop: Header=BB136_39 Depth=2
	s_or_b32 exec_lo, exec_lo, s9
	s_delay_alu instid0(SALU_CYCLE_1)
	s_and_b32 s8, s8, exec_lo
.LBB136_47:                             ;   in Loop: Header=BB136_39 Depth=2
	s_and_not1_saveexec_b32 s7, s7
	s_cbranch_execz .LBB136_38
; %bb.48:                               ;   in Loop: Header=BB136_39 Depth=2
	v_lshlrev_b32_e32 v5, 3, v9
	s_and_not1_b32 s8, s8, exec_lo
	s_delay_alu instid0(VALU_DEP_1)
	v_add3_u32 v5, 0, v5, 0x40000
	ds_add_f32 v5, v7
	ds_add_f32 v5, v8 offset:4
	s_branch .LBB136_38
.LBB136_49:
	s_or_b32 exec_lo, exec_lo, s4
.LBB136_50:
	v_mbcnt_lo_u32_b32 v1, -1, 0
	v_lshrrev_b32_e32 v2, 2, v0
	s_add_i32 s71, 0, 0x800f8
	v_cmp_eq_u32_e32 vcc_lo, 0x3ff, v0
	v_cmp_lt_u32_e64 s0, 31, v0
	v_xor_b32_e32 v1, 63, v1
	v_and_b32_e32 v3, 0xf8, v2
	v_cmp_lt_u32_e64 s1, 63, v0
	v_cmp_lt_u32_e64 s2, 0x5f, v0
	;; [unrolled: 1-line block ×3, first 2 shown]
	v_lshrrev_b64 v[1:2], v1, -1
	v_add3_u32 v14, 0, 0x80000, v3
	v_dual_mov_b32 v2, 0 :: v_dual_mov_b32 v5, 0
	v_cmp_lt_u32_e64 s4, 0x9f, v0
	v_cmp_lt_u32_e64 s5, 0xbf, v0
	;; [unrolled: 1-line block ×27, first 2 shown]
	v_mov_b32_e32 v3, 0
	v_mov_b32_e32 v15, s71
	s_mov_b32 s36, 0
	s_add_i32 s37, 0, 0x80000
	s_add_i32 s39, 0, 0x80008
	;; [unrolled: 1-line block ×31, first 2 shown]
	s_waitcnt lgkmcnt(0)
	s_barrier
	buffer_gl0_inv
	s_branch .LBB136_52
.LBB136_51:                             ;   in Loop: Header=BB136_52 Depth=1
	s_or_b32 exec_lo, exec_lo, s31
	s_waitcnt lgkmcnt(0)
	s_barrier
	buffer_gl0_inv
	ds_load_b64 v[6:7], v15
	v_add_nc_u32_e32 v13, 0x400, v13
	v_add_nc_u32_e32 v12, 0x2000, v12
	s_delay_alu instid0(VALU_DEP_2) | instskip(NEXT) | instid1(VALU_DEP_1)
	v_cmp_lt_u32_e64 s31, 0x7bff, v13
	s_or_b32 s36, s31, s36
	s_waitcnt lgkmcnt(0)
	v_add_co_u32 v2, s33, v6, v2
	s_delay_alu instid0(VALU_DEP_1)
	v_add_co_ci_u32_e64 v3, s33, v7, v3, s33
	s_and_not1_b32 exec_lo, exec_lo, s36
	s_cbranch_execz .LBB136_118
.LBB136_52:                             ; =>This Inner Loop Header: Depth=1
	ds_load_b64 v[6:7], v12
	v_add_nc_u32_e32 v4, 0x40000, v12
	ds_load_2addr_b32 v[8:9], v4 offset1:1
	s_waitcnt lgkmcnt(0)
	s_barrier
	buffer_gl0_inv
	v_cmp_gt_i64_e64 s31, s[42:43], v[6:7]
	s_delay_alu instid0(VALU_DEP_1) | instskip(SKIP_1) | instid1(SALU_CYCLE_1)
	v_and_b32_e32 v10, s31, v1
	s_bcnt1_i32_b32 s33, s31
	v_mov_b32_e32 v4, s33
	s_delay_alu instid0(VALU_DEP_2)
	v_bcnt_u32_b32 v10, v10, 0
	ds_store_b64 v14, v[4:5]
	s_waitcnt lgkmcnt(0)
	s_barrier
	buffer_gl0_inv
	s_and_saveexec_b32 s33, s0
	s_cbranch_execnz .LBB136_85
; %bb.53:                               ;   in Loop: Header=BB136_52 Depth=1
	s_or_b32 exec_lo, exec_lo, s33
	s_and_saveexec_b32 s33, s1
	s_cbranch_execnz .LBB136_86
.LBB136_54:                             ;   in Loop: Header=BB136_52 Depth=1
	s_or_b32 exec_lo, exec_lo, s33
	s_and_saveexec_b32 s33, s2
	s_cbranch_execnz .LBB136_87
.LBB136_55:                             ;   in Loop: Header=BB136_52 Depth=1
	s_or_b32 exec_lo, exec_lo, s33
	s_and_saveexec_b32 s33, s3
	s_cbranch_execnz .LBB136_88
.LBB136_56:                             ;   in Loop: Header=BB136_52 Depth=1
	s_or_b32 exec_lo, exec_lo, s33
	s_and_saveexec_b32 s33, s4
	s_cbranch_execnz .LBB136_89
.LBB136_57:                             ;   in Loop: Header=BB136_52 Depth=1
	s_or_b32 exec_lo, exec_lo, s33
	s_and_saveexec_b32 s33, s5
	s_cbranch_execnz .LBB136_90
.LBB136_58:                             ;   in Loop: Header=BB136_52 Depth=1
	s_or_b32 exec_lo, exec_lo, s33
	s_and_saveexec_b32 s33, s6
	s_cbranch_execnz .LBB136_91
.LBB136_59:                             ;   in Loop: Header=BB136_52 Depth=1
	s_or_b32 exec_lo, exec_lo, s33
	s_and_saveexec_b32 s33, s7
	s_cbranch_execnz .LBB136_92
.LBB136_60:                             ;   in Loop: Header=BB136_52 Depth=1
	s_or_b32 exec_lo, exec_lo, s33
	s_and_saveexec_b32 s33, s8
	s_cbranch_execnz .LBB136_93
.LBB136_61:                             ;   in Loop: Header=BB136_52 Depth=1
	s_or_b32 exec_lo, exec_lo, s33
	s_and_saveexec_b32 s33, s9
	s_cbranch_execnz .LBB136_94
.LBB136_62:                             ;   in Loop: Header=BB136_52 Depth=1
	s_or_b32 exec_lo, exec_lo, s33
	s_and_saveexec_b32 s33, s10
	s_cbranch_execnz .LBB136_95
.LBB136_63:                             ;   in Loop: Header=BB136_52 Depth=1
	s_or_b32 exec_lo, exec_lo, s33
	s_and_saveexec_b32 s33, s11
	s_cbranch_execnz .LBB136_96
.LBB136_64:                             ;   in Loop: Header=BB136_52 Depth=1
	s_or_b32 exec_lo, exec_lo, s33
	s_and_saveexec_b32 s33, s12
	s_cbranch_execnz .LBB136_97
.LBB136_65:                             ;   in Loop: Header=BB136_52 Depth=1
	s_or_b32 exec_lo, exec_lo, s33
	s_and_saveexec_b32 s33, s13
	s_cbranch_execnz .LBB136_98
.LBB136_66:                             ;   in Loop: Header=BB136_52 Depth=1
	s_or_b32 exec_lo, exec_lo, s33
	s_and_saveexec_b32 s33, s14
	s_cbranch_execnz .LBB136_99
.LBB136_67:                             ;   in Loop: Header=BB136_52 Depth=1
	s_or_b32 exec_lo, exec_lo, s33
	s_and_saveexec_b32 s33, s15
	s_cbranch_execnz .LBB136_100
.LBB136_68:                             ;   in Loop: Header=BB136_52 Depth=1
	s_or_b32 exec_lo, exec_lo, s33
	s_and_saveexec_b32 s33, s16
	s_cbranch_execnz .LBB136_101
.LBB136_69:                             ;   in Loop: Header=BB136_52 Depth=1
	s_or_b32 exec_lo, exec_lo, s33
	s_and_saveexec_b32 s33, s17
	s_cbranch_execnz .LBB136_102
.LBB136_70:                             ;   in Loop: Header=BB136_52 Depth=1
	s_or_b32 exec_lo, exec_lo, s33
	s_and_saveexec_b32 s33, s18
	s_cbranch_execnz .LBB136_103
.LBB136_71:                             ;   in Loop: Header=BB136_52 Depth=1
	s_or_b32 exec_lo, exec_lo, s33
	s_and_saveexec_b32 s33, s19
	s_cbranch_execnz .LBB136_104
.LBB136_72:                             ;   in Loop: Header=BB136_52 Depth=1
	s_or_b32 exec_lo, exec_lo, s33
	s_and_saveexec_b32 s33, s20
	s_cbranch_execnz .LBB136_105
.LBB136_73:                             ;   in Loop: Header=BB136_52 Depth=1
	s_or_b32 exec_lo, exec_lo, s33
	s_and_saveexec_b32 s33, s21
	s_cbranch_execnz .LBB136_106
.LBB136_74:                             ;   in Loop: Header=BB136_52 Depth=1
	s_or_b32 exec_lo, exec_lo, s33
	s_and_saveexec_b32 s33, s22
	s_cbranch_execnz .LBB136_107
.LBB136_75:                             ;   in Loop: Header=BB136_52 Depth=1
	s_or_b32 exec_lo, exec_lo, s33
	s_and_saveexec_b32 s33, s23
	s_cbranch_execnz .LBB136_108
.LBB136_76:                             ;   in Loop: Header=BB136_52 Depth=1
	s_or_b32 exec_lo, exec_lo, s33
	s_and_saveexec_b32 s33, s24
	s_cbranch_execnz .LBB136_109
.LBB136_77:                             ;   in Loop: Header=BB136_52 Depth=1
	s_or_b32 exec_lo, exec_lo, s33
	s_and_saveexec_b32 s33, s25
	s_cbranch_execnz .LBB136_110
.LBB136_78:                             ;   in Loop: Header=BB136_52 Depth=1
	s_or_b32 exec_lo, exec_lo, s33
	s_and_saveexec_b32 s33, s26
	s_cbranch_execnz .LBB136_111
.LBB136_79:                             ;   in Loop: Header=BB136_52 Depth=1
	s_or_b32 exec_lo, exec_lo, s33
	s_and_saveexec_b32 s33, s27
	s_cbranch_execnz .LBB136_112
.LBB136_80:                             ;   in Loop: Header=BB136_52 Depth=1
	s_or_b32 exec_lo, exec_lo, s33
	s_and_saveexec_b32 s33, s28
	s_cbranch_execnz .LBB136_113
.LBB136_81:                             ;   in Loop: Header=BB136_52 Depth=1
	s_or_b32 exec_lo, exec_lo, s33
	s_and_saveexec_b32 s33, s29
	s_cbranch_execnz .LBB136_114
.LBB136_82:                             ;   in Loop: Header=BB136_52 Depth=1
	s_or_b32 exec_lo, exec_lo, s33
	s_and_saveexec_b32 s33, s30
	s_cbranch_execnz .LBB136_115
.LBB136_83:                             ;   in Loop: Header=BB136_52 Depth=1
	s_or_b32 exec_lo, exec_lo, s33
	v_ashrrev_i32_e32 v11, 31, v10
	s_and_saveexec_b32 s33, s31
	s_cbranch_execnz .LBB136_116
.LBB136_84:                             ;   in Loop: Header=BB136_52 Depth=1
	s_or_b32 exec_lo, exec_lo, s33
	s_and_saveexec_b32 s31, vcc_lo
	s_cbranch_execz .LBB136_51
	s_branch .LBB136_117
.LBB136_85:                             ;   in Loop: Header=BB136_52 Depth=1
	v_mov_b32_e32 v4, s37
	ds_load_b32 v4, v4
	s_waitcnt lgkmcnt(0)
	v_add_nc_u32_e32 v10, v4, v10
	s_or_b32 exec_lo, exec_lo, s33
	s_and_saveexec_b32 s33, s1
	s_cbranch_execz .LBB136_54
.LBB136_86:                             ;   in Loop: Header=BB136_52 Depth=1
	v_mov_b32_e32 v4, s39
	ds_load_b32 v4, v4
	s_waitcnt lgkmcnt(0)
	v_add_nc_u32_e32 v10, v10, v4
	s_or_b32 exec_lo, exec_lo, s33
	s_and_saveexec_b32 s33, s2
	s_cbranch_execz .LBB136_55
.LBB136_87:                             ;   in Loop: Header=BB136_52 Depth=1
	v_mov_b32_e32 v4, s46
	ds_load_b32 v4, v4
	s_waitcnt lgkmcnt(0)
	v_add_nc_u32_e32 v10, v10, v4
	s_or_b32 exec_lo, exec_lo, s33
	s_and_saveexec_b32 s33, s3
	s_cbranch_execz .LBB136_56
.LBB136_88:                             ;   in Loop: Header=BB136_52 Depth=1
	v_mov_b32_e32 v4, s47
	ds_load_b32 v4, v4
	s_waitcnt lgkmcnt(0)
	v_add_nc_u32_e32 v10, v10, v4
	s_or_b32 exec_lo, exec_lo, s33
	s_and_saveexec_b32 s33, s4
	s_cbranch_execz .LBB136_57
.LBB136_89:                             ;   in Loop: Header=BB136_52 Depth=1
	v_mov_b32_e32 v4, s48
	ds_load_b32 v4, v4
	s_waitcnt lgkmcnt(0)
	v_add_nc_u32_e32 v10, v10, v4
	s_or_b32 exec_lo, exec_lo, s33
	s_and_saveexec_b32 s33, s5
	s_cbranch_execz .LBB136_58
.LBB136_90:                             ;   in Loop: Header=BB136_52 Depth=1
	v_mov_b32_e32 v4, s49
	ds_load_b32 v4, v4
	s_waitcnt lgkmcnt(0)
	v_add_nc_u32_e32 v10, v10, v4
	s_or_b32 exec_lo, exec_lo, s33
	s_and_saveexec_b32 s33, s6
	s_cbranch_execz .LBB136_59
.LBB136_91:                             ;   in Loop: Header=BB136_52 Depth=1
	v_mov_b32_e32 v4, s50
	ds_load_b32 v4, v4
	s_waitcnt lgkmcnt(0)
	v_add_nc_u32_e32 v10, v10, v4
	s_or_b32 exec_lo, exec_lo, s33
	s_and_saveexec_b32 s33, s7
	s_cbranch_execz .LBB136_60
.LBB136_92:                             ;   in Loop: Header=BB136_52 Depth=1
	v_mov_b32_e32 v4, s51
	ds_load_b32 v4, v4
	s_waitcnt lgkmcnt(0)
	v_add_nc_u32_e32 v10, v10, v4
	s_or_b32 exec_lo, exec_lo, s33
	s_and_saveexec_b32 s33, s8
	s_cbranch_execz .LBB136_61
.LBB136_93:                             ;   in Loop: Header=BB136_52 Depth=1
	v_mov_b32_e32 v4, s52
	ds_load_b32 v4, v4
	s_waitcnt lgkmcnt(0)
	v_add_nc_u32_e32 v10, v10, v4
	s_or_b32 exec_lo, exec_lo, s33
	s_and_saveexec_b32 s33, s9
	s_cbranch_execz .LBB136_62
.LBB136_94:                             ;   in Loop: Header=BB136_52 Depth=1
	v_mov_b32_e32 v4, s53
	ds_load_b32 v4, v4
	s_waitcnt lgkmcnt(0)
	v_add_nc_u32_e32 v10, v10, v4
	s_or_b32 exec_lo, exec_lo, s33
	s_and_saveexec_b32 s33, s10
	s_cbranch_execz .LBB136_63
.LBB136_95:                             ;   in Loop: Header=BB136_52 Depth=1
	v_mov_b32_e32 v4, s54
	ds_load_b32 v4, v4
	s_waitcnt lgkmcnt(0)
	v_add_nc_u32_e32 v10, v10, v4
	s_or_b32 exec_lo, exec_lo, s33
	s_and_saveexec_b32 s33, s11
	s_cbranch_execz .LBB136_64
.LBB136_96:                             ;   in Loop: Header=BB136_52 Depth=1
	v_mov_b32_e32 v4, s55
	ds_load_b32 v4, v4
	s_waitcnt lgkmcnt(0)
	v_add_nc_u32_e32 v10, v10, v4
	s_or_b32 exec_lo, exec_lo, s33
	s_and_saveexec_b32 s33, s12
	s_cbranch_execz .LBB136_65
.LBB136_97:                             ;   in Loop: Header=BB136_52 Depth=1
	v_mov_b32_e32 v4, s56
	ds_load_b32 v4, v4
	s_waitcnt lgkmcnt(0)
	v_add_nc_u32_e32 v10, v10, v4
	s_or_b32 exec_lo, exec_lo, s33
	s_and_saveexec_b32 s33, s13
	s_cbranch_execz .LBB136_66
.LBB136_98:                             ;   in Loop: Header=BB136_52 Depth=1
	v_mov_b32_e32 v4, s57
	ds_load_b32 v4, v4
	s_waitcnt lgkmcnt(0)
	v_add_nc_u32_e32 v10, v10, v4
	s_or_b32 exec_lo, exec_lo, s33
	s_and_saveexec_b32 s33, s14
	s_cbranch_execz .LBB136_67
.LBB136_99:                             ;   in Loop: Header=BB136_52 Depth=1
	v_mov_b32_e32 v4, s58
	ds_load_b32 v4, v4
	s_waitcnt lgkmcnt(0)
	v_add_nc_u32_e32 v10, v10, v4
	s_or_b32 exec_lo, exec_lo, s33
	s_and_saveexec_b32 s33, s15
	s_cbranch_execz .LBB136_68
.LBB136_100:                            ;   in Loop: Header=BB136_52 Depth=1
	v_mov_b32_e32 v4, s59
	ds_load_b32 v4, v4
	s_waitcnt lgkmcnt(0)
	v_add_nc_u32_e32 v10, v10, v4
	s_or_b32 exec_lo, exec_lo, s33
	s_and_saveexec_b32 s33, s16
	s_cbranch_execz .LBB136_69
.LBB136_101:                            ;   in Loop: Header=BB136_52 Depth=1
	v_mov_b32_e32 v4, s60
	ds_load_b32 v4, v4
	s_waitcnt lgkmcnt(0)
	v_add_nc_u32_e32 v10, v10, v4
	s_or_b32 exec_lo, exec_lo, s33
	s_and_saveexec_b32 s33, s17
	s_cbranch_execz .LBB136_70
.LBB136_102:                            ;   in Loop: Header=BB136_52 Depth=1
	v_mov_b32_e32 v4, s61
	ds_load_b32 v4, v4
	s_waitcnt lgkmcnt(0)
	v_add_nc_u32_e32 v10, v10, v4
	s_or_b32 exec_lo, exec_lo, s33
	s_and_saveexec_b32 s33, s18
	s_cbranch_execz .LBB136_71
.LBB136_103:                            ;   in Loop: Header=BB136_52 Depth=1
	v_mov_b32_e32 v4, s62
	ds_load_b32 v4, v4
	s_waitcnt lgkmcnt(0)
	v_add_nc_u32_e32 v10, v10, v4
	s_or_b32 exec_lo, exec_lo, s33
	s_and_saveexec_b32 s33, s19
	s_cbranch_execz .LBB136_72
.LBB136_104:                            ;   in Loop: Header=BB136_52 Depth=1
	v_mov_b32_e32 v4, s63
	ds_load_b32 v4, v4
	s_waitcnt lgkmcnt(0)
	v_add_nc_u32_e32 v10, v10, v4
	s_or_b32 exec_lo, exec_lo, s33
	s_and_saveexec_b32 s33, s20
	s_cbranch_execz .LBB136_73
.LBB136_105:                            ;   in Loop: Header=BB136_52 Depth=1
	v_mov_b32_e32 v4, s64
	ds_load_b32 v4, v4
	s_waitcnt lgkmcnt(0)
	v_add_nc_u32_e32 v10, v10, v4
	s_or_b32 exec_lo, exec_lo, s33
	s_and_saveexec_b32 s33, s21
	s_cbranch_execz .LBB136_74
.LBB136_106:                            ;   in Loop: Header=BB136_52 Depth=1
	v_mov_b32_e32 v4, s65
	ds_load_b32 v4, v4
	s_waitcnt lgkmcnt(0)
	v_add_nc_u32_e32 v10, v10, v4
	s_or_b32 exec_lo, exec_lo, s33
	s_and_saveexec_b32 s33, s22
	s_cbranch_execz .LBB136_75
.LBB136_107:                            ;   in Loop: Header=BB136_52 Depth=1
	v_mov_b32_e32 v4, s66
	ds_load_b32 v4, v4
	s_waitcnt lgkmcnt(0)
	v_add_nc_u32_e32 v10, v10, v4
	s_or_b32 exec_lo, exec_lo, s33
	s_and_saveexec_b32 s33, s23
	s_cbranch_execz .LBB136_76
.LBB136_108:                            ;   in Loop: Header=BB136_52 Depth=1
	v_mov_b32_e32 v4, s67
	ds_load_b32 v4, v4
	s_waitcnt lgkmcnt(0)
	v_add_nc_u32_e32 v10, v10, v4
	s_or_b32 exec_lo, exec_lo, s33
	s_and_saveexec_b32 s33, s24
	s_cbranch_execz .LBB136_77
.LBB136_109:                            ;   in Loop: Header=BB136_52 Depth=1
	v_mov_b32_e32 v4, s68
	ds_load_b32 v4, v4
	s_waitcnt lgkmcnt(0)
	v_add_nc_u32_e32 v10, v10, v4
	s_or_b32 exec_lo, exec_lo, s33
	s_and_saveexec_b32 s33, s25
	s_cbranch_execz .LBB136_78
.LBB136_110:                            ;   in Loop: Header=BB136_52 Depth=1
	v_mov_b32_e32 v4, s69
	ds_load_b32 v4, v4
	s_waitcnt lgkmcnt(0)
	v_add_nc_u32_e32 v10, v10, v4
	s_or_b32 exec_lo, exec_lo, s33
	s_and_saveexec_b32 s33, s26
	s_cbranch_execz .LBB136_79
.LBB136_111:                            ;   in Loop: Header=BB136_52 Depth=1
	v_mov_b32_e32 v4, s70
	ds_load_b32 v4, v4
	s_waitcnt lgkmcnt(0)
	v_add_nc_u32_e32 v10, v10, v4
	s_or_b32 exec_lo, exec_lo, s33
	s_and_saveexec_b32 s33, s27
	s_cbranch_execz .LBB136_80
.LBB136_112:                            ;   in Loop: Header=BB136_52 Depth=1
	v_mov_b32_e32 v4, s72
	ds_load_b32 v4, v4
	s_waitcnt lgkmcnt(0)
	v_add_nc_u32_e32 v10, v10, v4
	s_or_b32 exec_lo, exec_lo, s33
	s_and_saveexec_b32 s33, s28
	s_cbranch_execz .LBB136_81
.LBB136_113:                            ;   in Loop: Header=BB136_52 Depth=1
	v_mov_b32_e32 v4, s73
	ds_load_b32 v4, v4
	s_waitcnt lgkmcnt(0)
	v_add_nc_u32_e32 v10, v10, v4
	s_or_b32 exec_lo, exec_lo, s33
	s_and_saveexec_b32 s33, s29
	s_cbranch_execz .LBB136_82
.LBB136_114:                            ;   in Loop: Header=BB136_52 Depth=1
	v_mov_b32_e32 v4, s74
	ds_load_b32 v4, v4
	s_waitcnt lgkmcnt(0)
	v_add_nc_u32_e32 v10, v10, v4
	s_or_b32 exec_lo, exec_lo, s33
	s_and_saveexec_b32 s33, s30
	s_cbranch_execz .LBB136_83
.LBB136_115:                            ;   in Loop: Header=BB136_52 Depth=1
	v_mov_b32_e32 v4, s75
	ds_load_b32 v4, v4
	s_waitcnt lgkmcnt(0)
	v_add_nc_u32_e32 v10, v10, v4
	s_or_b32 exec_lo, exec_lo, s33
	s_delay_alu instid0(VALU_DEP_1)
	v_ashrrev_i32_e32 v11, 31, v10
	s_and_saveexec_b32 s33, s31
	s_cbranch_execz .LBB136_84
.LBB136_116:                            ;   in Loop: Header=BB136_52 Depth=1
	v_add3_u32 v4, v2, -1, v10
	s_delay_alu instid0(VALU_DEP_1) | instskip(NEXT) | instid1(VALU_DEP_1)
	v_lshl_add_u32 v4, v4, 3, 0
	v_add_nc_u32_e32 v16, 0x40000, v4
	ds_store_b64 v4, v[6:7]
	ds_store_2addr_b32 v16, v8, v9 offset1:1
	s_or_b32 exec_lo, exec_lo, s33
	s_and_saveexec_b32 s31, vcc_lo
	s_cbranch_execz .LBB136_51
.LBB136_117:                            ;   in Loop: Header=BB136_52 Depth=1
	v_mov_b32_e32 v4, s71
	ds_store_b64 v4, v[10:11]
	s_branch .LBB136_51
.LBB136_118:
	s_or_b32 exec_lo, exec_lo, s36
	s_lshl_b64 s[0:1], s[44:45], 3
	v_mov_b32_e32 v1, 0
	s_add_u32 s0, s40, s0
	s_addc_u32 s1, s41, s1
	s_mov_b32 s6, exec_lo
	s_load_b128 s[0:3], s[0:1], 0x0
	s_waitcnt lgkmcnt(0)
	s_sub_u32 s4, s2, s0
	s_subb_u32 s5, s3, s1
	s_delay_alu instid0(SALU_CYCLE_1)
	v_cmpx_gt_i64_e64 s[4:5], v[0:1]
	s_cbranch_execz .LBB136_128
; %bb.119:
	s_sub_u32 s8, s0, s38
	s_subb_u32 s9, s1, 0
	s_and_b32 s6, s4, 7
	s_sub_u32 s0, s0, s2
	s_subb_u32 s1, s1, s3
	s_mov_b32 s7, 0
	v_cmp_lt_u64_e64 s12, s[0:1], -7
	s_and_b32 s2, s4, -8
	s_cmp_lg_u64 s[6:7], 0
	s_mov_b32 s3, s5
	s_cselect_b32 s13, -1, 0
	s_mov_b32 s14, s7
	s_branch .LBB136_121
.LBB136_120:                            ;   in Loop: Header=BB136_121 Depth=1
	v_add_co_u32 v0, vcc_lo, 0x400, v0
	v_add_co_ci_u32_e32 v1, vcc_lo, 0, v1, vcc_lo
	s_waitcnt lgkmcnt(1)
	v_lshlrev_b64 v[4:5], 3, v[6:7]
	s_delay_alu instid0(VALU_DEP_2) | instskip(NEXT) | instid1(VALU_DEP_2)
	v_cmp_le_i64_e32 vcc_lo, s[4:5], v[0:1]
	v_add_co_u32 v4, s0, s34, v4
	s_delay_alu instid0(VALU_DEP_1)
	v_add_co_ci_u32_e64 v5, s0, s35, v5, s0
	s_or_b32 s14, vcc_lo, s14
	s_waitcnt lgkmcnt(0)
	global_store_b64 v[4:5], v[2:3], off
	s_and_not1_b32 exec_lo, exec_lo, s14
	s_cbranch_execz .LBB136_128
.LBB136_121:                            ; =>This Loop Header: Depth=1
                                        ;     Child Loop BB136_123 Depth 2
                                        ;     Child Loop BB136_127 Depth 2
	v_lshl_add_u32 v2, v0, 3, 0
	s_and_not1_b32 vcc_lo, exec_lo, s12
	s_mov_b64 s[0:1], 0
	v_dual_mov_b32 v6, s8 :: v_dual_mov_b32 v7, s9
	s_delay_alu instid0(VALU_DEP_2)
	v_add_nc_u32_e32 v3, 0x40000, v2
	ds_load_b64 v[4:5], v2
	ds_load_2addr_b32 v[2:3], v3 offset1:1
	s_cbranch_vccnz .LBB136_125
; %bb.122:                              ;   in Loop: Header=BB136_121 Depth=1
	v_dual_mov_b32 v6, s8 :: v_dual_mov_b32 v7, s9
	s_mov_b64 s[10:11], 0
	s_mov_b32 s1, 0
.LBB136_123:                            ;   Parent Loop BB136_121 Depth=1
                                        ; =>  This Inner Loop Header: Depth=2
	s_delay_alu instid0(SALU_CYCLE_1)
	v_mov_b32_e32 v20, s1
	s_add_u32 s10, s10, 8
	s_addc_u32 s11, s11, 0
	s_add_i32 s1, s1, 64
	s_cmp_eq_u64 s[2:3], s[10:11]
	ds_load_2addr_b64 v[8:11], v20 offset1:1
	ds_load_2addr_b64 v[12:15], v20 offset0:2 offset1:3
	ds_load_2addr_b64 v[16:19], v20 offset0:4 offset1:5
	;; [unrolled: 1-line block ×3, first 2 shown]
	s_waitcnt lgkmcnt(3)
	v_cmp_gt_i64_e32 vcc_lo, v[4:5], v[8:9]
	v_cndmask_b32_e64 v8, 0, 1, vcc_lo
	v_cmp_gt_i64_e32 vcc_lo, v[4:5], v[10:11]
	v_cndmask_b32_e64 v9, 0, 1, vcc_lo
	s_waitcnt lgkmcnt(2)
	v_cmp_gt_i64_e32 vcc_lo, v[4:5], v[12:13]
	v_cndmask_b32_e64 v10, 0, 1, vcc_lo
	v_cmp_gt_i64_e32 vcc_lo, v[4:5], v[14:15]
	v_cndmask_b32_e64 v11, 0, 1, vcc_lo
	s_waitcnt lgkmcnt(1)
	v_cmp_gt_i64_e32 vcc_lo, v[4:5], v[16:17]
	v_cndmask_b32_e64 v12, 0, 1, vcc_lo
	v_add_co_u32 v6, vcc_lo, v6, v8
	v_add_co_ci_u32_e32 v7, vcc_lo, 0, v7, vcc_lo
	v_cmp_gt_i64_e32 vcc_lo, v[4:5], v[18:19]
	s_delay_alu instid0(VALU_DEP_3) | instskip(NEXT) | instid1(VALU_DEP_1)
	v_add_co_u32 v6, s0, v6, v9
	v_add_co_ci_u32_e64 v7, s0, 0, v7, s0
	v_cndmask_b32_e64 v8, 0, 1, vcc_lo
	s_delay_alu instid0(VALU_DEP_3) | instskip(NEXT) | instid1(VALU_DEP_3)
	v_add_co_u32 v6, vcc_lo, v6, v10
	v_add_co_ci_u32_e32 v7, vcc_lo, 0, v7, vcc_lo
	s_waitcnt lgkmcnt(0)
	v_cmp_gt_i64_e32 vcc_lo, v[4:5], v[20:21]
	s_delay_alu instid0(VALU_DEP_3) | instskip(NEXT) | instid1(VALU_DEP_1)
	v_add_co_u32 v6, s0, v6, v11
	v_add_co_ci_u32_e64 v7, s0, 0, v7, s0
	v_cndmask_b32_e64 v9, 0, 1, vcc_lo
	s_delay_alu instid0(VALU_DEP_3) | instskip(NEXT) | instid1(VALU_DEP_3)
	v_add_co_u32 v6, vcc_lo, v6, v12
	v_add_co_ci_u32_e32 v7, vcc_lo, 0, v7, vcc_lo
	v_cmp_gt_i64_e32 vcc_lo, v[4:5], v[22:23]
	s_delay_alu instid0(VALU_DEP_3) | instskip(NEXT) | instid1(VALU_DEP_1)
	v_add_co_u32 v6, s0, v6, v8
	v_add_co_ci_u32_e64 v7, s0, 0, v7, s0
	v_cndmask_b32_e64 v8, 0, 1, vcc_lo
	s_delay_alu instid0(VALU_DEP_3) | instskip(NEXT) | instid1(VALU_DEP_3)
	v_add_co_u32 v6, vcc_lo, v6, v9
	v_add_co_ci_u32_e32 v7, vcc_lo, 0, v7, vcc_lo
	s_delay_alu instid0(VALU_DEP_2) | instskip(NEXT) | instid1(VALU_DEP_2)
	v_add_co_u32 v6, vcc_lo, v6, v8
	v_add_co_ci_u32_e32 v7, vcc_lo, 0, v7, vcc_lo
	s_cbranch_scc0 .LBB136_123
; %bb.124:                              ;   in Loop: Header=BB136_121 Depth=1
	s_mov_b64 s[0:1], s[2:3]
.LBB136_125:                            ;   in Loop: Header=BB136_121 Depth=1
	s_and_not1_b32 vcc_lo, exec_lo, s13
	s_cbranch_vccnz .LBB136_120
; %bb.126:                              ;   in Loop: Header=BB136_121 Depth=1
	s_lshl_b32 s0, s0, 3
	s_delay_alu instid0(SALU_CYCLE_1)
	s_add_i32 s10, s0, 0
	s_mov_b64 s[0:1], s[6:7]
.LBB136_127:                            ;   Parent Loop BB136_121 Depth=1
                                        ; =>  This Inner Loop Header: Depth=2
	v_mov_b32_e32 v8, s10
	s_add_i32 s10, s10, 8
	s_add_u32 s0, s0, -1
	s_addc_u32 s1, s1, -1
	s_delay_alu instid0(SALU_CYCLE_1) | instskip(SKIP_4) | instid1(VALU_DEP_1)
	s_cmp_lg_u64 s[0:1], 0
	ds_load_b64 v[8:9], v8
	s_waitcnt lgkmcnt(0)
	v_cmp_gt_i64_e32 vcc_lo, v[4:5], v[8:9]
	v_cndmask_b32_e64 v8, 0, 1, vcc_lo
	v_add_co_u32 v6, vcc_lo, v6, v8
	v_add_co_ci_u32_e32 v7, vcc_lo, 0, v7, vcc_lo
	s_cbranch_scc1 .LBB136_127
	s_branch .LBB136_120
.LBB136_128:
	s_nop 0
	s_sendmsg sendmsg(MSG_DEALLOC_VGPRS)
	s_endpgm
	.section	.rodata,"a",@progbits
	.p2align	6, 0x0
	.amdhsa_kernel _ZN9rocsparseL41csrgemm_numeric_fill_block_per_row_kernelILj1024ELj64ELj32768ELj137ELj32Ell21rocsparse_complex_numIfEEEvT5_PKS3_S5_NS_24const_host_device_scalarIT6_EEPKT4_S5_PKS7_SB_S5_SD_S8_SB_S5_SD_SB_S5_PS7_21rocsparse_index_base_SF_SF_SF_bbb
		.amdhsa_group_segment_fixed_size 0
		.amdhsa_private_segment_fixed_size 0
		.amdhsa_kernarg_size 156
		.amdhsa_user_sgpr_count 15
		.amdhsa_user_sgpr_dispatch_ptr 0
		.amdhsa_user_sgpr_queue_ptr 0
		.amdhsa_user_sgpr_kernarg_segment_ptr 1
		.amdhsa_user_sgpr_dispatch_id 0
		.amdhsa_user_sgpr_private_segment_size 0
		.amdhsa_wavefront_size32 1
		.amdhsa_uses_dynamic_stack 0
		.amdhsa_enable_private_segment 0
		.amdhsa_system_sgpr_workgroup_id_x 1
		.amdhsa_system_sgpr_workgroup_id_y 0
		.amdhsa_system_sgpr_workgroup_id_z 0
		.amdhsa_system_sgpr_workgroup_info 0
		.amdhsa_system_vgpr_workitem_id 0
		.amdhsa_next_free_vgpr 24
		.amdhsa_next_free_sgpr 76
		.amdhsa_reserve_vcc 1
		.amdhsa_float_round_mode_32 0
		.amdhsa_float_round_mode_16_64 0
		.amdhsa_float_denorm_mode_32 3
		.amdhsa_float_denorm_mode_16_64 3
		.amdhsa_dx10_clamp 1
		.amdhsa_ieee_mode 1
		.amdhsa_fp16_overflow 0
		.amdhsa_workgroup_processor_mode 1
		.amdhsa_memory_ordered 1
		.amdhsa_forward_progress 0
		.amdhsa_shared_vgpr_count 0
		.amdhsa_exception_fp_ieee_invalid_op 0
		.amdhsa_exception_fp_denorm_src 0
		.amdhsa_exception_fp_ieee_div_zero 0
		.amdhsa_exception_fp_ieee_overflow 0
		.amdhsa_exception_fp_ieee_underflow 0
		.amdhsa_exception_fp_ieee_inexact 0
		.amdhsa_exception_int_div_zero 0
	.end_amdhsa_kernel
	.section	.text._ZN9rocsparseL41csrgemm_numeric_fill_block_per_row_kernelILj1024ELj64ELj32768ELj137ELj32Ell21rocsparse_complex_numIfEEEvT5_PKS3_S5_NS_24const_host_device_scalarIT6_EEPKT4_S5_PKS7_SB_S5_SD_S8_SB_S5_SD_SB_S5_PS7_21rocsparse_index_base_SF_SF_SF_bbb,"axG",@progbits,_ZN9rocsparseL41csrgemm_numeric_fill_block_per_row_kernelILj1024ELj64ELj32768ELj137ELj32Ell21rocsparse_complex_numIfEEEvT5_PKS3_S5_NS_24const_host_device_scalarIT6_EEPKT4_S5_PKS7_SB_S5_SD_S8_SB_S5_SD_SB_S5_PS7_21rocsparse_index_base_SF_SF_SF_bbb,comdat
.Lfunc_end136:
	.size	_ZN9rocsparseL41csrgemm_numeric_fill_block_per_row_kernelILj1024ELj64ELj32768ELj137ELj32Ell21rocsparse_complex_numIfEEEvT5_PKS3_S5_NS_24const_host_device_scalarIT6_EEPKT4_S5_PKS7_SB_S5_SD_S8_SB_S5_SD_SB_S5_PS7_21rocsparse_index_base_SF_SF_SF_bbb, .Lfunc_end136-_ZN9rocsparseL41csrgemm_numeric_fill_block_per_row_kernelILj1024ELj64ELj32768ELj137ELj32Ell21rocsparse_complex_numIfEEEvT5_PKS3_S5_NS_24const_host_device_scalarIT6_EEPKT4_S5_PKS7_SB_S5_SD_S8_SB_S5_SD_SB_S5_PS7_21rocsparse_index_base_SF_SF_SF_bbb
                                        ; -- End function
	.section	.AMDGPU.csdata,"",@progbits
; Kernel info:
; codeLenInByte = 4900
; NumSgprs: 78
; NumVgprs: 24
; ScratchSize: 0
; MemoryBound: 0
; FloatMode: 240
; IeeeMode: 1
; LDSByteSize: 0 bytes/workgroup (compile time only)
; SGPRBlocks: 9
; VGPRBlocks: 2
; NumSGPRsForWavesPerEU: 78
; NumVGPRsForWavesPerEU: 24
; Occupancy: 16
; WaveLimiterHint : 1
; COMPUTE_PGM_RSRC2:SCRATCH_EN: 0
; COMPUTE_PGM_RSRC2:USER_SGPR: 15
; COMPUTE_PGM_RSRC2:TRAP_HANDLER: 0
; COMPUTE_PGM_RSRC2:TGID_X_EN: 1
; COMPUTE_PGM_RSRC2:TGID_Y_EN: 0
; COMPUTE_PGM_RSRC2:TGID_Z_EN: 0
; COMPUTE_PGM_RSRC2:TIDIG_COMP_CNT: 0
	.section	.text._ZN9rocsparseL41csrgemm_numeric_fill_block_per_row_kernelILj1024ELj64ELj32768ELj137ELj64Ell21rocsparse_complex_numIfEEEvT5_PKS3_S5_NS_24const_host_device_scalarIT6_EEPKT4_S5_PKS7_SB_S5_SD_S8_SB_S5_SD_SB_S5_PS7_21rocsparse_index_base_SF_SF_SF_bbb,"axG",@progbits,_ZN9rocsparseL41csrgemm_numeric_fill_block_per_row_kernelILj1024ELj64ELj32768ELj137ELj64Ell21rocsparse_complex_numIfEEEvT5_PKS3_S5_NS_24const_host_device_scalarIT6_EEPKT4_S5_PKS7_SB_S5_SD_S8_SB_S5_SD_SB_S5_PS7_21rocsparse_index_base_SF_SF_SF_bbb,comdat
	.globl	_ZN9rocsparseL41csrgemm_numeric_fill_block_per_row_kernelILj1024ELj64ELj32768ELj137ELj64Ell21rocsparse_complex_numIfEEEvT5_PKS3_S5_NS_24const_host_device_scalarIT6_EEPKT4_S5_PKS7_SB_S5_SD_S8_SB_S5_SD_SB_S5_PS7_21rocsparse_index_base_SF_SF_SF_bbb ; -- Begin function _ZN9rocsparseL41csrgemm_numeric_fill_block_per_row_kernelILj1024ELj64ELj32768ELj137ELj64Ell21rocsparse_complex_numIfEEEvT5_PKS3_S5_NS_24const_host_device_scalarIT6_EEPKT4_S5_PKS7_SB_S5_SD_S8_SB_S5_SD_SB_S5_PS7_21rocsparse_index_base_SF_SF_SF_bbb
	.p2align	8
	.type	_ZN9rocsparseL41csrgemm_numeric_fill_block_per_row_kernelILj1024ELj64ELj32768ELj137ELj64Ell21rocsparse_complex_numIfEEEvT5_PKS3_S5_NS_24const_host_device_scalarIT6_EEPKT4_S5_PKS7_SB_S5_SD_S8_SB_S5_SD_SB_S5_PS7_21rocsparse_index_base_SF_SF_SF_bbb,@function
_ZN9rocsparseL41csrgemm_numeric_fill_block_per_row_kernelILj1024ELj64ELj32768ELj137ELj64Ell21rocsparse_complex_numIfEEEvT5_PKS3_S5_NS_24const_host_device_scalarIT6_EEPKT4_S5_PKS7_SB_S5_SD_S8_SB_S5_SD_SB_S5_PS7_21rocsparse_index_base_SF_SF_SF_bbb: ; @_ZN9rocsparseL41csrgemm_numeric_fill_block_per_row_kernelILj1024ELj64ELj32768ELj137ELj64Ell21rocsparse_complex_numIfEEEvT5_PKS3_S5_NS_24const_host_device_scalarIT6_EEPKT4_S5_PKS7_SB_S5_SD_S8_SB_S5_SD_SB_S5_PS7_21rocsparse_index_base_SF_SF_SF_bbb
; %bb.0:
	s_mov_b32 s40, s15
	s_clause 0x7
	s_load_b32 s33, s[0:1], 0x98
	s_load_b64 s[36:37], s[0:1], 0x70
	s_load_b128 s[24:27], s[0:1], 0x60
	s_load_b256 s[4:11], s[0:1], 0x40
	s_load_b128 s[28:31], s[0:1], 0x8
	s_load_b256 s[12:19], s[0:1], 0x20
	s_load_b64 s[34:35], s[0:1], 0x80
	s_load_b128 s[20:23], s[0:1], 0x88
	s_mov_b32 s3, 0
	s_mov_b32 s42, 0
	s_waitcnt lgkmcnt(0)
	s_bitcmp1_b32 s33, 0
	s_cselect_b32 s44, -1, 0
	s_bitcmp1_b32 s33, 16
	s_cselect_b32 s2, -1, 0
	s_delay_alu instid0(SALU_CYCLE_1) | instskip(SKIP_2) | instid1(VALU_DEP_1)
	s_xor_b32 s38, s2, -1
	s_bitcmp0_b32 s33, 0
	v_cndmask_b32_e64 v1, 0, 1, s38
	v_cmp_ne_u32_e32 vcc_lo, 1, v1
	s_cbranch_scc1 .LBB137_5
; %bb.1:
	s_load_b64 s[2:3], s[0:1], 0x18
	s_and_b32 vcc_lo, exec_lo, vcc_lo
	s_waitcnt lgkmcnt(0)
	s_mov_b32 s42, s2
	s_cbranch_vccnz .LBB137_3
; %bb.2:
	s_load_b32 s42, s[2:3], 0x0
.LBB137_3:
	s_and_not1_b32 vcc_lo, exec_lo, s38
	s_cbranch_vccnz .LBB137_5
; %bb.4:
	s_load_b32 s3, s[2:3], 0x4
.LBB137_5:
	s_bitcmp1_b32 s33, 8
	s_cselect_b32 s43, -1, 0
	s_bfe_u32 s2, s33, 0x10008
	s_mov_b32 s33, 0
	s_cmp_eq_u32 s2, 0
	s_mov_b32 s2, 0
	s_cbranch_scc1 .LBB137_11
; %bb.6:
	v_cmp_ne_u32_e32 vcc_lo, 1, v1
	s_mov_b32 s2, s8
	s_cbranch_vccnz .LBB137_8
; %bb.7:
	s_load_b32 s2, s[8:9], 0x0
.LBB137_8:
	v_cmp_ne_u32_e32 vcc_lo, 1, v1
	s_cbranch_vccnz .LBB137_10
; %bb.9:
	s_load_b32 s9, s[8:9], 0x4
.LBB137_10:
	s_waitcnt lgkmcnt(0)
	s_mov_b32 s33, s9
.LBB137_11:
	s_load_b64 s[38:39], s[0:1], 0x0
	v_lshl_add_u32 v12, v0, 3, 0
	v_or_b32_e32 v13, 0xfffffc00, v0
	v_mov_b32_e32 v3, 0
	s_mov_b32 s0, 0
	s_delay_alu instid0(VALU_DEP_2)
	v_dual_mov_b32 v4, v12 :: v_dual_mov_b32 v5, v13
	s_waitcnt lgkmcnt(0)
	v_dual_mov_b32 v1, s38 :: v_dual_mov_b32 v2, s39
.LBB137_12:                             ; =>This Inner Loop Header: Depth=1
	s_delay_alu instid0(VALU_DEP_2) | instskip(NEXT) | instid1(VALU_DEP_3)
	v_add_nc_u32_e32 v5, 0x400, v5
	v_add_nc_u32_e32 v6, 0x40000, v4
	ds_store_b64 v4, v[1:2]
	v_add_nc_u32_e32 v4, 0x2000, v4
	v_cmp_lt_u32_e32 vcc_lo, 0x7bff, v5
	ds_store_2addr_b32 v6, v3, v3 offset1:1
	s_or_b32 s0, vcc_lo, s0
	s_delay_alu instid0(SALU_CYCLE_1)
	s_and_not1_b32 exec_lo, exec_lo, s0
	s_cbranch_execnz .LBB137_12
; %bb.13:
	s_or_b32 exec_lo, exec_lo, s0
	s_waitcnt lgkmcnt(0)
	s_barrier
	buffer_gl0_inv
	s_load_b64 s[0:1], s[28:29], 0x0
	s_mov_b32 s41, 0
	v_lshrrev_b32_e32 v11, 6, v0
	s_waitcnt lgkmcnt(0)
	s_lshl_b64 s[0:1], s[0:1], 3
	s_delay_alu instid0(SALU_CYCLE_1) | instskip(SKIP_2) | instid1(SALU_CYCLE_1)
	s_add_u32 s8, s30, s0
	s_addc_u32 s9, s31, s1
	s_lshl_b64 s[0:1], s[40:41], 3
	s_add_u32 s0, s8, s0
	s_addc_u32 s1, s9, s1
	s_and_b32 vcc_lo, exec_lo, s44
	s_load_b64 s[28:29], s[0:1], 0x0
	s_cbranch_vccz .LBB137_33
; %bb.14:
	s_waitcnt lgkmcnt(0)
	s_lshl_b64 s[0:1], s[28:29], 3
	s_mov_b32 s8, exec_lo
	s_add_u32 s0, s12, s0
	s_addc_u32 s1, s13, s1
	s_load_b128 s[44:47], s[0:1], 0x0
	v_sub_co_u32 v1, s0, v11, s20
	s_delay_alu instid0(VALU_DEP_1) | instskip(SKIP_1) | instid1(VALU_DEP_2)
	v_sub_co_ci_u32_e64 v2, null, 0, 0, s0
	s_waitcnt lgkmcnt(0)
	v_add_co_u32 v1, vcc_lo, s44, v1
	s_delay_alu instid0(VALU_DEP_2)
	v_add_co_ci_u32_e32 v2, vcc_lo, s45, v2, vcc_lo
	s_sub_u32 s0, s46, s20
	s_subb_u32 s1, s47, 0
	s_delay_alu instid0(VALU_DEP_1) | instid1(SALU_CYCLE_1)
	v_cmpx_gt_i64_e64 s[0:1], v[1:2]
	s_cbranch_execz .LBB137_32
; %bb.15:
	v_and_b32_e32 v3, 63, v0
	s_mov_b32 s12, s21
	s_delay_alu instid0(VALU_DEP_1) | instskip(NEXT) | instid1(VALU_DEP_1)
	v_sub_co_u32 v14, s9, v3, s21
	v_sub_co_ci_u32_e64 v15, null, 0, 0, s9
	s_mov_b32 s9, 0
	s_branch .LBB137_17
.LBB137_16:                             ;   in Loop: Header=BB137_17 Depth=1
	s_or_b32 exec_lo, exec_lo, s13
	v_add_co_u32 v1, vcc_lo, v1, 16
	v_add_co_ci_u32_e32 v2, vcc_lo, 0, v2, vcc_lo
	s_delay_alu instid0(VALU_DEP_1) | instskip(SKIP_1) | instid1(SALU_CYCLE_1)
	v_cmp_le_i64_e32 vcc_lo, s[0:1], v[1:2]
	s_or_b32 s9, vcc_lo, s9
	s_and_not1_b32 exec_lo, exec_lo, s9
	s_cbranch_execz .LBB137_32
.LBB137_17:                             ; =>This Loop Header: Depth=1
                                        ;     Child Loop BB137_20 Depth 2
                                        ;       Child Loop BB137_22 Depth 3
	v_lshlrev_b64 v[7:8], 3, v[1:2]
	s_mov_b32 s13, exec_lo
	s_delay_alu instid0(VALU_DEP_1) | instskip(NEXT) | instid1(VALU_DEP_2)
	v_add_co_u32 v3, vcc_lo, s14, v7
	v_add_co_ci_u32_e32 v4, vcc_lo, s15, v8, vcc_lo
	global_load_b64 v[3:4], v[3:4], off
	s_waitcnt vmcnt(0)
	v_sub_co_u32 v3, vcc_lo, v3, s20
	v_subrev_co_ci_u32_e32 v4, vcc_lo, 0, v4, vcc_lo
	s_delay_alu instid0(VALU_DEP_1) | instskip(NEXT) | instid1(VALU_DEP_1)
	v_lshlrev_b64 v[3:4], 3, v[3:4]
	v_add_co_u32 v3, vcc_lo, s18, v3
	s_delay_alu instid0(VALU_DEP_2)
	v_add_co_ci_u32_e32 v4, vcc_lo, s19, v4, vcc_lo
	global_load_b128 v[16:19], v[3:4], off
	s_waitcnt vmcnt(0)
	v_sub_co_u32 v3, vcc_lo, v18, s12
	v_subrev_co_ci_u32_e32 v4, vcc_lo, 0, v19, vcc_lo
	v_add_co_u32 v5, vcc_lo, v16, v14
	v_add_co_ci_u32_e32 v6, vcc_lo, v17, v15, vcc_lo
	s_delay_alu instid0(VALU_DEP_1)
	v_cmpx_lt_i64_e64 v[5:6], v[3:4]
	s_cbranch_execz .LBB137_16
; %bb.18:                               ;   in Loop: Header=BB137_17 Depth=1
	v_add_co_u32 v7, vcc_lo, s16, v7
	v_add_co_ci_u32_e32 v8, vcc_lo, s17, v8, vcc_lo
	s_mov_b32 s21, 0
	global_load_b64 v[7:8], v[7:8], off
	s_waitcnt vmcnt(0)
	v_mul_f32_e64 v16, v8, -s3
	s_delay_alu instid0(VALU_DEP_1) | instskip(NEXT) | instid1(VALU_DEP_1)
	v_dual_mul_f32 v17, s42, v8 :: v_dual_fmac_f32 v16, s42, v7
	v_fmac_f32_e32 v17, s3, v7
	s_branch .LBB137_20
.LBB137_19:                             ;   in Loop: Header=BB137_20 Depth=2
	s_or_b32 exec_lo, exec_lo, s30
	v_add_co_u32 v5, vcc_lo, v5, 64
	v_add_co_ci_u32_e32 v6, vcc_lo, 0, v6, vcc_lo
	s_delay_alu instid0(VALU_DEP_1) | instskip(SKIP_1) | instid1(SALU_CYCLE_1)
	v_cmp_ge_i64_e32 vcc_lo, v[5:6], v[3:4]
	s_or_b32 s21, vcc_lo, s21
	s_and_not1_b32 exec_lo, exec_lo, s21
	s_cbranch_execz .LBB137_16
.LBB137_20:                             ;   Parent Loop BB137_17 Depth=1
                                        ; =>  This Loop Header: Depth=2
                                        ;       Child Loop BB137_22 Depth 3
	v_lshlrev_b64 v[7:8], 3, v[5:6]
	s_mov_b32 s30, 0
	s_delay_alu instid0(VALU_DEP_1) | instskip(NEXT) | instid1(VALU_DEP_2)
	v_add_co_u32 v9, vcc_lo, s4, v7
	v_add_co_ci_u32_e32 v10, vcc_lo, s5, v8, vcc_lo
	v_add_co_u32 v7, vcc_lo, s6, v7
	v_add_co_ci_u32_e32 v8, vcc_lo, s7, v8, vcc_lo
	global_load_b64 v[9:10], v[9:10], off
	global_load_b64 v[20:21], v[7:8], off
	s_waitcnt vmcnt(1)
	v_sub_co_u32 v7, vcc_lo, v9, s12
	v_subrev_co_ci_u32_e32 v8, vcc_lo, 0, v10, vcc_lo
	s_waitcnt vmcnt(0)
	v_mul_f32_e64 v18, v21, -v17
	s_delay_alu instid0(VALU_DEP_3) | instskip(SKIP_1) | instid1(VALU_DEP_3)
	v_mul_lo_u32 v9, 0x89, v7
	v_mul_f32_e32 v19, v16, v21
	v_fmac_f32_e32 v18, v16, v20
	s_delay_alu instid0(VALU_DEP_2)
	v_dual_fmac_f32 v19, v17, v20 :: v_dual_and_b32 v20, 0x7fff, v9
	s_branch .LBB137_22
.LBB137_21:                             ;   in Loop: Header=BB137_22 Depth=3
	s_or_b32 exec_lo, exec_lo, s31
	s_xor_b32 s31, s40, -1
	s_delay_alu instid0(SALU_CYCLE_1) | instskip(NEXT) | instid1(SALU_CYCLE_1)
	s_and_b32 s31, exec_lo, s31
	s_or_b32 s30, s31, s30
	s_delay_alu instid0(SALU_CYCLE_1)
	s_and_not1_b32 exec_lo, exec_lo, s30
	s_cbranch_execz .LBB137_19
.LBB137_22:                             ;   Parent Loop BB137_17 Depth=1
                                        ;     Parent Loop BB137_20 Depth=2
                                        ; =>    This Inner Loop Header: Depth=3
	s_delay_alu instid0(VALU_DEP_1)
	v_lshl_add_u32 v21, v20, 3, 0
	s_mov_b32 s31, exec_lo
                                        ; implicit-def: $sgpr40
	ds_load_b64 v[9:10], v21
	s_waitcnt lgkmcnt(0)
	v_cmpx_ne_u64_e64 v[9:10], v[7:8]
	s_xor_b32 s31, exec_lo, s31
	s_cbranch_execz .LBB137_30
; %bb.23:                               ;   in Loop: Header=BB137_22 Depth=3
	s_mov_b32 s41, exec_lo
                                        ; implicit-def: $sgpr40
	v_cmpx_ne_u64_e64 s[38:39], v[9:10]
	s_xor_b32 s41, exec_lo, s41
; %bb.24:                               ;   in Loop: Header=BB137_22 Depth=3
	v_add_nc_u32_e32 v9, 1, v20
	s_mov_b32 s40, -1
                                        ; implicit-def: $vgpr21
	s_delay_alu instid0(VALU_DEP_1)
	v_and_b32_e32 v20, 0x7fff, v9
; %bb.25:                               ;   in Loop: Header=BB137_22 Depth=3
	s_and_not1_saveexec_b32 s41, s41
	s_cbranch_execz .LBB137_29
; %bb.26:                               ;   in Loop: Header=BB137_22 Depth=3
	v_dual_mov_b32 v9, s38 :: v_dual_mov_b32 v10, s39
	s_mov_b32 s45, -1
	s_mov_b32 s44, exec_lo
	ds_cmpstore_rtn_b64 v[9:10], v21, v[7:8], v[9:10]
	s_waitcnt lgkmcnt(0)
	v_cmpx_eq_u64_e64 s[38:39], v[9:10]
	s_cbranch_execz .LBB137_28
; %bb.27:                               ;   in Loop: Header=BB137_22 Depth=3
	v_lshlrev_b32_e32 v9, 3, v20
	s_xor_b32 s45, exec_lo, -1
	s_delay_alu instid0(VALU_DEP_1)
	v_add3_u32 v9, 0, v9, 0x40000
	ds_add_f32 v9, v18
	ds_add_f32 v9, v19 offset:4
.LBB137_28:                             ;   in Loop: Header=BB137_22 Depth=3
	s_or_b32 exec_lo, exec_lo, s44
	s_delay_alu instid0(SALU_CYCLE_1) | instskip(SKIP_1) | instid1(SALU_CYCLE_1)
	s_and_not1_b32 s40, s40, exec_lo
	s_and_b32 s44, s45, exec_lo
	s_or_b32 s40, s40, s44
.LBB137_29:                             ;   in Loop: Header=BB137_22 Depth=3
	s_or_b32 exec_lo, exec_lo, s41
	s_delay_alu instid0(SALU_CYCLE_1)
	s_and_b32 s40, s40, exec_lo
.LBB137_30:                             ;   in Loop: Header=BB137_22 Depth=3
	s_and_not1_saveexec_b32 s31, s31
	s_cbranch_execz .LBB137_21
; %bb.31:                               ;   in Loop: Header=BB137_22 Depth=3
	v_lshlrev_b32_e32 v9, 3, v20
	s_and_not1_b32 s40, s40, exec_lo
	s_delay_alu instid0(VALU_DEP_1)
	v_add3_u32 v9, 0, v9, 0x40000
	ds_add_f32 v9, v18
	ds_add_f32 v9, v19 offset:4
	s_branch .LBB137_21
.LBB137_32:
	s_or_b32 exec_lo, exec_lo, s8
.LBB137_33:
	s_delay_alu instid0(SALU_CYCLE_1)
	s_and_not1_b32 vcc_lo, exec_lo, s43
	s_cbranch_vccnz .LBB137_50
; %bb.34:
	s_waitcnt lgkmcnt(0)
	s_lshl_b64 s[0:1], s[28:29], 3
	s_mov_b32 s3, 0
	s_add_u32 s0, s10, s0
	s_addc_u32 s1, s11, s1
	s_load_b128 s[4:7], s[0:1], 0x0
	v_sub_co_u32 v1, s0, v0, s23
	s_delay_alu instid0(VALU_DEP_1) | instskip(SKIP_1) | instid1(VALU_DEP_2)
	v_sub_co_ci_u32_e64 v2, null, 0, 0, s0
	s_waitcnt lgkmcnt(0)
	v_add_co_u32 v1, vcc_lo, s4, v1
	s_delay_alu instid0(VALU_DEP_2) | instskip(SKIP_3) | instid1(VALU_DEP_1)
	v_add_co_ci_u32_e32 v2, vcc_lo, s5, v2, vcc_lo
	s_sub_u32 s0, s6, s23
	s_subb_u32 s1, s7, 0
	s_mov_b32 s4, exec_lo
	v_cmpx_gt_i64_e64 s[0:1], v[1:2]
	s_cbranch_execz .LBB137_49
; %bb.35:
	s_mov_b32 s5, s23
	s_branch .LBB137_37
.LBB137_36:                             ;   in Loop: Header=BB137_37 Depth=1
	s_or_b32 exec_lo, exec_lo, s6
	v_add_co_u32 v1, vcc_lo, 0x400, v1
	v_add_co_ci_u32_e32 v2, vcc_lo, 0, v2, vcc_lo
	s_delay_alu instid0(VALU_DEP_1) | instskip(SKIP_1) | instid1(SALU_CYCLE_1)
	v_cmp_le_i64_e32 vcc_lo, s[0:1], v[1:2]
	s_or_b32 s3, vcc_lo, s3
	s_and_not1_b32 exec_lo, exec_lo, s3
	s_cbranch_execz .LBB137_49
.LBB137_37:                             ; =>This Loop Header: Depth=1
                                        ;     Child Loop BB137_39 Depth 2
	v_lshlrev_b64 v[3:4], 3, v[1:2]
	s_mov_b32 s6, 0
	s_delay_alu instid0(VALU_DEP_1) | instskip(NEXT) | instid1(VALU_DEP_2)
	v_add_co_u32 v5, vcc_lo, s24, v3
	v_add_co_ci_u32_e32 v6, vcc_lo, s25, v4, vcc_lo
	v_add_co_u32 v3, vcc_lo, s26, v3
	v_add_co_ci_u32_e32 v4, vcc_lo, s27, v4, vcc_lo
	global_load_b64 v[5:6], v[5:6], off
	global_load_b64 v[9:10], v[3:4], off
	s_waitcnt vmcnt(1)
	v_sub_co_u32 v3, vcc_lo, v5, s5
	v_subrev_co_ci_u32_e32 v4, vcc_lo, 0, v6, vcc_lo
	s_waitcnt vmcnt(0)
	v_mul_f32_e64 v7, v10, -s33
	s_delay_alu instid0(VALU_DEP_3) | instskip(NEXT) | instid1(VALU_DEP_2)
	v_mul_lo_u32 v5, 0x89, v3
	v_dual_mul_f32 v8, s2, v10 :: v_dual_fmac_f32 v7, s2, v9
	s_delay_alu instid0(VALU_DEP_1) | instskip(NEXT) | instid1(VALU_DEP_3)
	v_fmac_f32_e32 v8, s33, v9
	v_and_b32_e32 v9, 0x7fff, v5
	s_branch .LBB137_39
.LBB137_38:                             ;   in Loop: Header=BB137_39 Depth=2
	s_or_b32 exec_lo, exec_lo, s7
	s_xor_b32 s7, s8, -1
	s_delay_alu instid0(SALU_CYCLE_1) | instskip(NEXT) | instid1(SALU_CYCLE_1)
	s_and_b32 s7, exec_lo, s7
	s_or_b32 s6, s7, s6
	s_delay_alu instid0(SALU_CYCLE_1)
	s_and_not1_b32 exec_lo, exec_lo, s6
	s_cbranch_execz .LBB137_36
.LBB137_39:                             ;   Parent Loop BB137_37 Depth=1
                                        ; =>  This Inner Loop Header: Depth=2
	s_delay_alu instid0(VALU_DEP_1)
	v_lshl_add_u32 v10, v9, 3, 0
	s_mov_b32 s7, exec_lo
                                        ; implicit-def: $sgpr8
	ds_load_b64 v[5:6], v10
	s_waitcnt lgkmcnt(0)
	v_cmpx_ne_u64_e64 v[5:6], v[3:4]
	s_xor_b32 s7, exec_lo, s7
	s_cbranch_execz .LBB137_47
; %bb.40:                               ;   in Loop: Header=BB137_39 Depth=2
	s_mov_b32 s9, exec_lo
                                        ; implicit-def: $sgpr8
	v_cmpx_ne_u64_e64 s[38:39], v[5:6]
	s_xor_b32 s9, exec_lo, s9
; %bb.41:                               ;   in Loop: Header=BB137_39 Depth=2
	v_add_nc_u32_e32 v5, 1, v9
	s_mov_b32 s8, -1
                                        ; implicit-def: $vgpr10
	s_delay_alu instid0(VALU_DEP_1)
	v_and_b32_e32 v9, 0x7fff, v5
; %bb.42:                               ;   in Loop: Header=BB137_39 Depth=2
	s_and_not1_saveexec_b32 s9, s9
	s_cbranch_execz .LBB137_46
; %bb.43:                               ;   in Loop: Header=BB137_39 Depth=2
	v_dual_mov_b32 v5, s38 :: v_dual_mov_b32 v6, s39
	s_mov_b32 s11, -1
	s_mov_b32 s10, exec_lo
	ds_cmpstore_rtn_b64 v[5:6], v10, v[3:4], v[5:6]
	s_waitcnt lgkmcnt(0)
	v_cmpx_eq_u64_e64 s[38:39], v[5:6]
	s_cbranch_execz .LBB137_45
; %bb.44:                               ;   in Loop: Header=BB137_39 Depth=2
	v_lshlrev_b32_e32 v5, 3, v9
	s_xor_b32 s11, exec_lo, -1
	s_delay_alu instid0(VALU_DEP_1)
	v_add3_u32 v5, 0, v5, 0x40000
	ds_add_f32 v5, v7
	ds_add_f32 v5, v8 offset:4
.LBB137_45:                             ;   in Loop: Header=BB137_39 Depth=2
	s_or_b32 exec_lo, exec_lo, s10
	s_delay_alu instid0(SALU_CYCLE_1) | instskip(SKIP_1) | instid1(SALU_CYCLE_1)
	s_and_not1_b32 s8, s8, exec_lo
	s_and_b32 s10, s11, exec_lo
	s_or_b32 s8, s8, s10
.LBB137_46:                             ;   in Loop: Header=BB137_39 Depth=2
	s_or_b32 exec_lo, exec_lo, s9
	s_delay_alu instid0(SALU_CYCLE_1)
	s_and_b32 s8, s8, exec_lo
.LBB137_47:                             ;   in Loop: Header=BB137_39 Depth=2
	s_and_not1_saveexec_b32 s7, s7
	s_cbranch_execz .LBB137_38
; %bb.48:                               ;   in Loop: Header=BB137_39 Depth=2
	v_lshlrev_b32_e32 v5, 3, v9
	s_and_not1_b32 s8, s8, exec_lo
	s_delay_alu instid0(VALU_DEP_1)
	v_add3_u32 v5, 0, v5, 0x40000
	ds_add_f32 v5, v7
	ds_add_f32 v5, v8 offset:4
	s_branch .LBB137_38
.LBB137_49:
	s_or_b32 exec_lo, exec_lo, s4
.LBB137_50:
	v_mbcnt_lo_u32_b32 v1, -1, 0
	v_dual_mov_b32 v5, 0 :: v_dual_lshlrev_b32 v2, 3, v11
	s_add_i32 s33, 0, 0x80078
	v_cmp_eq_u32_e32 vcc_lo, 0x3ff, v0
	s_delay_alu instid0(VALU_DEP_3) | instskip(NEXT) | instid1(VALU_DEP_3)
	v_xor_b32_e32 v1, 63, v1
	v_add3_u32 v14, 0, 0x80000, v2
	v_cmp_lt_u32_e64 s0, 63, v0
	v_cmp_lt_u32_e64 s1, 0x7f, v0
	;; [unrolled: 1-line block ×3, first 2 shown]
	v_lshrrev_b64 v[1:2], v1, -1
	v_dual_mov_b32 v2, 0 :: v_dual_mov_b32 v15, s33
	v_cmp_lt_u32_e64 s3, 0xff, v0
	v_cmp_lt_u32_e64 s4, 0x13f, v0
	v_cmp_lt_u32_e64 s5, 0x17f, v0
	v_cmp_lt_u32_e64 s6, 0x1bf, v0
	v_cmp_lt_u32_e64 s7, 0x1ff, v0
	v_cmp_lt_u32_e64 s8, 0x23f, v0
	v_cmp_lt_u32_e64 s9, 0x27f, v0
	v_cmp_lt_u32_e64 s10, 0x2bf, v0
	v_cmp_lt_u32_e64 s11, 0x2ff, v0
	v_cmp_lt_u32_e64 s12, 0x33f, v0
	v_cmp_lt_u32_e64 s13, 0x37f, v0
	v_cmp_lt_u32_e64 s14, 0x3bf, v0
	v_mov_b32_e32 v3, 0
	s_mov_b32 s17, 0
	s_add_i32 s18, 0, 0x80000
	s_add_i32 s19, 0, 0x80008
	;; [unrolled: 1-line block ×15, first 2 shown]
	s_waitcnt lgkmcnt(0)
	s_barrier
	buffer_gl0_inv
	s_branch .LBB137_52
.LBB137_51:                             ;   in Loop: Header=BB137_52 Depth=1
	s_or_b32 exec_lo, exec_lo, s15
	s_waitcnt lgkmcnt(0)
	s_barrier
	buffer_gl0_inv
	ds_load_b64 v[6:7], v15
	v_add_nc_u32_e32 v13, 0x400, v13
	v_add_nc_u32_e32 v12, 0x2000, v12
	s_delay_alu instid0(VALU_DEP_2) | instskip(NEXT) | instid1(VALU_DEP_1)
	v_cmp_lt_u32_e64 s15, 0x7bff, v13
	s_or_b32 s17, s15, s17
	s_waitcnt lgkmcnt(0)
	v_add_co_u32 v2, s16, v6, v2
	s_delay_alu instid0(VALU_DEP_1)
	v_add_co_ci_u32_e64 v3, s16, v7, v3, s16
	s_and_not1_b32 exec_lo, exec_lo, s17
	s_cbranch_execz .LBB137_86
.LBB137_52:                             ; =>This Inner Loop Header: Depth=1
	ds_load_b64 v[6:7], v12
	v_add_nc_u32_e32 v4, 0x40000, v12
	ds_load_2addr_b32 v[8:9], v4 offset1:1
	s_waitcnt lgkmcnt(0)
	s_barrier
	buffer_gl0_inv
	v_cmp_gt_i64_e64 s15, s[38:39], v[6:7]
	s_delay_alu instid0(VALU_DEP_1) | instskip(SKIP_1) | instid1(SALU_CYCLE_1)
	v_and_b32_e32 v10, s15, v1
	s_bcnt1_i32_b32 s16, s15
	v_mov_b32_e32 v4, s16
	s_delay_alu instid0(VALU_DEP_2)
	v_bcnt_u32_b32 v10, v10, 0
	ds_store_b64 v14, v[4:5]
	s_waitcnt lgkmcnt(0)
	s_barrier
	buffer_gl0_inv
	s_and_saveexec_b32 s16, s0
	s_cbranch_execnz .LBB137_69
; %bb.53:                               ;   in Loop: Header=BB137_52 Depth=1
	s_or_b32 exec_lo, exec_lo, s16
	s_and_saveexec_b32 s16, s1
	s_cbranch_execnz .LBB137_70
.LBB137_54:                             ;   in Loop: Header=BB137_52 Depth=1
	s_or_b32 exec_lo, exec_lo, s16
	s_and_saveexec_b32 s16, s2
	s_cbranch_execnz .LBB137_71
.LBB137_55:                             ;   in Loop: Header=BB137_52 Depth=1
	s_or_b32 exec_lo, exec_lo, s16
	s_and_saveexec_b32 s16, s3
	s_cbranch_execnz .LBB137_72
.LBB137_56:                             ;   in Loop: Header=BB137_52 Depth=1
	s_or_b32 exec_lo, exec_lo, s16
	s_and_saveexec_b32 s16, s4
	s_cbranch_execnz .LBB137_73
.LBB137_57:                             ;   in Loop: Header=BB137_52 Depth=1
	s_or_b32 exec_lo, exec_lo, s16
	s_and_saveexec_b32 s16, s5
	s_cbranch_execnz .LBB137_74
.LBB137_58:                             ;   in Loop: Header=BB137_52 Depth=1
	s_or_b32 exec_lo, exec_lo, s16
	s_and_saveexec_b32 s16, s6
	s_cbranch_execnz .LBB137_75
.LBB137_59:                             ;   in Loop: Header=BB137_52 Depth=1
	s_or_b32 exec_lo, exec_lo, s16
	s_and_saveexec_b32 s16, s7
	s_cbranch_execnz .LBB137_76
.LBB137_60:                             ;   in Loop: Header=BB137_52 Depth=1
	s_or_b32 exec_lo, exec_lo, s16
	s_and_saveexec_b32 s16, s8
	s_cbranch_execnz .LBB137_77
.LBB137_61:                             ;   in Loop: Header=BB137_52 Depth=1
	s_or_b32 exec_lo, exec_lo, s16
	s_and_saveexec_b32 s16, s9
	s_cbranch_execnz .LBB137_78
.LBB137_62:                             ;   in Loop: Header=BB137_52 Depth=1
	s_or_b32 exec_lo, exec_lo, s16
	s_and_saveexec_b32 s16, s10
	s_cbranch_execnz .LBB137_79
.LBB137_63:                             ;   in Loop: Header=BB137_52 Depth=1
	s_or_b32 exec_lo, exec_lo, s16
	s_and_saveexec_b32 s16, s11
	s_cbranch_execnz .LBB137_80
.LBB137_64:                             ;   in Loop: Header=BB137_52 Depth=1
	s_or_b32 exec_lo, exec_lo, s16
	s_and_saveexec_b32 s16, s12
	s_cbranch_execnz .LBB137_81
.LBB137_65:                             ;   in Loop: Header=BB137_52 Depth=1
	s_or_b32 exec_lo, exec_lo, s16
	s_and_saveexec_b32 s16, s13
	s_cbranch_execnz .LBB137_82
.LBB137_66:                             ;   in Loop: Header=BB137_52 Depth=1
	s_or_b32 exec_lo, exec_lo, s16
	s_and_saveexec_b32 s16, s14
	s_cbranch_execnz .LBB137_83
.LBB137_67:                             ;   in Loop: Header=BB137_52 Depth=1
	s_or_b32 exec_lo, exec_lo, s16
	v_ashrrev_i32_e32 v11, 31, v10
	s_and_saveexec_b32 s16, s15
	s_cbranch_execnz .LBB137_84
.LBB137_68:                             ;   in Loop: Header=BB137_52 Depth=1
	s_or_b32 exec_lo, exec_lo, s16
	s_and_saveexec_b32 s15, vcc_lo
	s_cbranch_execz .LBB137_51
	s_branch .LBB137_85
.LBB137_69:                             ;   in Loop: Header=BB137_52 Depth=1
	v_mov_b32_e32 v4, s18
	ds_load_b32 v4, v4
	s_waitcnt lgkmcnt(0)
	v_add_nc_u32_e32 v10, v4, v10
	s_or_b32 exec_lo, exec_lo, s16
	s_and_saveexec_b32 s16, s1
	s_cbranch_execz .LBB137_54
.LBB137_70:                             ;   in Loop: Header=BB137_52 Depth=1
	v_mov_b32_e32 v4, s19
	ds_load_b32 v4, v4
	s_waitcnt lgkmcnt(0)
	v_add_nc_u32_e32 v10, v10, v4
	s_or_b32 exec_lo, exec_lo, s16
	s_and_saveexec_b32 s16, s2
	s_cbranch_execz .LBB137_55
.LBB137_71:                             ;   in Loop: Header=BB137_52 Depth=1
	v_mov_b32_e32 v4, s20
	ds_load_b32 v4, v4
	s_waitcnt lgkmcnt(0)
	v_add_nc_u32_e32 v10, v10, v4
	s_or_b32 exec_lo, exec_lo, s16
	s_and_saveexec_b32 s16, s3
	s_cbranch_execz .LBB137_56
.LBB137_72:                             ;   in Loop: Header=BB137_52 Depth=1
	v_mov_b32_e32 v4, s21
	ds_load_b32 v4, v4
	s_waitcnt lgkmcnt(0)
	v_add_nc_u32_e32 v10, v10, v4
	s_or_b32 exec_lo, exec_lo, s16
	s_and_saveexec_b32 s16, s4
	s_cbranch_execz .LBB137_57
.LBB137_73:                             ;   in Loop: Header=BB137_52 Depth=1
	v_mov_b32_e32 v4, s23
	ds_load_b32 v4, v4
	s_waitcnt lgkmcnt(0)
	v_add_nc_u32_e32 v10, v10, v4
	s_or_b32 exec_lo, exec_lo, s16
	s_and_saveexec_b32 s16, s5
	s_cbranch_execz .LBB137_58
.LBB137_74:                             ;   in Loop: Header=BB137_52 Depth=1
	v_mov_b32_e32 v4, s24
	ds_load_b32 v4, v4
	s_waitcnt lgkmcnt(0)
	v_add_nc_u32_e32 v10, v10, v4
	s_or_b32 exec_lo, exec_lo, s16
	s_and_saveexec_b32 s16, s6
	s_cbranch_execz .LBB137_59
.LBB137_75:                             ;   in Loop: Header=BB137_52 Depth=1
	v_mov_b32_e32 v4, s25
	ds_load_b32 v4, v4
	s_waitcnt lgkmcnt(0)
	v_add_nc_u32_e32 v10, v10, v4
	s_or_b32 exec_lo, exec_lo, s16
	s_and_saveexec_b32 s16, s7
	s_cbranch_execz .LBB137_60
.LBB137_76:                             ;   in Loop: Header=BB137_52 Depth=1
	v_mov_b32_e32 v4, s26
	ds_load_b32 v4, v4
	s_waitcnt lgkmcnt(0)
	v_add_nc_u32_e32 v10, v10, v4
	s_or_b32 exec_lo, exec_lo, s16
	s_and_saveexec_b32 s16, s8
	s_cbranch_execz .LBB137_61
.LBB137_77:                             ;   in Loop: Header=BB137_52 Depth=1
	v_mov_b32_e32 v4, s27
	ds_load_b32 v4, v4
	s_waitcnt lgkmcnt(0)
	v_add_nc_u32_e32 v10, v10, v4
	s_or_b32 exec_lo, exec_lo, s16
	s_and_saveexec_b32 s16, s9
	s_cbranch_execz .LBB137_62
.LBB137_78:                             ;   in Loop: Header=BB137_52 Depth=1
	v_mov_b32_e32 v4, s30
	ds_load_b32 v4, v4
	s_waitcnt lgkmcnt(0)
	v_add_nc_u32_e32 v10, v10, v4
	s_or_b32 exec_lo, exec_lo, s16
	s_and_saveexec_b32 s16, s10
	s_cbranch_execz .LBB137_63
.LBB137_79:                             ;   in Loop: Header=BB137_52 Depth=1
	v_mov_b32_e32 v4, s31
	ds_load_b32 v4, v4
	s_waitcnt lgkmcnt(0)
	v_add_nc_u32_e32 v10, v10, v4
	s_or_b32 exec_lo, exec_lo, s16
	s_and_saveexec_b32 s16, s11
	s_cbranch_execz .LBB137_64
.LBB137_80:                             ;   in Loop: Header=BB137_52 Depth=1
	v_mov_b32_e32 v4, s40
	ds_load_b32 v4, v4
	s_waitcnt lgkmcnt(0)
	v_add_nc_u32_e32 v10, v10, v4
	s_or_b32 exec_lo, exec_lo, s16
	s_and_saveexec_b32 s16, s12
	s_cbranch_execz .LBB137_65
.LBB137_81:                             ;   in Loop: Header=BB137_52 Depth=1
	v_mov_b32_e32 v4, s41
	ds_load_b32 v4, v4
	s_waitcnt lgkmcnt(0)
	v_add_nc_u32_e32 v10, v10, v4
	s_or_b32 exec_lo, exec_lo, s16
	s_and_saveexec_b32 s16, s13
	s_cbranch_execz .LBB137_66
.LBB137_82:                             ;   in Loop: Header=BB137_52 Depth=1
	v_mov_b32_e32 v4, s42
	ds_load_b32 v4, v4
	s_waitcnt lgkmcnt(0)
	v_add_nc_u32_e32 v10, v10, v4
	s_or_b32 exec_lo, exec_lo, s16
	s_and_saveexec_b32 s16, s14
	s_cbranch_execz .LBB137_67
.LBB137_83:                             ;   in Loop: Header=BB137_52 Depth=1
	v_mov_b32_e32 v4, s43
	ds_load_b32 v4, v4
	s_waitcnt lgkmcnt(0)
	v_add_nc_u32_e32 v10, v10, v4
	s_or_b32 exec_lo, exec_lo, s16
	s_delay_alu instid0(VALU_DEP_1)
	v_ashrrev_i32_e32 v11, 31, v10
	s_and_saveexec_b32 s16, s15
	s_cbranch_execz .LBB137_68
.LBB137_84:                             ;   in Loop: Header=BB137_52 Depth=1
	v_add3_u32 v4, v2, -1, v10
	s_delay_alu instid0(VALU_DEP_1) | instskip(NEXT) | instid1(VALU_DEP_1)
	v_lshl_add_u32 v4, v4, 3, 0
	v_add_nc_u32_e32 v16, 0x40000, v4
	ds_store_b64 v4, v[6:7]
	ds_store_2addr_b32 v16, v8, v9 offset1:1
	s_or_b32 exec_lo, exec_lo, s16
	s_and_saveexec_b32 s15, vcc_lo
	s_cbranch_execz .LBB137_51
.LBB137_85:                             ;   in Loop: Header=BB137_52 Depth=1
	v_mov_b32_e32 v4, s33
	ds_store_b64 v4, v[10:11]
	s_branch .LBB137_51
.LBB137_86:
	s_or_b32 exec_lo, exec_lo, s17
	s_lshl_b64 s[0:1], s[28:29], 3
	v_mov_b32_e32 v1, 0
	s_add_u32 s0, s36, s0
	s_addc_u32 s1, s37, s1
	s_mov_b32 s6, exec_lo
	s_load_b128 s[0:3], s[0:1], 0x0
	s_waitcnt lgkmcnt(0)
	s_sub_u32 s4, s2, s0
	s_subb_u32 s5, s3, s1
	s_delay_alu instid0(SALU_CYCLE_1)
	v_cmpx_gt_i64_e64 s[4:5], v[0:1]
	s_cbranch_execz .LBB137_96
; %bb.87:
	s_sub_u32 s8, s0, s22
	s_subb_u32 s9, s1, 0
	s_and_b32 s6, s4, 7
	s_sub_u32 s0, s0, s2
	s_subb_u32 s1, s1, s3
	s_mov_b32 s7, 0
	v_cmp_lt_u64_e64 s12, s[0:1], -7
	s_and_b32 s2, s4, -8
	s_cmp_lg_u64 s[6:7], 0
	s_mov_b32 s3, s5
	s_cselect_b32 s13, -1, 0
	s_mov_b32 s14, s7
	s_branch .LBB137_89
.LBB137_88:                             ;   in Loop: Header=BB137_89 Depth=1
	v_add_co_u32 v0, vcc_lo, 0x400, v0
	v_add_co_ci_u32_e32 v1, vcc_lo, 0, v1, vcc_lo
	s_waitcnt lgkmcnt(1)
	v_lshlrev_b64 v[4:5], 3, v[6:7]
	s_delay_alu instid0(VALU_DEP_2) | instskip(NEXT) | instid1(VALU_DEP_2)
	v_cmp_le_i64_e32 vcc_lo, s[4:5], v[0:1]
	v_add_co_u32 v4, s0, s34, v4
	s_delay_alu instid0(VALU_DEP_1)
	v_add_co_ci_u32_e64 v5, s0, s35, v5, s0
	s_or_b32 s14, vcc_lo, s14
	s_waitcnt lgkmcnt(0)
	global_store_b64 v[4:5], v[2:3], off
	s_and_not1_b32 exec_lo, exec_lo, s14
	s_cbranch_execz .LBB137_96
.LBB137_89:                             ; =>This Loop Header: Depth=1
                                        ;     Child Loop BB137_91 Depth 2
                                        ;     Child Loop BB137_95 Depth 2
	v_lshl_add_u32 v2, v0, 3, 0
	s_and_not1_b32 vcc_lo, exec_lo, s12
	s_mov_b64 s[0:1], 0
	v_dual_mov_b32 v6, s8 :: v_dual_mov_b32 v7, s9
	s_delay_alu instid0(VALU_DEP_2)
	v_add_nc_u32_e32 v3, 0x40000, v2
	ds_load_b64 v[4:5], v2
	ds_load_2addr_b32 v[2:3], v3 offset1:1
	s_cbranch_vccnz .LBB137_93
; %bb.90:                               ;   in Loop: Header=BB137_89 Depth=1
	v_dual_mov_b32 v6, s8 :: v_dual_mov_b32 v7, s9
	s_mov_b64 s[10:11], 0
	s_mov_b32 s1, 0
.LBB137_91:                             ;   Parent Loop BB137_89 Depth=1
                                        ; =>  This Inner Loop Header: Depth=2
	s_delay_alu instid0(SALU_CYCLE_1)
	v_mov_b32_e32 v20, s1
	s_add_u32 s10, s10, 8
	s_addc_u32 s11, s11, 0
	s_add_i32 s1, s1, 64
	s_cmp_eq_u64 s[2:3], s[10:11]
	ds_load_2addr_b64 v[8:11], v20 offset1:1
	ds_load_2addr_b64 v[12:15], v20 offset0:2 offset1:3
	ds_load_2addr_b64 v[16:19], v20 offset0:4 offset1:5
	;; [unrolled: 1-line block ×3, first 2 shown]
	s_waitcnt lgkmcnt(3)
	v_cmp_gt_i64_e32 vcc_lo, v[4:5], v[8:9]
	v_cndmask_b32_e64 v8, 0, 1, vcc_lo
	v_cmp_gt_i64_e32 vcc_lo, v[4:5], v[10:11]
	v_cndmask_b32_e64 v9, 0, 1, vcc_lo
	s_waitcnt lgkmcnt(2)
	v_cmp_gt_i64_e32 vcc_lo, v[4:5], v[12:13]
	v_cndmask_b32_e64 v10, 0, 1, vcc_lo
	v_cmp_gt_i64_e32 vcc_lo, v[4:5], v[14:15]
	v_cndmask_b32_e64 v11, 0, 1, vcc_lo
	s_waitcnt lgkmcnt(1)
	v_cmp_gt_i64_e32 vcc_lo, v[4:5], v[16:17]
	v_cndmask_b32_e64 v12, 0, 1, vcc_lo
	v_add_co_u32 v6, vcc_lo, v6, v8
	v_add_co_ci_u32_e32 v7, vcc_lo, 0, v7, vcc_lo
	v_cmp_gt_i64_e32 vcc_lo, v[4:5], v[18:19]
	s_delay_alu instid0(VALU_DEP_3) | instskip(NEXT) | instid1(VALU_DEP_1)
	v_add_co_u32 v6, s0, v6, v9
	v_add_co_ci_u32_e64 v7, s0, 0, v7, s0
	v_cndmask_b32_e64 v8, 0, 1, vcc_lo
	s_delay_alu instid0(VALU_DEP_3) | instskip(NEXT) | instid1(VALU_DEP_3)
	v_add_co_u32 v6, vcc_lo, v6, v10
	v_add_co_ci_u32_e32 v7, vcc_lo, 0, v7, vcc_lo
	s_waitcnt lgkmcnt(0)
	v_cmp_gt_i64_e32 vcc_lo, v[4:5], v[20:21]
	s_delay_alu instid0(VALU_DEP_3) | instskip(NEXT) | instid1(VALU_DEP_1)
	v_add_co_u32 v6, s0, v6, v11
	v_add_co_ci_u32_e64 v7, s0, 0, v7, s0
	v_cndmask_b32_e64 v9, 0, 1, vcc_lo
	s_delay_alu instid0(VALU_DEP_3) | instskip(NEXT) | instid1(VALU_DEP_3)
	v_add_co_u32 v6, vcc_lo, v6, v12
	v_add_co_ci_u32_e32 v7, vcc_lo, 0, v7, vcc_lo
	v_cmp_gt_i64_e32 vcc_lo, v[4:5], v[22:23]
	s_delay_alu instid0(VALU_DEP_3) | instskip(NEXT) | instid1(VALU_DEP_1)
	v_add_co_u32 v6, s0, v6, v8
	v_add_co_ci_u32_e64 v7, s0, 0, v7, s0
	v_cndmask_b32_e64 v8, 0, 1, vcc_lo
	s_delay_alu instid0(VALU_DEP_3) | instskip(NEXT) | instid1(VALU_DEP_3)
	v_add_co_u32 v6, vcc_lo, v6, v9
	v_add_co_ci_u32_e32 v7, vcc_lo, 0, v7, vcc_lo
	s_delay_alu instid0(VALU_DEP_2) | instskip(NEXT) | instid1(VALU_DEP_2)
	v_add_co_u32 v6, vcc_lo, v6, v8
	v_add_co_ci_u32_e32 v7, vcc_lo, 0, v7, vcc_lo
	s_cbranch_scc0 .LBB137_91
; %bb.92:                               ;   in Loop: Header=BB137_89 Depth=1
	s_mov_b64 s[0:1], s[2:3]
.LBB137_93:                             ;   in Loop: Header=BB137_89 Depth=1
	s_and_not1_b32 vcc_lo, exec_lo, s13
	s_cbranch_vccnz .LBB137_88
; %bb.94:                               ;   in Loop: Header=BB137_89 Depth=1
	s_lshl_b32 s0, s0, 3
	s_delay_alu instid0(SALU_CYCLE_1)
	s_add_i32 s10, s0, 0
	s_mov_b64 s[0:1], s[6:7]
.LBB137_95:                             ;   Parent Loop BB137_89 Depth=1
                                        ; =>  This Inner Loop Header: Depth=2
	v_mov_b32_e32 v8, s10
	s_add_i32 s10, s10, 8
	s_add_u32 s0, s0, -1
	s_addc_u32 s1, s1, -1
	s_delay_alu instid0(SALU_CYCLE_1) | instskip(SKIP_4) | instid1(VALU_DEP_1)
	s_cmp_lg_u64 s[0:1], 0
	ds_load_b64 v[8:9], v8
	s_waitcnt lgkmcnt(0)
	v_cmp_gt_i64_e32 vcc_lo, v[4:5], v[8:9]
	v_cndmask_b32_e64 v8, 0, 1, vcc_lo
	v_add_co_u32 v6, vcc_lo, v6, v8
	v_add_co_ci_u32_e32 v7, vcc_lo, 0, v7, vcc_lo
	s_cbranch_scc1 .LBB137_95
	s_branch .LBB137_88
.LBB137_96:
	s_nop 0
	s_sendmsg sendmsg(MSG_DEALLOC_VGPRS)
	s_endpgm
	.section	.rodata,"a",@progbits
	.p2align	6, 0x0
	.amdhsa_kernel _ZN9rocsparseL41csrgemm_numeric_fill_block_per_row_kernelILj1024ELj64ELj32768ELj137ELj64Ell21rocsparse_complex_numIfEEEvT5_PKS3_S5_NS_24const_host_device_scalarIT6_EEPKT4_S5_PKS7_SB_S5_SD_S8_SB_S5_SD_SB_S5_PS7_21rocsparse_index_base_SF_SF_SF_bbb
		.amdhsa_group_segment_fixed_size 0
		.amdhsa_private_segment_fixed_size 0
		.amdhsa_kernarg_size 156
		.amdhsa_user_sgpr_count 15
		.amdhsa_user_sgpr_dispatch_ptr 0
		.amdhsa_user_sgpr_queue_ptr 0
		.amdhsa_user_sgpr_kernarg_segment_ptr 1
		.amdhsa_user_sgpr_dispatch_id 0
		.amdhsa_user_sgpr_private_segment_size 0
		.amdhsa_wavefront_size32 1
		.amdhsa_uses_dynamic_stack 0
		.amdhsa_enable_private_segment 0
		.amdhsa_system_sgpr_workgroup_id_x 1
		.amdhsa_system_sgpr_workgroup_id_y 0
		.amdhsa_system_sgpr_workgroup_id_z 0
		.amdhsa_system_sgpr_workgroup_info 0
		.amdhsa_system_vgpr_workitem_id 0
		.amdhsa_next_free_vgpr 24
		.amdhsa_next_free_sgpr 48
		.amdhsa_reserve_vcc 1
		.amdhsa_float_round_mode_32 0
		.amdhsa_float_round_mode_16_64 0
		.amdhsa_float_denorm_mode_32 3
		.amdhsa_float_denorm_mode_16_64 3
		.amdhsa_dx10_clamp 1
		.amdhsa_ieee_mode 1
		.amdhsa_fp16_overflow 0
		.amdhsa_workgroup_processor_mode 1
		.amdhsa_memory_ordered 1
		.amdhsa_forward_progress 0
		.amdhsa_shared_vgpr_count 0
		.amdhsa_exception_fp_ieee_invalid_op 0
		.amdhsa_exception_fp_denorm_src 0
		.amdhsa_exception_fp_ieee_div_zero 0
		.amdhsa_exception_fp_ieee_overflow 0
		.amdhsa_exception_fp_ieee_underflow 0
		.amdhsa_exception_fp_ieee_inexact 0
		.amdhsa_exception_int_div_zero 0
	.end_amdhsa_kernel
	.section	.text._ZN9rocsparseL41csrgemm_numeric_fill_block_per_row_kernelILj1024ELj64ELj32768ELj137ELj64Ell21rocsparse_complex_numIfEEEvT5_PKS3_S5_NS_24const_host_device_scalarIT6_EEPKT4_S5_PKS7_SB_S5_SD_S8_SB_S5_SD_SB_S5_PS7_21rocsparse_index_base_SF_SF_SF_bbb,"axG",@progbits,_ZN9rocsparseL41csrgemm_numeric_fill_block_per_row_kernelILj1024ELj64ELj32768ELj137ELj64Ell21rocsparse_complex_numIfEEEvT5_PKS3_S5_NS_24const_host_device_scalarIT6_EEPKT4_S5_PKS7_SB_S5_SD_S8_SB_S5_SD_SB_S5_PS7_21rocsparse_index_base_SF_SF_SF_bbb,comdat
.Lfunc_end137:
	.size	_ZN9rocsparseL41csrgemm_numeric_fill_block_per_row_kernelILj1024ELj64ELj32768ELj137ELj64Ell21rocsparse_complex_numIfEEEvT5_PKS3_S5_NS_24const_host_device_scalarIT6_EEPKT4_S5_PKS7_SB_S5_SD_S8_SB_S5_SD_SB_S5_PS7_21rocsparse_index_base_SF_SF_SF_bbb, .Lfunc_end137-_ZN9rocsparseL41csrgemm_numeric_fill_block_per_row_kernelILj1024ELj64ELj32768ELj137ELj64Ell21rocsparse_complex_numIfEEEvT5_PKS3_S5_NS_24const_host_device_scalarIT6_EEPKT4_S5_PKS7_SB_S5_SD_S8_SB_S5_SD_SB_S5_PS7_21rocsparse_index_base_SF_SF_SF_bbb
                                        ; -- End function
	.section	.AMDGPU.csdata,"",@progbits
; Kernel info:
; codeLenInByte = 3872
; NumSgprs: 50
; NumVgprs: 24
; ScratchSize: 0
; MemoryBound: 0
; FloatMode: 240
; IeeeMode: 1
; LDSByteSize: 0 bytes/workgroup (compile time only)
; SGPRBlocks: 6
; VGPRBlocks: 2
; NumSGPRsForWavesPerEU: 50
; NumVGPRsForWavesPerEU: 24
; Occupancy: 16
; WaveLimiterHint : 1
; COMPUTE_PGM_RSRC2:SCRATCH_EN: 0
; COMPUTE_PGM_RSRC2:USER_SGPR: 15
; COMPUTE_PGM_RSRC2:TRAP_HANDLER: 0
; COMPUTE_PGM_RSRC2:TGID_X_EN: 1
; COMPUTE_PGM_RSRC2:TGID_Y_EN: 0
; COMPUTE_PGM_RSRC2:TGID_Z_EN: 0
; COMPUTE_PGM_RSRC2:TIDIG_COMP_CNT: 0
	.section	.text._ZN9rocsparseL51csrgemm_numeric_fill_block_per_row_multipass_kernelILj512ELj16ELj2048ELj32Ell21rocsparse_complex_numIfEEEvT4_PKS3_S5_NS_24const_host_device_scalarIT5_EEPKT3_S5_PKS7_SB_S5_SD_S8_SB_S5_SD_SB_S5_PS7_PS9_21rocsparse_index_base_SG_SG_SG_bbb,"axG",@progbits,_ZN9rocsparseL51csrgemm_numeric_fill_block_per_row_multipass_kernelILj512ELj16ELj2048ELj32Ell21rocsparse_complex_numIfEEEvT4_PKS3_S5_NS_24const_host_device_scalarIT5_EEPKT3_S5_PKS7_SB_S5_SD_S8_SB_S5_SD_SB_S5_PS7_PS9_21rocsparse_index_base_SG_SG_SG_bbb,comdat
	.globl	_ZN9rocsparseL51csrgemm_numeric_fill_block_per_row_multipass_kernelILj512ELj16ELj2048ELj32Ell21rocsparse_complex_numIfEEEvT4_PKS3_S5_NS_24const_host_device_scalarIT5_EEPKT3_S5_PKS7_SB_S5_SD_S8_SB_S5_SD_SB_S5_PS7_PS9_21rocsparse_index_base_SG_SG_SG_bbb ; -- Begin function _ZN9rocsparseL51csrgemm_numeric_fill_block_per_row_multipass_kernelILj512ELj16ELj2048ELj32Ell21rocsparse_complex_numIfEEEvT4_PKS3_S5_NS_24const_host_device_scalarIT5_EEPKT3_S5_PKS7_SB_S5_SD_S8_SB_S5_SD_SB_S5_PS7_PS9_21rocsparse_index_base_SG_SG_SG_bbb
	.p2align	8
	.type	_ZN9rocsparseL51csrgemm_numeric_fill_block_per_row_multipass_kernelILj512ELj16ELj2048ELj32Ell21rocsparse_complex_numIfEEEvT4_PKS3_S5_NS_24const_host_device_scalarIT5_EEPKT3_S5_PKS7_SB_S5_SD_S8_SB_S5_SD_SB_S5_PS7_PS9_21rocsparse_index_base_SG_SG_SG_bbb,@function
_ZN9rocsparseL51csrgemm_numeric_fill_block_per_row_multipass_kernelILj512ELj16ELj2048ELj32Ell21rocsparse_complex_numIfEEEvT4_PKS3_S5_NS_24const_host_device_scalarIT5_EEPKT3_S5_PKS7_SB_S5_SD_S8_SB_S5_SD_SB_S5_PS7_PS9_21rocsparse_index_base_SG_SG_SG_bbb: ; @_ZN9rocsparseL51csrgemm_numeric_fill_block_per_row_multipass_kernelILj512ELj16ELj2048ELj32Ell21rocsparse_complex_numIfEEEvT4_PKS3_S5_NS_24const_host_device_scalarIT5_EEPKT3_S5_PKS7_SB_S5_SD_S8_SB_S5_SD_SB_S5_PS7_PS9_21rocsparse_index_base_SG_SG_SG_bbb
; %bb.0:
	s_clause 0x6
	s_load_b32 s11, s[0:1], 0xa0
	s_load_b256 s[20:27], s[0:1], 0x80
	s_load_b64 s[2:3], s[0:1], 0x70
	s_load_b128 s[28:31], s[0:1], 0x60
	s_load_b256 s[36:43], s[0:1], 0x40
	s_load_b128 s[4:7], s[0:1], 0x8
	s_load_b256 s[44:51], s[0:1], 0x20
	s_mov_b32 s8, s15
	s_mov_b32 s35, 0
	s_mov_b32 s33, 0
	s_waitcnt lgkmcnt(0)
	s_bitcmp1_b32 s11, 0
	s_cselect_b32 s10, -1, 0
	s_bitcmp1_b32 s11, 16
	s_cselect_b32 s9, -1, 0
	s_delay_alu instid0(SALU_CYCLE_1)
	s_xor_b32 s9, s9, -1
	s_bitcmp0_b32 s11, 0
	s_cbranch_scc1 .LBB138_5
; %bb.1:
	s_load_b64 s[34:35], s[0:1], 0x18
	s_and_not1_b32 vcc_lo, exec_lo, s9
	s_waitcnt lgkmcnt(0)
	s_mov_b32 s33, s34
	s_cbranch_vccnz .LBB138_3
; %bb.2:
	s_load_b32 s33, s[34:35], 0x0
.LBB138_3:
	s_and_not1_b32 vcc_lo, exec_lo, s9
	s_cbranch_vccnz .LBB138_5
; %bb.4:
	s_load_b32 s35, s[34:35], 0x4
.LBB138_5:
	s_bitcmp1_b32 s11, 8
	s_mov_b32 s53, 0
	s_cselect_b32 s34, -1, 0
	s_bfe_u32 s11, s11, 0x10008
	s_mov_b32 s52, 0
	s_cmp_eq_u32 s11, 0
	s_cbranch_scc1 .LBB138_11
; %bb.6:
	v_cndmask_b32_e64 v1, 0, 1, s9
	s_and_not1_b32 vcc_lo, exec_lo, s9
	s_mov_b32 s52, s40
	s_cbranch_vccnz .LBB138_8
; %bb.7:
	s_load_b32 s52, s[40:41], 0x0
.LBB138_8:
	s_delay_alu instid0(VALU_DEP_1)
	v_cmp_ne_u32_e32 vcc_lo, 1, v1
	s_cbranch_vccnz .LBB138_10
; %bb.9:
	s_load_b32 s41, s[40:41], 0x4
.LBB138_10:
	s_waitcnt lgkmcnt(0)
	s_mov_b32 s53, s41
.LBB138_11:
	s_load_b64 s[4:5], s[4:5], 0x0
	s_mov_b32 s9, 0
	s_mov_b64 s[40:41], 0
	s_waitcnt lgkmcnt(0)
	s_lshl_b64 s[4:5], s[4:5], 3
	s_delay_alu instid0(SALU_CYCLE_1) | instskip(SKIP_2) | instid1(SALU_CYCLE_1)
	s_add_u32 s6, s6, s4
	s_addc_u32 s7, s7, s5
	s_lshl_b64 s[4:5], s[8:9], 3
	s_add_u32 s4, s6, s4
	s_addc_u32 s5, s7, s5
	s_and_not1_b32 vcc_lo, exec_lo, s10
	s_load_b64 s[6:7], s[4:5], 0x0
	s_mov_b64 s[4:5], 0
	s_cbranch_vccz .LBB138_14
; %bb.12:
	s_and_not1_b32 vcc_lo, exec_lo, s10
	s_cbranch_vccz .LBB138_15
.LBB138_13:
	s_load_b64 s[44:45], s[0:1], 0x0
	s_waitcnt lgkmcnt(0)
	v_cmp_lt_i64_e64 s0, s[44:45], 1
	s_delay_alu instid0(VALU_DEP_1)
	s_and_b32 vcc_lo, exec_lo, s0
	s_cbranch_vccz .LBB138_16
	s_branch .LBB138_70
.LBB138_14:
	s_waitcnt lgkmcnt(0)
	s_lshl_b64 s[4:5], s[6:7], 3
	s_delay_alu instid0(SALU_CYCLE_1)
	s_add_u32 s4, s44, s4
	s_addc_u32 s5, s45, s5
	s_load_b64 s[4:5], s[4:5], 0x0
	s_waitcnt lgkmcnt(0)
	s_sub_u32 s4, s4, s24
	s_subb_u32 s5, s5, 0
	s_and_not1_b32 vcc_lo, exec_lo, s10
	s_cbranch_vccnz .LBB138_13
.LBB138_15:
	s_waitcnt lgkmcnt(0)
	s_lshl_b64 s[8:9], s[6:7], 3
	s_delay_alu instid0(SALU_CYCLE_1)
	s_add_u32 s8, s44, s8
	s_addc_u32 s9, s45, s9
	s_load_b64 s[8:9], s[8:9], 0x8
	s_waitcnt lgkmcnt(0)
	s_sub_u32 s40, s8, s24
	s_subb_u32 s41, s9, 0
	s_load_b64 s[44:45], s[0:1], 0x0
	s_waitcnt lgkmcnt(0)
	v_cmp_lt_i64_e64 s0, s[44:45], 1
	s_delay_alu instid0(VALU_DEP_1)
	s_and_b32 vcc_lo, exec_lo, s0
	s_cbranch_vccnz .LBB138_70
.LBB138_16:
	s_lshl_b64 s[6:7], s[6:7], 3
	v_lshrrev_b32_e32 v2, 4, v0
	v_mbcnt_lo_u32_b32 v5, -1, 0
	s_add_u32 s0, s2, s6
	s_addc_u32 s1, s3, s7
	v_lshrrev_b32_e32 v8, 3, v0
	s_load_b64 s[8:9], s[0:1], 0x0
	v_add_co_u32 v3, s1, s4, v2
	v_xor_b32_e32 v2, 8, v5
	v_xor_b32_e32 v6, 4, v5
	;; [unrolled: 1-line block ×3, first 2 shown]
	v_add_co_ci_u32_e64 v4, null, s5, 0, s1
	s_delay_alu instid0(VALU_DEP_4) | instskip(SKIP_1) | instid1(VALU_DEP_3)
	v_cmp_gt_i32_e64 s2, 32, v2
	v_dual_mov_b32 v1, 0 :: v_dual_and_b32 v34, 15, v0
	v_cmp_gt_i64_e32 vcc_lo, s[40:41], v[3:4]
	s_mov_b32 s54, s27
	s_delay_alu instid0(VALU_DEP_3) | instskip(SKIP_3) | instid1(VALU_DEP_4)
	v_cndmask_b32_e64 v2, v5, v2, s2
	v_cmp_gt_i32_e64 s2, 32, v6
	v_sub_co_u32 v35, s1, v0, s27
	v_cmp_eq_u32_e64 s0, 0, v0
	v_lshlrev_b32_e32 v37, 2, v2
	v_xor_b32_e32 v2, 1, v5
	v_cndmask_b32_e64 v6, v5, v6, s2
	v_cmp_gt_i32_e64 s2, 32, v7
	s_waitcnt lgkmcnt(0)
	s_sub_u32 s18, s8, s26
	s_subb_u32 s19, s9, 0
	s_add_u32 s26, s42, s6
	s_addc_u32 s27, s43, s7
	v_cndmask_b32_e64 v7, v5, v7, s2
	v_cmp_gt_i32_e64 s2, 32, v2
	s_and_b32 s42, s10, vcc_lo
	v_lshlrev_b32_e32 v38, 2, v6
	s_add_u32 s43, s50, 8
	v_dual_mov_b32 v10, 0x800 :: v_dual_lshlrev_b32 v39, 2, v7
	v_cndmask_b32_e64 v2, v5, v2, s2
	v_xor_b32_e32 v5, 63, v5
	v_and_b32_e32 v41, 60, v8
	s_addc_u32 s55, s51, 0
	v_mov_b32_e32 v8, 0
	v_sub_co_ci_u32_e64 v36, null, 0, 0, s1
	v_lshrrev_b64 v[5:6], v5, -1
	v_mov_b32_e32 v6, s18
	v_cmp_eq_u32_e64 s1, 15, v34
	v_dual_mov_b32 v11, 0 :: v_dual_lshlrev_b32 v40, 2, v2
	v_cmp_eq_u32_e64 s2, 0x1ff, v0
	v_cmp_gt_u32_e64 s3, 32, v0
	v_cmp_gt_u32_e64 s4, 64, v0
	;; [unrolled: 1-line block ×15, first 2 shown]
	v_or_b32_e32 v42, 0xfffffe00, v0
	v_dual_mov_b32 v7, s19 :: v_dual_lshlrev_b32 v0, 3, v0
	s_add_u32 s38, s38, 4
	v_dual_mov_b32 v9, 0 :: v_dual_mov_b32 v2, v1
	v_mov_b32_e32 v43, 1
	s_addc_u32 s39, s39, 0
	s_add_u32 s56, s30, 4
	s_addc_u32 s57, s31, 0
	s_branch .LBB138_18
.LBB138_17:                             ;   in Loop: Header=BB138_18 Depth=1
	s_or_b32 exec_lo, exec_lo, s19
	ds_load_b64 v[8:9], v1 offset:18432
	s_waitcnt lgkmcnt(0)
	s_barrier
	buffer_gl0_inv
	v_cmp_le_i64_e32 vcc_lo, s[44:45], v[8:9]
	v_add_co_u32 v10, s18, 0x800, v8
	s_delay_alu instid0(VALU_DEP_1)
	v_add_co_ci_u32_e64 v11, s18, 0, v9, s18
	s_cbranch_vccnz .LBB138_70
.LBB138_18:                             ; =>This Loop Header: Depth=1
                                        ;     Child Loop BB138_19 Depth 2
                                        ;     Child Loop BB138_25 Depth 2
                                        ;       Child Loop BB138_33 Depth 3
                                        ;     Child Loop BB138_49 Depth 2
                                        ;     Child Loop BB138_61 Depth 2
	;; [unrolled: 1-line block ×3, first 2 shown]
	v_dual_mov_b32 v12, v0 :: v_dual_mov_b32 v13, v42
	s_mov_b32 s18, 0
.LBB138_19:                             ;   Parent Loop BB138_18 Depth=1
                                        ; =>  This Inner Loop Header: Depth=2
	ds_store_b8 v13, v1 offset:16896
	v_add_nc_u32_e32 v13, 0x200, v13
	ds_store_b64 v12, v[1:2]
	v_add_nc_u32_e32 v12, 0x1000, v12
	v_cmp_lt_u32_e32 vcc_lo, 0x5ff, v13
	s_or_b32 s18, vcc_lo, s18
	s_delay_alu instid0(SALU_CYCLE_1)
	s_and_not1_b32 exec_lo, exec_lo, s18
	s_cbranch_execnz .LBB138_19
; %bb.20:                               ;   in Loop: Header=BB138_18 Depth=1
	s_or_b32 exec_lo, exec_lo, s18
	s_and_saveexec_b32 s18, s0
	s_cbranch_execz .LBB138_22
; %bb.21:                               ;   in Loop: Header=BB138_18 Depth=1
	v_dual_mov_b32 v12, s44 :: v_dual_mov_b32 v13, s45
	ds_store_b64 v1, v[12:13] offset:18432
.LBB138_22:                             ;   in Loop: Header=BB138_18 Depth=1
	s_or_b32 exec_lo, exec_lo, s18
	v_dual_mov_b32 v12, s44 :: v_dual_mov_b32 v13, s45
	s_waitcnt lgkmcnt(0)
	s_barrier
	buffer_gl0_inv
	s_and_saveexec_b32 s30, s42
	s_cbranch_execz .LBB138_45
; %bb.23:                               ;   in Loop: Header=BB138_18 Depth=1
	v_cmp_ne_u64_e64 s18, 0, v[8:9]
	v_dual_mov_b32 v12, s44 :: v_dual_mov_b32 v13, s45
	v_dual_mov_b32 v15, v4 :: v_dual_mov_b32 v14, v3
	s_mov_b32 s31, 0
	s_branch .LBB138_25
.LBB138_24:                             ;   in Loop: Header=BB138_25 Depth=2
	s_or_b32 exec_lo, exec_lo, s58
	v_add_co_u32 v14, vcc_lo, v14, 32
	v_add_co_ci_u32_e32 v15, vcc_lo, 0, v15, vcc_lo
	s_delay_alu instid0(VALU_DEP_1) | instskip(SKIP_1) | instid1(SALU_CYCLE_1)
	v_cmp_le_i64_e32 vcc_lo, s[40:41], v[14:15]
	s_or_b32 s31, vcc_lo, s31
	s_and_not1_b32 exec_lo, exec_lo, s31
	s_cbranch_execz .LBB138_44
.LBB138_25:                             ;   Parent Loop BB138_18 Depth=1
                                        ; =>  This Loop Header: Depth=2
                                        ;       Child Loop BB138_33 Depth 3
	s_delay_alu instid0(VALU_DEP_1) | instskip(NEXT) | instid1(VALU_DEP_1)
	v_lshlrev_b64 v[16:17], 3, v[14:15]
	v_add_co_u32 v18, vcc_lo, s46, v16
	s_delay_alu instid0(VALU_DEP_2)
	v_add_co_ci_u32_e32 v19, vcc_lo, s47, v17, vcc_lo
	v_add_co_u32 v22, vcc_lo, s48, v16
	v_add_co_ci_u32_e32 v23, vcc_lo, s49, v17, vcc_lo
	s_and_b32 vcc_lo, exec_lo, s18
	s_waitcnt lgkmcnt(0)
	global_load_b64 v[20:21], v[18:19], off
	global_load_b64 v[22:23], v[22:23], off
	s_cbranch_vccz .LBB138_27
; %bb.26:                               ;   in Loop: Header=BB138_25 Depth=2
	v_add_co_u32 v18, vcc_lo, s22, v16
	v_add_co_ci_u32_e32 v19, vcc_lo, s23, v17, vcc_lo
	s_mov_b32 s19, 0
	global_load_b64 v[18:19], v[18:19], off
	s_branch .LBB138_28
.LBB138_27:                             ;   in Loop: Header=BB138_25 Depth=2
	s_mov_b32 s19, -1
                                        ; implicit-def: $vgpr18_vgpr19
.LBB138_28:                             ;   in Loop: Header=BB138_25 Depth=2
	s_waitcnt vmcnt(1)
	v_sub_co_u32 v20, vcc_lo, v20, s24
	v_subrev_co_ci_u32_e32 v21, vcc_lo, 0, v21, vcc_lo
	s_and_not1_b32 vcc_lo, exec_lo, s19
	s_delay_alu instid0(VALU_DEP_1)
	v_lshlrev_b64 v[20:21], 3, v[20:21]
	s_cbranch_vccnz .LBB138_30
; %bb.29:                               ;   in Loop: Header=BB138_25 Depth=2
	s_waitcnt vmcnt(0)
	s_delay_alu instid0(VALU_DEP_1) | instskip(NEXT) | instid1(VALU_DEP_2)
	v_add_co_u32 v18, vcc_lo, s50, v20
	v_add_co_ci_u32_e32 v19, vcc_lo, s51, v21, vcc_lo
	global_load_b64 v[18:19], v[18:19], off
	s_waitcnt vmcnt(0)
	v_sub_co_u32 v18, vcc_lo, v18, s25
	v_subrev_co_ci_u32_e32 v19, vcc_lo, 0, v19, vcc_lo
.LBB138_30:                             ;   in Loop: Header=BB138_25 Depth=2
	s_delay_alu instid0(VALU_DEP_1) | instskip(NEXT) | instid1(VALU_DEP_2)
	v_add_co_u32 v20, vcc_lo, s43, v20
	v_add_co_ci_u32_e32 v21, vcc_lo, s55, v21, vcc_lo
	s_mov_b32 s58, exec_lo
	global_load_b64 v[20:21], v[20:21], off
	s_waitcnt vmcnt(0)
	v_sub_co_u32 v20, vcc_lo, v20, s25
	v_subrev_co_ci_u32_e32 v21, vcc_lo, 0, v21, vcc_lo
	v_add_co_u32 v18, vcc_lo, v18, v34
	v_add_co_ci_u32_e32 v19, vcc_lo, 0, v19, vcc_lo
	s_delay_alu instid0(VALU_DEP_1)
	v_cmpx_lt_i64_e64 v[18:19], v[20:21]
	s_cbranch_execz .LBB138_42
; %bb.31:                               ;   in Loop: Header=BB138_25 Depth=2
	v_lshlrev_b64 v[24:25], 3, v[18:19]
	v_mul_f32_e64 v44, v23, -s35
	v_mul_f32_e32 v45, s33, v23
	v_mov_b32_e32 v29, v19
	s_mov_b32 s60, 0
	v_mov_b32_e32 v28, v18
	v_fmac_f32_e32 v44, s33, v22
	v_fmac_f32_e32 v45, s35, v22
	v_add_co_u32 v22, vcc_lo, s36, v24
	v_add_co_ci_u32_e32 v23, vcc_lo, s37, v25, vcc_lo
	v_add_co_u32 v24, vcc_lo, s38, v24
	v_add_co_ci_u32_e32 v25, vcc_lo, s39, v25, vcc_lo
                                        ; implicit-def: $sgpr59
                                        ; implicit-def: $sgpr61
	s_branch .LBB138_33
.LBB138_32:                             ;   in Loop: Header=BB138_33 Depth=3
	s_or_b32 exec_lo, exec_lo, s62
	s_delay_alu instid0(SALU_CYCLE_1) | instskip(SKIP_4) | instid1(SALU_CYCLE_1)
	s_and_b32 s19, exec_lo, s63
	v_dual_mov_b32 v28, v32 :: v_dual_mov_b32 v29, v33
	s_or_b32 s60, s19, s60
	s_and_not1_b32 s19, s59, exec_lo
	s_and_b32 s59, s61, exec_lo
	s_or_b32 s59, s19, s59
	s_and_not1_b32 exec_lo, exec_lo, s60
	s_cbranch_execz .LBB138_39
.LBB138_33:                             ;   Parent Loop BB138_18 Depth=1
                                        ;     Parent Loop BB138_25 Depth=2
                                        ; =>    This Inner Loop Header: Depth=3
	global_load_b64 v[26:27], v[22:23], off
	s_waitcnt vmcnt(0)
	v_sub_co_u32 v26, vcc_lo, v26, s25
	v_subrev_co_ci_u32_e32 v27, vcc_lo, 0, v27, vcc_lo
	s_delay_alu instid0(VALU_DEP_1)
	v_cmp_lt_i64_e32 vcc_lo, v[26:27], v[10:11]
	v_cmp_lt_i64_e64 s19, v[26:27], v[8:9]
	s_xor_b32 s62, vcc_lo, -1
	s_delay_alu instid0(VALU_DEP_1) | instid1(SALU_CYCLE_1)
	s_or_b32 s63, s19, s62
	s_mov_b32 s19, 0
                                        ; implicit-def: $sgpr62
	s_and_saveexec_b32 s64, s63
	s_delay_alu instid0(SALU_CYCLE_1)
	s_xor_b32 s63, exec_lo, s64
; %bb.34:                               ;   in Loop: Header=BB138_33 Depth=3
	s_mov_b32 s62, -1
	s_and_b32 s19, vcc_lo, exec_lo
; %bb.35:                               ;   in Loop: Header=BB138_33 Depth=3
	s_and_not1_saveexec_b32 s63, s63
	s_cbranch_execz .LBB138_37
; %bb.36:                               ;   in Loop: Header=BB138_33 Depth=3
	global_load_b64 v[30:31], v[24:25], off offset:-4
	v_sub_nc_u32_e32 v32, v26, v8
	s_or_b32 s19, s19, exec_lo
	ds_store_b8 v32, v43 offset:16384
	v_lshlrev_b32_e32 v46, 3, v32
	s_waitcnt vmcnt(0)
	v_mul_f32_e64 v33, v31, -v45
	v_mul_f32_e32 v31, v44, v31
	s_delay_alu instid0(VALU_DEP_2) | instskip(NEXT) | instid1(VALU_DEP_2)
	v_fmac_f32_e32 v33, v44, v30
	v_fmac_f32_e32 v31, v45, v30
	ds_add_f32 v46, v33
	ds_add_f32 v46, v31 offset:4
.LBB138_37:                             ;   in Loop: Header=BB138_33 Depth=3
	s_or_b32 exec_lo, exec_lo, s63
	v_dual_mov_b32 v31, v29 :: v_dual_mov_b32 v30, v28
	s_and_not1_b32 s61, s61, exec_lo
	s_and_b32 s62, s62, exec_lo
	s_mov_b32 s63, -1
	s_or_b32 s61, s61, s62
                                        ; implicit-def: $vgpr32_vgpr33
	s_and_saveexec_b32 s62, s19
	s_cbranch_execz .LBB138_32
; %bb.38:                               ;   in Loop: Header=BB138_33 Depth=3
	v_add_co_u32 v32, vcc_lo, v28, 16
	v_add_co_ci_u32_e32 v33, vcc_lo, 0, v29, vcc_lo
	v_add_co_u32 v22, vcc_lo, 0x80, v22
	v_add_co_ci_u32_e32 v23, vcc_lo, 0, v23, vcc_lo
	s_delay_alu instid0(VALU_DEP_3) | instskip(SKIP_1) | instid1(VALU_DEP_1)
	v_cmp_ge_i64_e32 vcc_lo, v[32:33], v[20:21]
	v_add_co_u32 v24, s19, 0x80, v24
	v_add_co_ci_u32_e64 v25, s19, 0, v25, s19
	v_dual_mov_b32 v31, v29 :: v_dual_mov_b32 v30, v28
	s_and_not1_b32 s61, s61, exec_lo
	s_or_not1_b32 s63, vcc_lo, exec_lo
	s_branch .LBB138_32
.LBB138_39:                             ;   in Loop: Header=BB138_25 Depth=2
	s_or_b32 exec_lo, exec_lo, s60
	s_and_saveexec_b32 s19, s59
	s_delay_alu instid0(SALU_CYCLE_1)
	s_xor_b32 s19, exec_lo, s19
; %bb.40:                               ;   in Loop: Header=BB138_25 Depth=2
	v_cmp_lt_i64_e32 vcc_lo, v[26:27], v[12:13]
	v_dual_mov_b32 v18, v30 :: v_dual_mov_b32 v19, v31
	v_dual_cndmask_b32 v13, v13, v27 :: v_dual_cndmask_b32 v12, v12, v26
; %bb.41:                               ;   in Loop: Header=BB138_25 Depth=2
	s_or_b32 exec_lo, exec_lo, s19
.LBB138_42:                             ;   in Loop: Header=BB138_25 Depth=2
	s_delay_alu instid0(SALU_CYCLE_1)
	s_or_b32 exec_lo, exec_lo, s58
	ds_bpermute_b32 v20, v37, v18
	ds_bpermute_b32 v21, v37, v19
	s_waitcnt lgkmcnt(0)
	v_cmp_lt_i64_e32 vcc_lo, v[20:21], v[18:19]
	v_dual_cndmask_b32 v19, v19, v21 :: v_dual_cndmask_b32 v18, v18, v20
	ds_bpermute_b32 v21, v38, v19
	ds_bpermute_b32 v20, v38, v18
	s_waitcnt lgkmcnt(0)
	v_cmp_lt_i64_e32 vcc_lo, v[20:21], v[18:19]
	v_dual_cndmask_b32 v19, v19, v21 :: v_dual_cndmask_b32 v18, v18, v20
	;; [unrolled: 5-line block ×3, first 2 shown]
	ds_bpermute_b32 v21, v40, v19
	ds_bpermute_b32 v20, v40, v18
	s_and_saveexec_b32 s58, s1
	s_cbranch_execz .LBB138_24
; %bb.43:                               ;   in Loop: Header=BB138_25 Depth=2
	s_waitcnt lgkmcnt(0)
	v_cmp_lt_i64_e32 vcc_lo, v[20:21], v[18:19]
	v_add_co_u32 v16, s19, s22, v16
	s_delay_alu instid0(VALU_DEP_1)
	v_add_co_ci_u32_e64 v17, s19, s23, v17, s19
	v_dual_cndmask_b32 v19, v19, v21 :: v_dual_cndmask_b32 v18, v18, v20
	global_store_b64 v[16:17], v[18:19], off
	s_branch .LBB138_24
.LBB138_44:                             ;   in Loop: Header=BB138_18 Depth=1
	s_or_b32 exec_lo, exec_lo, s31
.LBB138_45:                             ;   in Loop: Header=BB138_18 Depth=1
	s_delay_alu instid0(SALU_CYCLE_1) | instskip(NEXT) | instid1(SALU_CYCLE_1)
	s_or_b32 exec_lo, exec_lo, s30
	s_and_not1_b32 vcc_lo, exec_lo, s34
	s_cbranch_vccnz .LBB138_59
; %bb.46:                               ;   in Loop: Header=BB138_18 Depth=1
	s_load_b128 s[60:63], s[26:27], 0x0
	s_mov_b32 s19, exec_lo
	s_waitcnt lgkmcnt(0)
	v_add_co_u32 v14, vcc_lo, s60, v35
	v_add_co_ci_u32_e32 v15, vcc_lo, s61, v36, vcc_lo
	s_sub_u32 s30, s62, s54
	s_subb_u32 s31, s63, 0
	s_delay_alu instid0(VALU_DEP_1) | instid1(SALU_CYCLE_1)
	v_cmpx_gt_i64_e64 s[30:31], v[14:15]
	s_cbranch_execz .LBB138_58
; %bb.47:                               ;   in Loop: Header=BB138_18 Depth=1
	v_lshlrev_b64 v[18:19], 3, v[14:15]
	s_mov_b32 s58, 0
                                        ; implicit-def: $sgpr59
                                        ; implicit-def: $sgpr60
	s_delay_alu instid0(VALU_DEP_1) | instskip(NEXT) | instid1(VALU_DEP_2)
	v_add_co_u32 v16, vcc_lo, s28, v18
	v_add_co_ci_u32_e32 v17, vcc_lo, s29, v19, vcc_lo
	v_add_co_u32 v18, vcc_lo, s56, v18
	v_add_co_ci_u32_e32 v19, vcc_lo, s57, v19, vcc_lo
	s_branch .LBB138_49
.LBB138_48:                             ;   in Loop: Header=BB138_49 Depth=2
	s_or_b32 exec_lo, exec_lo, s61
	s_delay_alu instid0(SALU_CYCLE_1) | instskip(NEXT) | instid1(SALU_CYCLE_1)
	s_and_b32 s18, exec_lo, s62
	s_or_b32 s58, s18, s58
	s_and_not1_b32 s18, s59, exec_lo
	s_and_b32 s59, s60, exec_lo
	s_delay_alu instid0(SALU_CYCLE_1)
	s_or_b32 s59, s18, s59
	s_and_not1_b32 exec_lo, exec_lo, s58
	s_cbranch_execz .LBB138_55
.LBB138_49:                             ;   Parent Loop BB138_18 Depth=1
                                        ; =>  This Inner Loop Header: Depth=2
	global_load_b64 v[20:21], v[16:17], off
	s_waitcnt vmcnt(0)
	v_sub_co_u32 v20, vcc_lo, v20, s54
	v_subrev_co_ci_u32_e32 v21, vcc_lo, 0, v21, vcc_lo
	s_delay_alu instid0(VALU_DEP_1)
	v_cmp_lt_i64_e32 vcc_lo, v[20:21], v[10:11]
	v_cmp_lt_i64_e64 s18, v[20:21], v[8:9]
	s_xor_b32 s61, vcc_lo, -1
	s_delay_alu instid0(VALU_DEP_1) | instid1(SALU_CYCLE_1)
	s_or_b32 s62, s18, s61
	s_mov_b32 s18, 0
                                        ; implicit-def: $sgpr61
	s_and_saveexec_b32 s63, s62
	s_delay_alu instid0(SALU_CYCLE_1)
	s_xor_b32 s62, exec_lo, s63
; %bb.50:                               ;   in Loop: Header=BB138_49 Depth=2
	s_mov_b32 s61, -1
	s_and_b32 s18, vcc_lo, exec_lo
; %bb.51:                               ;   in Loop: Header=BB138_49 Depth=2
	s_and_not1_saveexec_b32 s62, s62
	s_cbranch_execz .LBB138_53
; %bb.52:                               ;   in Loop: Header=BB138_49 Depth=2
	global_load_b64 v[22:23], v[18:19], off offset:-4
	v_sub_nc_u32_e32 v24, v20, v8
	s_or_b32 s18, s18, exec_lo
	ds_store_b8 v24, v43 offset:16384
	v_lshlrev_b32_e32 v26, 3, v24
	s_waitcnt vmcnt(0)
	v_mul_f32_e64 v25, v23, -s53
	v_mul_f32_e32 v23, s52, v23
	s_delay_alu instid0(VALU_DEP_2) | instskip(NEXT) | instid1(VALU_DEP_2)
	v_fmac_f32_e32 v25, s52, v22
	v_fmac_f32_e32 v23, s53, v22
	ds_add_f32 v26, v25
	ds_add_f32 v26, v23 offset:4
.LBB138_53:                             ;   in Loop: Header=BB138_49 Depth=2
	s_or_b32 exec_lo, exec_lo, s62
	s_delay_alu instid0(SALU_CYCLE_1)
	s_and_not1_b32 s60, s60, exec_lo
	s_and_b32 s61, s61, exec_lo
	s_mov_b32 s62, -1
	s_or_b32 s60, s60, s61
	s_and_saveexec_b32 s61, s18
	s_cbranch_execz .LBB138_48
; %bb.54:                               ;   in Loop: Header=BB138_49 Depth=2
	v_add_co_u32 v14, vcc_lo, 0x200, v14
	v_add_co_ci_u32_e32 v15, vcc_lo, 0, v15, vcc_lo
	v_add_co_u32 v16, vcc_lo, 0x1000, v16
	v_add_co_ci_u32_e32 v17, vcc_lo, 0, v17, vcc_lo
	s_delay_alu instid0(VALU_DEP_3) | instskip(SKIP_1) | instid1(VALU_DEP_1)
	v_cmp_le_i64_e32 vcc_lo, s[30:31], v[14:15]
	v_add_co_u32 v18, s18, 0x1000, v18
	v_add_co_ci_u32_e64 v19, s18, 0, v19, s18
	s_and_not1_b32 s60, s60, exec_lo
	s_or_not1_b32 s62, vcc_lo, exec_lo
	s_branch .LBB138_48
.LBB138_55:                             ;   in Loop: Header=BB138_18 Depth=1
	s_or_b32 exec_lo, exec_lo, s58
	s_and_saveexec_b32 s18, s59
	s_delay_alu instid0(SALU_CYCLE_1)
	s_xor_b32 s18, exec_lo, s18
; %bb.56:                               ;   in Loop: Header=BB138_18 Depth=1
	v_cmp_lt_i64_e32 vcc_lo, v[20:21], v[12:13]
	v_dual_cndmask_b32 v13, v13, v21 :: v_dual_cndmask_b32 v12, v12, v20
; %bb.57:                               ;   in Loop: Header=BB138_18 Depth=1
	s_or_b32 exec_lo, exec_lo, s18
.LBB138_58:                             ;   in Loop: Header=BB138_18 Depth=1
	s_delay_alu instid0(SALU_CYCLE_1)
	s_or_b32 exec_lo, exec_lo, s19
.LBB138_59:                             ;   in Loop: Header=BB138_18 Depth=1
	ds_bpermute_b32 v8, v37, v12
	ds_bpermute_b32 v9, v37, v13
	s_waitcnt lgkmcnt(0)
	v_cmp_lt_i64_e32 vcc_lo, v[8:9], v[12:13]
	v_dual_cndmask_b32 v9, v13, v9 :: v_dual_cndmask_b32 v8, v12, v8
	ds_bpermute_b32 v11, v38, v9
	ds_bpermute_b32 v10, v38, v8
	s_waitcnt lgkmcnt(0)
	v_cmp_lt_i64_e32 vcc_lo, v[10:11], v[8:9]
	v_dual_cndmask_b32 v9, v9, v11 :: v_dual_cndmask_b32 v8, v8, v10
	;; [unrolled: 5-line block ×3, first 2 shown]
	ds_bpermute_b32 v11, v40, v9
	ds_bpermute_b32 v10, v40, v8
	s_and_saveexec_b32 s30, s1
	s_cbranch_execz .LBB138_64
; %bb.60:                               ;   in Loop: Header=BB138_18 Depth=1
	s_waitcnt lgkmcnt(0)
	v_cmp_lt_i64_e32 vcc_lo, v[10:11], v[8:9]
	s_mov_b32 s31, exec_lo
	s_mov_b64 s[18:19], -1
	v_dual_cndmask_b32 v9, v9, v11 :: v_dual_cndmask_b32 v8, v8, v10
.LBB138_61:                             ;   Parent Loop BB138_18 Depth=1
                                        ; =>  This Inner Loop Header: Depth=2
	s_ctz_i32_b32 s60, s31
	s_delay_alu instid0(VALU_DEP_1) | instid1(SALU_CYCLE_1)
	v_readlane_b32 s59, v9, s60
	s_delay_alu instid0(VALU_DEP_2) | instskip(NEXT) | instid1(VALU_DEP_1)
	v_readlane_b32 s58, v8, s60
	v_cmp_lt_u64_e64 s61, s[18:19], s[58:59]
	s_delay_alu instid0(VALU_DEP_1) | instskip(SKIP_3) | instid1(SALU_CYCLE_1)
	s_and_b32 s61, s61, exec_lo
	s_cselect_b32 s19, s19, s59
	s_cselect_b32 s18, s18, s58
	s_lshl_b32 s58, 1, s60
	s_and_not1_b32 s31, s31, s58
	s_delay_alu instid0(SALU_CYCLE_1)
	s_cmp_lg_u32 s31, 0
	s_cbranch_scc1 .LBB138_61
; %bb.62:                               ;   in Loop: Header=BB138_18 Depth=1
	v_mbcnt_lo_u32_b32 v8, exec_lo, 0
	s_mov_b32 s31, exec_lo
	s_delay_alu instid0(VALU_DEP_1)
	v_cmpx_eq_u32_e32 0, v8
	s_xor_b32 s31, exec_lo, s31
	s_cbranch_execz .LBB138_64
; %bb.63:                               ;   in Loop: Header=BB138_18 Depth=1
	v_dual_mov_b32 v8, s18 :: v_dual_mov_b32 v9, s19
	ds_min_u64 v1, v[8:9] offset:18432
.LBB138_64:                             ;   in Loop: Header=BB138_18 Depth=1
	s_or_b32 exec_lo, exec_lo, s30
	v_dual_mov_b32 v12, v0 :: v_dual_mov_b32 v13, v42
	s_mov_b32 s19, 0
	s_waitcnt lgkmcnt(0)
	s_waitcnt_vscnt null, 0x0
	s_barrier
	buffer_gl0_inv
	s_branch .LBB138_66
.LBB138_65:                             ;   in Loop: Header=BB138_66 Depth=2
	s_or_b32 exec_lo, exec_lo, s18
	s_waitcnt lgkmcnt(0)
	s_waitcnt_vscnt null, 0x0
	s_barrier
	buffer_gl0_inv
	ds_load_b32 v8, v1 offset:60
	v_add_nc_u32_e32 v13, 0x200, v13
	v_add_nc_u32_e32 v12, 0x1000, v12
	s_delay_alu instid0(VALU_DEP_2) | instskip(SKIP_4) | instid1(VALU_DEP_1)
	v_cmp_lt_u32_e32 vcc_lo, 0x5ff, v13
	s_or_b32 s19, vcc_lo, s19
	s_waitcnt lgkmcnt(0)
	v_ashrrev_i32_e32 v9, 31, v8
	v_add_co_u32 v6, s18, v6, v8
	v_add_co_ci_u32_e64 v7, s18, v7, v9, s18
	s_and_not1_b32 exec_lo, exec_lo, s19
	s_cbranch_execz .LBB138_17
.LBB138_66:                             ;   Parent Loop BB138_18 Depth=1
                                        ; =>  This Inner Loop Header: Depth=2
	ds_load_u8 v10, v13 offset:16896
	ds_load_b64 v[8:9], v12
	s_waitcnt lgkmcnt(0)
	s_barrier
	buffer_gl0_inv
	v_cmp_ne_u16_e32 vcc_lo, 0, v10
	s_bcnt1_i32_b32 s18, vcc_lo
	s_delay_alu instid0(SALU_CYCLE_1)
	v_mov_b32_e32 v11, s18
	s_mov_b32 s18, exec_lo
	ds_store_b32 v41, v11
	s_waitcnt lgkmcnt(0)
	s_barrier
	buffer_gl0_inv
	ds_load_b128 v[14:17], v1
	ds_load_b128 v[18:21], v1 offset:16
	v_and_b32_e32 v11, vcc_lo, v5
	ds_load_b128 v[22:25], v1 offset:32
	s_waitcnt lgkmcnt(2)
	v_cndmask_b32_e64 v14, v14, 0, s3
	v_cndmask_b32_e64 v26, v15, 0, s4
	;; [unrolled: 1-line block ×4, first 2 shown]
	s_waitcnt lgkmcnt(1)
	v_cndmask_b32_e64 v18, v18, 0, s7
	v_bcnt_u32_b32 v11, v11, v14
	ds_load_b96 v[14:16], v1 offset:48
	v_cndmask_b32_e64 v19, v19, 0, s8
	v_cndmask_b32_e64 v20, v20, 0, s9
	v_add3_u32 v11, v11, v26, v27
	s_delay_alu instid0(VALU_DEP_1) | instskip(SKIP_3) | instid1(VALU_DEP_3)
	v_add3_u32 v11, v11, v17, v18
	v_cndmask_b32_e64 v17, v21, 0, s10
	s_waitcnt lgkmcnt(1)
	v_cndmask_b32_e64 v18, v22, 0, s11
	v_add3_u32 v11, v11, v19, v20
	v_cndmask_b32_e64 v19, v23, 0, s12
	v_cndmask_b32_e64 v20, v24, 0, s13
	s_delay_alu instid0(VALU_DEP_3)
	v_add3_u32 v11, v11, v17, v18
	v_cndmask_b32_e64 v17, v25, 0, s14
	s_waitcnt lgkmcnt(0)
	v_cndmask_b32_e64 v14, v14, 0, s15
	v_cndmask_b32_e64 v15, v15, 0, s16
	;; [unrolled: 1-line block ×3, first 2 shown]
	v_add3_u32 v11, v11, v19, v20
	s_delay_alu instid0(VALU_DEP_1) | instskip(SKIP_1) | instid1(VALU_DEP_2)
	v_add3_u32 v11, v11, v17, v14
	v_and_b32_e32 v14, 1, v10
	v_add3_u32 v10, v11, v15, v16
	s_delay_alu instid0(VALU_DEP_2)
	v_cmpx_eq_u32_e32 1, v14
	s_cbranch_execz .LBB138_68
; %bb.67:                               ;   in Loop: Header=BB138_66 Depth=2
	s_delay_alu instid0(VALU_DEP_2) | instskip(SKIP_1) | instid1(VALU_DEP_2)
	v_ashrrev_i32_e32 v11, 31, v10
	v_lshlrev_b64 v[14:15], 3, v[6:7]
	v_lshlrev_b64 v[16:17], 3, v[10:11]
	s_delay_alu instid0(VALU_DEP_2) | instskip(NEXT) | instid1(VALU_DEP_3)
	v_add_co_u32 v11, vcc_lo, s20, v14
	v_add_co_ci_u32_e32 v15, vcc_lo, s21, v15, vcc_lo
	s_delay_alu instid0(VALU_DEP_2) | instskip(NEXT) | instid1(VALU_DEP_2)
	v_add_co_u32 v14, vcc_lo, v11, v16
	v_add_co_ci_u32_e32 v15, vcc_lo, v15, v17, vcc_lo
	global_store_b64 v[14:15], v[8:9], off offset:-8
.LBB138_68:                             ;   in Loop: Header=BB138_66 Depth=2
	s_or_b32 exec_lo, exec_lo, s18
	s_and_saveexec_b32 s18, s2
	s_cbranch_execz .LBB138_65
; %bb.69:                               ;   in Loop: Header=BB138_66 Depth=2
	ds_store_b32 v1, v10 offset:60
	s_branch .LBB138_65
.LBB138_70:
	s_endpgm
	.section	.rodata,"a",@progbits
	.p2align	6, 0x0
	.amdhsa_kernel _ZN9rocsparseL51csrgemm_numeric_fill_block_per_row_multipass_kernelILj512ELj16ELj2048ELj32Ell21rocsparse_complex_numIfEEEvT4_PKS3_S5_NS_24const_host_device_scalarIT5_EEPKT3_S5_PKS7_SB_S5_SD_S8_SB_S5_SD_SB_S5_PS7_PS9_21rocsparse_index_base_SG_SG_SG_bbb
		.amdhsa_group_segment_fixed_size 18440
		.amdhsa_private_segment_fixed_size 0
		.amdhsa_kernarg_size 164
		.amdhsa_user_sgpr_count 15
		.amdhsa_user_sgpr_dispatch_ptr 0
		.amdhsa_user_sgpr_queue_ptr 0
		.amdhsa_user_sgpr_kernarg_segment_ptr 1
		.amdhsa_user_sgpr_dispatch_id 0
		.amdhsa_user_sgpr_private_segment_size 0
		.amdhsa_wavefront_size32 1
		.amdhsa_uses_dynamic_stack 0
		.amdhsa_enable_private_segment 0
		.amdhsa_system_sgpr_workgroup_id_x 1
		.amdhsa_system_sgpr_workgroup_id_y 0
		.amdhsa_system_sgpr_workgroup_id_z 0
		.amdhsa_system_sgpr_workgroup_info 0
		.amdhsa_system_vgpr_workitem_id 0
		.amdhsa_next_free_vgpr 47
		.amdhsa_next_free_sgpr 65
		.amdhsa_reserve_vcc 1
		.amdhsa_float_round_mode_32 0
		.amdhsa_float_round_mode_16_64 0
		.amdhsa_float_denorm_mode_32 3
		.amdhsa_float_denorm_mode_16_64 3
		.amdhsa_dx10_clamp 1
		.amdhsa_ieee_mode 1
		.amdhsa_fp16_overflow 0
		.amdhsa_workgroup_processor_mode 1
		.amdhsa_memory_ordered 1
		.amdhsa_forward_progress 0
		.amdhsa_shared_vgpr_count 0
		.amdhsa_exception_fp_ieee_invalid_op 0
		.amdhsa_exception_fp_denorm_src 0
		.amdhsa_exception_fp_ieee_div_zero 0
		.amdhsa_exception_fp_ieee_overflow 0
		.amdhsa_exception_fp_ieee_underflow 0
		.amdhsa_exception_fp_ieee_inexact 0
		.amdhsa_exception_int_div_zero 0
	.end_amdhsa_kernel
	.section	.text._ZN9rocsparseL51csrgemm_numeric_fill_block_per_row_multipass_kernelILj512ELj16ELj2048ELj32Ell21rocsparse_complex_numIfEEEvT4_PKS3_S5_NS_24const_host_device_scalarIT5_EEPKT3_S5_PKS7_SB_S5_SD_S8_SB_S5_SD_SB_S5_PS7_PS9_21rocsparse_index_base_SG_SG_SG_bbb,"axG",@progbits,_ZN9rocsparseL51csrgemm_numeric_fill_block_per_row_multipass_kernelILj512ELj16ELj2048ELj32Ell21rocsparse_complex_numIfEEEvT4_PKS3_S5_NS_24const_host_device_scalarIT5_EEPKT3_S5_PKS7_SB_S5_SD_S8_SB_S5_SD_SB_S5_PS7_PS9_21rocsparse_index_base_SG_SG_SG_bbb,comdat
.Lfunc_end138:
	.size	_ZN9rocsparseL51csrgemm_numeric_fill_block_per_row_multipass_kernelILj512ELj16ELj2048ELj32Ell21rocsparse_complex_numIfEEEvT4_PKS3_S5_NS_24const_host_device_scalarIT5_EEPKT3_S5_PKS7_SB_S5_SD_S8_SB_S5_SD_SB_S5_PS7_PS9_21rocsparse_index_base_SG_SG_SG_bbb, .Lfunc_end138-_ZN9rocsparseL51csrgemm_numeric_fill_block_per_row_multipass_kernelILj512ELj16ELj2048ELj32Ell21rocsparse_complex_numIfEEEvT4_PKS3_S5_NS_24const_host_device_scalarIT5_EEPKT3_S5_PKS7_SB_S5_SD_S8_SB_S5_SD_SB_S5_PS7_PS9_21rocsparse_index_base_SG_SG_SG_bbb
                                        ; -- End function
	.section	.AMDGPU.csdata,"",@progbits
; Kernel info:
; codeLenInByte = 3372
; NumSgprs: 67
; NumVgprs: 47
; ScratchSize: 0
; MemoryBound: 0
; FloatMode: 240
; IeeeMode: 1
; LDSByteSize: 18440 bytes/workgroup (compile time only)
; SGPRBlocks: 8
; VGPRBlocks: 5
; NumSGPRsForWavesPerEU: 67
; NumVGPRsForWavesPerEU: 47
; Occupancy: 16
; WaveLimiterHint : 1
; COMPUTE_PGM_RSRC2:SCRATCH_EN: 0
; COMPUTE_PGM_RSRC2:USER_SGPR: 15
; COMPUTE_PGM_RSRC2:TRAP_HANDLER: 0
; COMPUTE_PGM_RSRC2:TGID_X_EN: 1
; COMPUTE_PGM_RSRC2:TGID_Y_EN: 0
; COMPUTE_PGM_RSRC2:TGID_Z_EN: 0
; COMPUTE_PGM_RSRC2:TIDIG_COMP_CNT: 0
	.section	.text._ZN9rocsparseL51csrgemm_numeric_fill_block_per_row_multipass_kernelILj512ELj16ELj2048ELj64Ell21rocsparse_complex_numIfEEEvT4_PKS3_S5_NS_24const_host_device_scalarIT5_EEPKT3_S5_PKS7_SB_S5_SD_S8_SB_S5_SD_SB_S5_PS7_PS9_21rocsparse_index_base_SG_SG_SG_bbb,"axG",@progbits,_ZN9rocsparseL51csrgemm_numeric_fill_block_per_row_multipass_kernelILj512ELj16ELj2048ELj64Ell21rocsparse_complex_numIfEEEvT4_PKS3_S5_NS_24const_host_device_scalarIT5_EEPKT3_S5_PKS7_SB_S5_SD_S8_SB_S5_SD_SB_S5_PS7_PS9_21rocsparse_index_base_SG_SG_SG_bbb,comdat
	.globl	_ZN9rocsparseL51csrgemm_numeric_fill_block_per_row_multipass_kernelILj512ELj16ELj2048ELj64Ell21rocsparse_complex_numIfEEEvT4_PKS3_S5_NS_24const_host_device_scalarIT5_EEPKT3_S5_PKS7_SB_S5_SD_S8_SB_S5_SD_SB_S5_PS7_PS9_21rocsparse_index_base_SG_SG_SG_bbb ; -- Begin function _ZN9rocsparseL51csrgemm_numeric_fill_block_per_row_multipass_kernelILj512ELj16ELj2048ELj64Ell21rocsparse_complex_numIfEEEvT4_PKS3_S5_NS_24const_host_device_scalarIT5_EEPKT3_S5_PKS7_SB_S5_SD_S8_SB_S5_SD_SB_S5_PS7_PS9_21rocsparse_index_base_SG_SG_SG_bbb
	.p2align	8
	.type	_ZN9rocsparseL51csrgemm_numeric_fill_block_per_row_multipass_kernelILj512ELj16ELj2048ELj64Ell21rocsparse_complex_numIfEEEvT4_PKS3_S5_NS_24const_host_device_scalarIT5_EEPKT3_S5_PKS7_SB_S5_SD_S8_SB_S5_SD_SB_S5_PS7_PS9_21rocsparse_index_base_SG_SG_SG_bbb,@function
_ZN9rocsparseL51csrgemm_numeric_fill_block_per_row_multipass_kernelILj512ELj16ELj2048ELj64Ell21rocsparse_complex_numIfEEEvT4_PKS3_S5_NS_24const_host_device_scalarIT5_EEPKT3_S5_PKS7_SB_S5_SD_S8_SB_S5_SD_SB_S5_PS7_PS9_21rocsparse_index_base_SG_SG_SG_bbb: ; @_ZN9rocsparseL51csrgemm_numeric_fill_block_per_row_multipass_kernelILj512ELj16ELj2048ELj64Ell21rocsparse_complex_numIfEEEvT4_PKS3_S5_NS_24const_host_device_scalarIT5_EEPKT3_S5_PKS7_SB_S5_SD_S8_SB_S5_SD_SB_S5_PS7_PS9_21rocsparse_index_base_SG_SG_SG_bbb
; %bb.0:
	s_mov_b32 s8, s15
	s_clause 0x6
	s_load_b32 s11, s[0:1], 0xa0
	s_load_b256 s[12:19], s[0:1], 0x80
	s_load_b64 s[2:3], s[0:1], 0x70
	s_load_b128 s[28:31], s[0:1], 0x60
	s_load_b256 s[20:27], s[0:1], 0x40
	s_load_b128 s[4:7], s[0:1], 0x8
	s_load_b256 s[36:43], s[0:1], 0x20
	s_mov_b32 s35, 0
	s_mov_b32 s33, 0
	s_waitcnt lgkmcnt(0)
	s_bitcmp1_b32 s11, 0
	s_cselect_b32 s10, -1, 0
	s_bitcmp1_b32 s11, 16
	s_cselect_b32 s9, -1, 0
	s_delay_alu instid0(SALU_CYCLE_1)
	s_xor_b32 s9, s9, -1
	s_bitcmp0_b32 s11, 0
	s_cbranch_scc1 .LBB139_5
; %bb.1:
	s_load_b64 s[34:35], s[0:1], 0x18
	s_and_not1_b32 vcc_lo, exec_lo, s9
	s_waitcnt lgkmcnt(0)
	s_mov_b32 s33, s34
	s_cbranch_vccnz .LBB139_3
; %bb.2:
	s_load_b32 s33, s[34:35], 0x0
.LBB139_3:
	s_and_not1_b32 vcc_lo, exec_lo, s9
	s_cbranch_vccnz .LBB139_5
; %bb.4:
	s_load_b32 s35, s[34:35], 0x4
.LBB139_5:
	s_bitcmp1_b32 s11, 8
	s_mov_b32 s45, 0
	s_cselect_b32 s34, -1, 0
	s_bfe_u32 s11, s11, 0x10008
	s_mov_b32 s44, 0
	s_cmp_eq_u32 s11, 0
	s_cbranch_scc1 .LBB139_11
; %bb.6:
	v_cndmask_b32_e64 v1, 0, 1, s9
	s_and_not1_b32 vcc_lo, exec_lo, s9
	s_mov_b32 s44, s24
	s_cbranch_vccnz .LBB139_8
; %bb.7:
	s_load_b32 s44, s[24:25], 0x0
.LBB139_8:
	s_delay_alu instid0(VALU_DEP_1)
	v_cmp_ne_u32_e32 vcc_lo, 1, v1
	s_cbranch_vccnz .LBB139_10
; %bb.9:
	s_load_b32 s25, s[24:25], 0x4
.LBB139_10:
	s_waitcnt lgkmcnt(0)
	s_mov_b32 s45, s25
.LBB139_11:
	s_load_b64 s[4:5], s[4:5], 0x0
	s_mov_b32 s9, 0
	s_mov_b64 s[24:25], 0
	s_waitcnt lgkmcnt(0)
	s_lshl_b64 s[4:5], s[4:5], 3
	s_delay_alu instid0(SALU_CYCLE_1) | instskip(SKIP_2) | instid1(SALU_CYCLE_1)
	s_add_u32 s6, s6, s4
	s_addc_u32 s7, s7, s5
	s_lshl_b64 s[4:5], s[8:9], 3
	s_add_u32 s4, s6, s4
	s_addc_u32 s5, s7, s5
	s_and_not1_b32 vcc_lo, exec_lo, s10
	s_load_b64 s[6:7], s[4:5], 0x0
	s_mov_b64 s[4:5], 0
	s_cbranch_vccz .LBB139_14
; %bb.12:
	s_and_not1_b32 vcc_lo, exec_lo, s10
	s_cbranch_vccz .LBB139_15
.LBB139_13:
	s_load_b64 s[36:37], s[0:1], 0x0
	s_waitcnt lgkmcnt(0)
	v_cmp_lt_i64_e64 s0, s[36:37], 1
	s_delay_alu instid0(VALU_DEP_1)
	s_and_b32 vcc_lo, exec_lo, s0
	s_cbranch_vccz .LBB139_16
	s_branch .LBB139_70
.LBB139_14:
	s_waitcnt lgkmcnt(0)
	s_lshl_b64 s[4:5], s[6:7], 3
	s_delay_alu instid0(SALU_CYCLE_1)
	s_add_u32 s4, s36, s4
	s_addc_u32 s5, s37, s5
	s_load_b64 s[4:5], s[4:5], 0x0
	s_waitcnt lgkmcnt(0)
	s_sub_u32 s4, s4, s16
	s_subb_u32 s5, s5, 0
	s_and_not1_b32 vcc_lo, exec_lo, s10
	s_cbranch_vccnz .LBB139_13
.LBB139_15:
	s_waitcnt lgkmcnt(0)
	s_lshl_b64 s[8:9], s[6:7], 3
	s_delay_alu instid0(SALU_CYCLE_1)
	s_add_u32 s8, s36, s8
	s_addc_u32 s9, s37, s9
	s_load_b64 s[8:9], s[8:9], 0x8
	s_waitcnt lgkmcnt(0)
	s_sub_u32 s24, s8, s16
	s_subb_u32 s25, s9, 0
	s_load_b64 s[36:37], s[0:1], 0x0
	s_waitcnt lgkmcnt(0)
	v_cmp_lt_i64_e64 s0, s[36:37], 1
	s_delay_alu instid0(VALU_DEP_1)
	s_and_b32 vcc_lo, exec_lo, s0
	s_cbranch_vccnz .LBB139_70
.LBB139_16:
	s_lshl_b64 s[6:7], s[6:7], 3
	v_mbcnt_lo_u32_b32 v5, -1, 0
	s_add_u32 s0, s2, s6
	s_addc_u32 s1, s3, s7
	v_lshrrev_b32_e32 v2, 4, v0
	s_load_b64 s[2:3], s[0:1], 0x0
	v_xor_b32_e32 v6, 8, v5
	v_xor_b32_e32 v7, 4, v5
	;; [unrolled: 1-line block ×3, first 2 shown]
	v_sub_co_u32 v35, s1, v0, s19
	v_xor_b32_e32 v9, 1, v5
	v_sub_co_ci_u32_e64 v36, null, 0, 0, s1
	v_add_co_u32 v3, s1, s4, v2
	s_delay_alu instid0(VALU_DEP_1) | instskip(SKIP_2) | instid1(VALU_DEP_2)
	v_add_co_ci_u32_e64 v4, null, s5, 0, s1
	v_dual_mov_b32 v1, 0 :: v_dual_and_b32 v34, 15, v0
	s_mov_b32 s46, s19
	v_cmp_gt_i64_e32 vcc_lo, s[24:25], v[3:4]
	v_cmp_eq_u32_e64 s0, 0, v0
	s_delay_alu instid0(VALU_DEP_3)
	v_cmp_eq_u32_e64 s1, 15, v34
	v_cmp_gt_u32_e64 s4, 0x80, v0
	s_waitcnt lgkmcnt(0)
	s_sub_u32 s50, s2, s18
	v_cmp_gt_i32_e64 s2, 32, v6
	s_subb_u32 s51, s3, 0
	s_add_u32 s18, s26, s6
	s_addc_u32 s19, s27, s7
	s_and_b32 s26, s10, vcc_lo
	v_cndmask_b32_e64 v6, v5, v6, s2
	v_cmp_gt_i32_e64 s2, 32, v7
	s_add_u32 s27, s42, 8
	v_and_b32_e32 v41, 28, v2
	s_addc_u32 s47, s43, 0
	v_lshlrev_b32_e32 v37, 2, v6
	v_cndmask_b32_e64 v7, v5, v7, s2
	v_cmp_gt_i32_e64 s2, 32, v8
	v_cmp_gt_u32_e64 s3, 64, v0
	v_cmp_gt_u32_e64 s5, 0xc0, v0
	;; [unrolled: 1-line block ×3, first 2 shown]
	v_lshlrev_b32_e32 v38, 2, v7
	v_cndmask_b32_e64 v8, v5, v8, s2
	v_cmp_gt_i32_e64 s2, 32, v9
	v_mov_b32_e32 v10, 0x800
	v_cmp_gt_u32_e64 s7, 0x140, v0
	v_cmp_gt_u32_e64 s8, 0x180, v0
	v_lshlrev_b32_e32 v39, 2, v8
	v_cndmask_b32_e64 v9, v5, v9, s2
	v_xor_b32_e32 v5, 63, v5
	v_cmp_eq_u32_e64 s2, 0x1ff, v0
	v_cmp_gt_u32_e64 s9, 0x1c0, v0
	v_or_b32_e32 v42, 0xfffffe00, v0
	v_dual_mov_b32 v11, 0 :: v_dual_lshlrev_b32 v40, 2, v9
	v_lshrrev_b64 v[5:6], v5, -1
	v_mov_b32_e32 v8, 0
	v_mov_b32_e32 v6, s50
	v_dual_mov_b32 v7, s51 :: v_dual_lshlrev_b32 v0, 3, v0
	s_add_u32 s48, s22, 4
	v_dual_mov_b32 v9, 0 :: v_dual_mov_b32 v2, v1
	v_mov_b32_e32 v43, 1
	s_addc_u32 s49, s23, 0
	s_add_u32 s30, s30, 4
	s_addc_u32 s31, s31, 0
	s_branch .LBB139_18
.LBB139_17:                             ;   in Loop: Header=BB139_18 Depth=1
	s_or_b32 exec_lo, exec_lo, s11
	ds_load_b64 v[8:9], v1 offset:18432
	s_waitcnt lgkmcnt(0)
	s_barrier
	buffer_gl0_inv
	v_cmp_le_i64_e32 vcc_lo, s[36:37], v[8:9]
	v_add_co_u32 v10, s10, 0x800, v8
	s_delay_alu instid0(VALU_DEP_1)
	v_add_co_ci_u32_e64 v11, s10, 0, v9, s10
	s_cbranch_vccnz .LBB139_70
.LBB139_18:                             ; =>This Loop Header: Depth=1
                                        ;     Child Loop BB139_19 Depth 2
                                        ;     Child Loop BB139_25 Depth 2
                                        ;       Child Loop BB139_33 Depth 3
                                        ;     Child Loop BB139_49 Depth 2
                                        ;     Child Loop BB139_61 Depth 2
	;; [unrolled: 1-line block ×3, first 2 shown]
	v_dual_mov_b32 v12, v0 :: v_dual_mov_b32 v13, v42
	s_mov_b32 s10, 0
.LBB139_19:                             ;   Parent Loop BB139_18 Depth=1
                                        ; =>  This Inner Loop Header: Depth=2
	ds_store_b8 v13, v1 offset:16896
	v_add_nc_u32_e32 v13, 0x200, v13
	ds_store_b64 v12, v[1:2]
	v_add_nc_u32_e32 v12, 0x1000, v12
	v_cmp_lt_u32_e32 vcc_lo, 0x5ff, v13
	s_or_b32 s10, vcc_lo, s10
	s_delay_alu instid0(SALU_CYCLE_1)
	s_and_not1_b32 exec_lo, exec_lo, s10
	s_cbranch_execnz .LBB139_19
; %bb.20:                               ;   in Loop: Header=BB139_18 Depth=1
	s_or_b32 exec_lo, exec_lo, s10
	s_and_saveexec_b32 s10, s0
	s_cbranch_execz .LBB139_22
; %bb.21:                               ;   in Loop: Header=BB139_18 Depth=1
	v_dual_mov_b32 v12, s36 :: v_dual_mov_b32 v13, s37
	ds_store_b64 v1, v[12:13] offset:18432
.LBB139_22:                             ;   in Loop: Header=BB139_18 Depth=1
	s_or_b32 exec_lo, exec_lo, s10
	v_dual_mov_b32 v12, s36 :: v_dual_mov_b32 v13, s37
	s_waitcnt lgkmcnt(0)
	s_barrier
	buffer_gl0_inv
	s_and_saveexec_b32 s22, s26
	s_cbranch_execz .LBB139_45
; %bb.23:                               ;   in Loop: Header=BB139_18 Depth=1
	v_cmp_ne_u64_e64 s10, 0, v[8:9]
	v_dual_mov_b32 v12, s36 :: v_dual_mov_b32 v13, s37
	v_dual_mov_b32 v15, v4 :: v_dual_mov_b32 v14, v3
	s_mov_b32 s23, 0
	s_branch .LBB139_25
.LBB139_24:                             ;   in Loop: Header=BB139_25 Depth=2
	s_or_b32 exec_lo, exec_lo, s50
	v_add_co_u32 v14, vcc_lo, v14, 32
	v_add_co_ci_u32_e32 v15, vcc_lo, 0, v15, vcc_lo
	s_delay_alu instid0(VALU_DEP_1) | instskip(SKIP_1) | instid1(SALU_CYCLE_1)
	v_cmp_le_i64_e32 vcc_lo, s[24:25], v[14:15]
	s_or_b32 s23, vcc_lo, s23
	s_and_not1_b32 exec_lo, exec_lo, s23
	s_cbranch_execz .LBB139_44
.LBB139_25:                             ;   Parent Loop BB139_18 Depth=1
                                        ; =>  This Loop Header: Depth=2
                                        ;       Child Loop BB139_33 Depth 3
	s_delay_alu instid0(VALU_DEP_1) | instskip(NEXT) | instid1(VALU_DEP_1)
	v_lshlrev_b64 v[16:17], 3, v[14:15]
	v_add_co_u32 v18, vcc_lo, s38, v16
	s_delay_alu instid0(VALU_DEP_2)
	v_add_co_ci_u32_e32 v19, vcc_lo, s39, v17, vcc_lo
	v_add_co_u32 v22, vcc_lo, s40, v16
	v_add_co_ci_u32_e32 v23, vcc_lo, s41, v17, vcc_lo
	s_and_b32 vcc_lo, exec_lo, s10
	s_waitcnt lgkmcnt(0)
	global_load_b64 v[20:21], v[18:19], off
	global_load_b64 v[22:23], v[22:23], off
	s_cbranch_vccz .LBB139_27
; %bb.26:                               ;   in Loop: Header=BB139_25 Depth=2
	v_add_co_u32 v18, vcc_lo, s14, v16
	v_add_co_ci_u32_e32 v19, vcc_lo, s15, v17, vcc_lo
	s_mov_b32 s11, 0
	global_load_b64 v[18:19], v[18:19], off
	s_branch .LBB139_28
.LBB139_27:                             ;   in Loop: Header=BB139_25 Depth=2
	s_mov_b32 s11, -1
                                        ; implicit-def: $vgpr18_vgpr19
.LBB139_28:                             ;   in Loop: Header=BB139_25 Depth=2
	s_waitcnt vmcnt(1)
	v_sub_co_u32 v20, vcc_lo, v20, s16
	v_subrev_co_ci_u32_e32 v21, vcc_lo, 0, v21, vcc_lo
	s_and_not1_b32 vcc_lo, exec_lo, s11
	s_delay_alu instid0(VALU_DEP_1)
	v_lshlrev_b64 v[20:21], 3, v[20:21]
	s_cbranch_vccnz .LBB139_30
; %bb.29:                               ;   in Loop: Header=BB139_25 Depth=2
	s_waitcnt vmcnt(0)
	s_delay_alu instid0(VALU_DEP_1) | instskip(NEXT) | instid1(VALU_DEP_2)
	v_add_co_u32 v18, vcc_lo, s42, v20
	v_add_co_ci_u32_e32 v19, vcc_lo, s43, v21, vcc_lo
	global_load_b64 v[18:19], v[18:19], off
	s_waitcnt vmcnt(0)
	v_sub_co_u32 v18, vcc_lo, v18, s17
	v_subrev_co_ci_u32_e32 v19, vcc_lo, 0, v19, vcc_lo
.LBB139_30:                             ;   in Loop: Header=BB139_25 Depth=2
	s_delay_alu instid0(VALU_DEP_1) | instskip(NEXT) | instid1(VALU_DEP_2)
	v_add_co_u32 v20, vcc_lo, s27, v20
	v_add_co_ci_u32_e32 v21, vcc_lo, s47, v21, vcc_lo
	s_mov_b32 s50, exec_lo
	global_load_b64 v[20:21], v[20:21], off
	s_waitcnt vmcnt(0)
	v_sub_co_u32 v20, vcc_lo, v20, s17
	v_subrev_co_ci_u32_e32 v21, vcc_lo, 0, v21, vcc_lo
	v_add_co_u32 v18, vcc_lo, v18, v34
	v_add_co_ci_u32_e32 v19, vcc_lo, 0, v19, vcc_lo
	s_delay_alu instid0(VALU_DEP_1)
	v_cmpx_lt_i64_e64 v[18:19], v[20:21]
	s_cbranch_execz .LBB139_42
; %bb.31:                               ;   in Loop: Header=BB139_25 Depth=2
	v_lshlrev_b64 v[24:25], 3, v[18:19]
	v_mul_f32_e64 v44, v23, -s35
	v_mul_f32_e32 v45, s33, v23
	v_mov_b32_e32 v29, v19
	s_mov_b32 s52, 0
	v_mov_b32_e32 v28, v18
	v_fmac_f32_e32 v44, s33, v22
	v_fmac_f32_e32 v45, s35, v22
	v_add_co_u32 v22, vcc_lo, s20, v24
	v_add_co_ci_u32_e32 v23, vcc_lo, s21, v25, vcc_lo
	v_add_co_u32 v24, vcc_lo, s48, v24
	v_add_co_ci_u32_e32 v25, vcc_lo, s49, v25, vcc_lo
                                        ; implicit-def: $sgpr51
                                        ; implicit-def: $sgpr53
	s_branch .LBB139_33
.LBB139_32:                             ;   in Loop: Header=BB139_33 Depth=3
	s_or_b32 exec_lo, exec_lo, s54
	s_delay_alu instid0(SALU_CYCLE_1) | instskip(SKIP_4) | instid1(SALU_CYCLE_1)
	s_and_b32 s11, exec_lo, s55
	v_dual_mov_b32 v28, v32 :: v_dual_mov_b32 v29, v33
	s_or_b32 s52, s11, s52
	s_and_not1_b32 s11, s51, exec_lo
	s_and_b32 s51, s53, exec_lo
	s_or_b32 s51, s11, s51
	s_and_not1_b32 exec_lo, exec_lo, s52
	s_cbranch_execz .LBB139_39
.LBB139_33:                             ;   Parent Loop BB139_18 Depth=1
                                        ;     Parent Loop BB139_25 Depth=2
                                        ; =>    This Inner Loop Header: Depth=3
	global_load_b64 v[26:27], v[22:23], off
	s_waitcnt vmcnt(0)
	v_sub_co_u32 v26, vcc_lo, v26, s17
	v_subrev_co_ci_u32_e32 v27, vcc_lo, 0, v27, vcc_lo
	s_delay_alu instid0(VALU_DEP_1)
	v_cmp_lt_i64_e32 vcc_lo, v[26:27], v[10:11]
	v_cmp_lt_i64_e64 s11, v[26:27], v[8:9]
	s_xor_b32 s54, vcc_lo, -1
	s_delay_alu instid0(VALU_DEP_1) | instid1(SALU_CYCLE_1)
	s_or_b32 s55, s11, s54
	s_mov_b32 s11, 0
                                        ; implicit-def: $sgpr54
	s_and_saveexec_b32 s56, s55
	s_delay_alu instid0(SALU_CYCLE_1)
	s_xor_b32 s55, exec_lo, s56
; %bb.34:                               ;   in Loop: Header=BB139_33 Depth=3
	s_mov_b32 s54, -1
	s_and_b32 s11, vcc_lo, exec_lo
; %bb.35:                               ;   in Loop: Header=BB139_33 Depth=3
	s_and_not1_saveexec_b32 s55, s55
	s_cbranch_execz .LBB139_37
; %bb.36:                               ;   in Loop: Header=BB139_33 Depth=3
	global_load_b64 v[30:31], v[24:25], off offset:-4
	v_sub_nc_u32_e32 v32, v26, v8
	s_or_b32 s11, s11, exec_lo
	ds_store_b8 v32, v43 offset:16384
	v_lshlrev_b32_e32 v46, 3, v32
	s_waitcnt vmcnt(0)
	v_mul_f32_e64 v33, v31, -v45
	v_mul_f32_e32 v31, v44, v31
	s_delay_alu instid0(VALU_DEP_2) | instskip(NEXT) | instid1(VALU_DEP_2)
	v_fmac_f32_e32 v33, v44, v30
	v_fmac_f32_e32 v31, v45, v30
	ds_add_f32 v46, v33
	ds_add_f32 v46, v31 offset:4
.LBB139_37:                             ;   in Loop: Header=BB139_33 Depth=3
	s_or_b32 exec_lo, exec_lo, s55
	v_dual_mov_b32 v31, v29 :: v_dual_mov_b32 v30, v28
	s_and_not1_b32 s53, s53, exec_lo
	s_and_b32 s54, s54, exec_lo
	s_mov_b32 s55, -1
	s_or_b32 s53, s53, s54
                                        ; implicit-def: $vgpr32_vgpr33
	s_and_saveexec_b32 s54, s11
	s_cbranch_execz .LBB139_32
; %bb.38:                               ;   in Loop: Header=BB139_33 Depth=3
	v_add_co_u32 v32, vcc_lo, v28, 16
	v_add_co_ci_u32_e32 v33, vcc_lo, 0, v29, vcc_lo
	v_add_co_u32 v22, vcc_lo, 0x80, v22
	v_add_co_ci_u32_e32 v23, vcc_lo, 0, v23, vcc_lo
	s_delay_alu instid0(VALU_DEP_3) | instskip(SKIP_1) | instid1(VALU_DEP_1)
	v_cmp_ge_i64_e32 vcc_lo, v[32:33], v[20:21]
	v_add_co_u32 v24, s11, 0x80, v24
	v_add_co_ci_u32_e64 v25, s11, 0, v25, s11
	v_dual_mov_b32 v31, v29 :: v_dual_mov_b32 v30, v28
	s_and_not1_b32 s53, s53, exec_lo
	s_or_not1_b32 s55, vcc_lo, exec_lo
	s_branch .LBB139_32
.LBB139_39:                             ;   in Loop: Header=BB139_25 Depth=2
	s_or_b32 exec_lo, exec_lo, s52
	s_and_saveexec_b32 s11, s51
	s_delay_alu instid0(SALU_CYCLE_1)
	s_xor_b32 s11, exec_lo, s11
; %bb.40:                               ;   in Loop: Header=BB139_25 Depth=2
	v_cmp_lt_i64_e32 vcc_lo, v[26:27], v[12:13]
	v_dual_mov_b32 v18, v30 :: v_dual_mov_b32 v19, v31
	v_dual_cndmask_b32 v13, v13, v27 :: v_dual_cndmask_b32 v12, v12, v26
; %bb.41:                               ;   in Loop: Header=BB139_25 Depth=2
	s_or_b32 exec_lo, exec_lo, s11
.LBB139_42:                             ;   in Loop: Header=BB139_25 Depth=2
	s_delay_alu instid0(SALU_CYCLE_1)
	s_or_b32 exec_lo, exec_lo, s50
	ds_bpermute_b32 v20, v37, v18
	ds_bpermute_b32 v21, v37, v19
	s_waitcnt lgkmcnt(0)
	v_cmp_lt_i64_e32 vcc_lo, v[20:21], v[18:19]
	v_dual_cndmask_b32 v19, v19, v21 :: v_dual_cndmask_b32 v18, v18, v20
	ds_bpermute_b32 v21, v38, v19
	ds_bpermute_b32 v20, v38, v18
	s_waitcnt lgkmcnt(0)
	v_cmp_lt_i64_e32 vcc_lo, v[20:21], v[18:19]
	v_dual_cndmask_b32 v19, v19, v21 :: v_dual_cndmask_b32 v18, v18, v20
	;; [unrolled: 5-line block ×3, first 2 shown]
	ds_bpermute_b32 v21, v40, v19
	ds_bpermute_b32 v20, v40, v18
	s_and_saveexec_b32 s50, s1
	s_cbranch_execz .LBB139_24
; %bb.43:                               ;   in Loop: Header=BB139_25 Depth=2
	s_waitcnt lgkmcnt(0)
	v_cmp_lt_i64_e32 vcc_lo, v[20:21], v[18:19]
	v_add_co_u32 v16, s11, s14, v16
	s_delay_alu instid0(VALU_DEP_1)
	v_add_co_ci_u32_e64 v17, s11, s15, v17, s11
	v_dual_cndmask_b32 v19, v19, v21 :: v_dual_cndmask_b32 v18, v18, v20
	global_store_b64 v[16:17], v[18:19], off
	s_branch .LBB139_24
.LBB139_44:                             ;   in Loop: Header=BB139_18 Depth=1
	s_or_b32 exec_lo, exec_lo, s23
.LBB139_45:                             ;   in Loop: Header=BB139_18 Depth=1
	s_delay_alu instid0(SALU_CYCLE_1) | instskip(NEXT) | instid1(SALU_CYCLE_1)
	s_or_b32 exec_lo, exec_lo, s22
	s_and_not1_b32 vcc_lo, exec_lo, s34
	s_cbranch_vccnz .LBB139_59
; %bb.46:                               ;   in Loop: Header=BB139_18 Depth=1
	s_load_b128 s[52:55], s[18:19], 0x0
	s_mov_b32 s11, exec_lo
	s_waitcnt lgkmcnt(0)
	v_add_co_u32 v14, vcc_lo, s52, v35
	v_add_co_ci_u32_e32 v15, vcc_lo, s53, v36, vcc_lo
	s_sub_u32 s22, s54, s46
	s_subb_u32 s23, s55, 0
	s_delay_alu instid0(VALU_DEP_1) | instid1(SALU_CYCLE_1)
	v_cmpx_gt_i64_e64 s[22:23], v[14:15]
	s_cbranch_execz .LBB139_58
; %bb.47:                               ;   in Loop: Header=BB139_18 Depth=1
	v_lshlrev_b64 v[18:19], 3, v[14:15]
	s_mov_b32 s50, 0
                                        ; implicit-def: $sgpr51
                                        ; implicit-def: $sgpr52
	s_delay_alu instid0(VALU_DEP_1) | instskip(NEXT) | instid1(VALU_DEP_2)
	v_add_co_u32 v16, vcc_lo, s28, v18
	v_add_co_ci_u32_e32 v17, vcc_lo, s29, v19, vcc_lo
	v_add_co_u32 v18, vcc_lo, s30, v18
	v_add_co_ci_u32_e32 v19, vcc_lo, s31, v19, vcc_lo
	s_branch .LBB139_49
.LBB139_48:                             ;   in Loop: Header=BB139_49 Depth=2
	s_or_b32 exec_lo, exec_lo, s53
	s_delay_alu instid0(SALU_CYCLE_1) | instskip(NEXT) | instid1(SALU_CYCLE_1)
	s_and_b32 s10, exec_lo, s54
	s_or_b32 s50, s10, s50
	s_and_not1_b32 s10, s51, exec_lo
	s_and_b32 s51, s52, exec_lo
	s_delay_alu instid0(SALU_CYCLE_1)
	s_or_b32 s51, s10, s51
	s_and_not1_b32 exec_lo, exec_lo, s50
	s_cbranch_execz .LBB139_55
.LBB139_49:                             ;   Parent Loop BB139_18 Depth=1
                                        ; =>  This Inner Loop Header: Depth=2
	global_load_b64 v[20:21], v[16:17], off
	s_waitcnt vmcnt(0)
	v_sub_co_u32 v20, vcc_lo, v20, s46
	v_subrev_co_ci_u32_e32 v21, vcc_lo, 0, v21, vcc_lo
	s_delay_alu instid0(VALU_DEP_1)
	v_cmp_lt_i64_e32 vcc_lo, v[20:21], v[10:11]
	v_cmp_lt_i64_e64 s10, v[20:21], v[8:9]
	s_xor_b32 s53, vcc_lo, -1
	s_delay_alu instid0(VALU_DEP_1) | instid1(SALU_CYCLE_1)
	s_or_b32 s54, s10, s53
	s_mov_b32 s10, 0
                                        ; implicit-def: $sgpr53
	s_and_saveexec_b32 s55, s54
	s_delay_alu instid0(SALU_CYCLE_1)
	s_xor_b32 s54, exec_lo, s55
; %bb.50:                               ;   in Loop: Header=BB139_49 Depth=2
	s_mov_b32 s53, -1
	s_and_b32 s10, vcc_lo, exec_lo
; %bb.51:                               ;   in Loop: Header=BB139_49 Depth=2
	s_and_not1_saveexec_b32 s54, s54
	s_cbranch_execz .LBB139_53
; %bb.52:                               ;   in Loop: Header=BB139_49 Depth=2
	global_load_b64 v[22:23], v[18:19], off offset:-4
	v_sub_nc_u32_e32 v24, v20, v8
	s_or_b32 s10, s10, exec_lo
	ds_store_b8 v24, v43 offset:16384
	v_lshlrev_b32_e32 v26, 3, v24
	s_waitcnt vmcnt(0)
	v_mul_f32_e64 v25, v23, -s45
	v_mul_f32_e32 v23, s44, v23
	s_delay_alu instid0(VALU_DEP_2) | instskip(NEXT) | instid1(VALU_DEP_2)
	v_fmac_f32_e32 v25, s44, v22
	v_fmac_f32_e32 v23, s45, v22
	ds_add_f32 v26, v25
	ds_add_f32 v26, v23 offset:4
.LBB139_53:                             ;   in Loop: Header=BB139_49 Depth=2
	s_or_b32 exec_lo, exec_lo, s54
	s_delay_alu instid0(SALU_CYCLE_1)
	s_and_not1_b32 s52, s52, exec_lo
	s_and_b32 s53, s53, exec_lo
	s_mov_b32 s54, -1
	s_or_b32 s52, s52, s53
	s_and_saveexec_b32 s53, s10
	s_cbranch_execz .LBB139_48
; %bb.54:                               ;   in Loop: Header=BB139_49 Depth=2
	v_add_co_u32 v14, vcc_lo, 0x200, v14
	v_add_co_ci_u32_e32 v15, vcc_lo, 0, v15, vcc_lo
	v_add_co_u32 v16, vcc_lo, 0x1000, v16
	v_add_co_ci_u32_e32 v17, vcc_lo, 0, v17, vcc_lo
	s_delay_alu instid0(VALU_DEP_3) | instskip(SKIP_1) | instid1(VALU_DEP_1)
	v_cmp_le_i64_e32 vcc_lo, s[22:23], v[14:15]
	v_add_co_u32 v18, s10, 0x1000, v18
	v_add_co_ci_u32_e64 v19, s10, 0, v19, s10
	s_and_not1_b32 s52, s52, exec_lo
	s_or_not1_b32 s54, vcc_lo, exec_lo
	s_branch .LBB139_48
.LBB139_55:                             ;   in Loop: Header=BB139_18 Depth=1
	s_or_b32 exec_lo, exec_lo, s50
	s_and_saveexec_b32 s10, s51
	s_delay_alu instid0(SALU_CYCLE_1)
	s_xor_b32 s10, exec_lo, s10
; %bb.56:                               ;   in Loop: Header=BB139_18 Depth=1
	v_cmp_lt_i64_e32 vcc_lo, v[20:21], v[12:13]
	v_dual_cndmask_b32 v13, v13, v21 :: v_dual_cndmask_b32 v12, v12, v20
; %bb.57:                               ;   in Loop: Header=BB139_18 Depth=1
	s_or_b32 exec_lo, exec_lo, s10
.LBB139_58:                             ;   in Loop: Header=BB139_18 Depth=1
	s_delay_alu instid0(SALU_CYCLE_1)
	s_or_b32 exec_lo, exec_lo, s11
.LBB139_59:                             ;   in Loop: Header=BB139_18 Depth=1
	ds_bpermute_b32 v8, v37, v12
	ds_bpermute_b32 v9, v37, v13
	s_waitcnt lgkmcnt(0)
	v_cmp_lt_i64_e32 vcc_lo, v[8:9], v[12:13]
	v_dual_cndmask_b32 v9, v13, v9 :: v_dual_cndmask_b32 v8, v12, v8
	ds_bpermute_b32 v11, v38, v9
	ds_bpermute_b32 v10, v38, v8
	s_waitcnt lgkmcnt(0)
	v_cmp_lt_i64_e32 vcc_lo, v[10:11], v[8:9]
	v_dual_cndmask_b32 v9, v9, v11 :: v_dual_cndmask_b32 v8, v8, v10
	;; [unrolled: 5-line block ×3, first 2 shown]
	ds_bpermute_b32 v11, v40, v9
	ds_bpermute_b32 v10, v40, v8
	s_and_saveexec_b32 s22, s1
	s_cbranch_execz .LBB139_64
; %bb.60:                               ;   in Loop: Header=BB139_18 Depth=1
	s_waitcnt lgkmcnt(0)
	v_cmp_lt_i64_e32 vcc_lo, v[10:11], v[8:9]
	s_mov_b32 s23, exec_lo
	s_mov_b64 s[10:11], -1
	v_dual_cndmask_b32 v9, v9, v11 :: v_dual_cndmask_b32 v8, v8, v10
.LBB139_61:                             ;   Parent Loop BB139_18 Depth=1
                                        ; =>  This Inner Loop Header: Depth=2
	s_ctz_i32_b32 s52, s23
	s_delay_alu instid0(VALU_DEP_1) | instid1(SALU_CYCLE_1)
	v_readlane_b32 s51, v9, s52
	s_delay_alu instid0(VALU_DEP_2) | instskip(NEXT) | instid1(VALU_DEP_1)
	v_readlane_b32 s50, v8, s52
	v_cmp_lt_u64_e64 s53, s[10:11], s[50:51]
	s_delay_alu instid0(VALU_DEP_1) | instskip(SKIP_3) | instid1(SALU_CYCLE_1)
	s_and_b32 s53, s53, exec_lo
	s_cselect_b32 s11, s11, s51
	s_cselect_b32 s10, s10, s50
	s_lshl_b32 s50, 1, s52
	s_and_not1_b32 s23, s23, s50
	s_delay_alu instid0(SALU_CYCLE_1)
	s_cmp_lg_u32 s23, 0
	s_cbranch_scc1 .LBB139_61
; %bb.62:                               ;   in Loop: Header=BB139_18 Depth=1
	v_mbcnt_lo_u32_b32 v8, exec_lo, 0
	s_mov_b32 s23, exec_lo
	s_delay_alu instid0(VALU_DEP_1)
	v_cmpx_eq_u32_e32 0, v8
	s_xor_b32 s23, exec_lo, s23
	s_cbranch_execz .LBB139_64
; %bb.63:                               ;   in Loop: Header=BB139_18 Depth=1
	v_dual_mov_b32 v8, s10 :: v_dual_mov_b32 v9, s11
	ds_min_u64 v1, v[8:9] offset:18432
.LBB139_64:                             ;   in Loop: Header=BB139_18 Depth=1
	s_or_b32 exec_lo, exec_lo, s22
	v_dual_mov_b32 v12, v0 :: v_dual_mov_b32 v13, v42
	s_mov_b32 s11, 0
	s_waitcnt lgkmcnt(0)
	s_waitcnt_vscnt null, 0x0
	s_barrier
	buffer_gl0_inv
	s_branch .LBB139_66
.LBB139_65:                             ;   in Loop: Header=BB139_66 Depth=2
	s_or_b32 exec_lo, exec_lo, s10
	s_waitcnt lgkmcnt(0)
	s_waitcnt_vscnt null, 0x0
	s_barrier
	buffer_gl0_inv
	ds_load_b32 v8, v1 offset:28
	v_add_nc_u32_e32 v13, 0x200, v13
	v_add_nc_u32_e32 v12, 0x1000, v12
	s_delay_alu instid0(VALU_DEP_2) | instskip(SKIP_4) | instid1(VALU_DEP_1)
	v_cmp_lt_u32_e32 vcc_lo, 0x5ff, v13
	s_or_b32 s11, vcc_lo, s11
	s_waitcnt lgkmcnt(0)
	v_ashrrev_i32_e32 v9, 31, v8
	v_add_co_u32 v6, s10, v6, v8
	v_add_co_ci_u32_e64 v7, s10, v7, v9, s10
	s_and_not1_b32 exec_lo, exec_lo, s11
	s_cbranch_execz .LBB139_17
.LBB139_66:                             ;   Parent Loop BB139_18 Depth=1
                                        ; =>  This Inner Loop Header: Depth=2
	ds_load_u8 v10, v13 offset:16896
	ds_load_b64 v[8:9], v12
	s_waitcnt lgkmcnt(0)
	s_barrier
	buffer_gl0_inv
	v_cmp_ne_u16_e32 vcc_lo, 0, v10
	s_bcnt1_i32_b32 s10, vcc_lo
	s_delay_alu instid0(SALU_CYCLE_1)
	v_mov_b32_e32 v11, s10
	s_mov_b32 s10, exec_lo
	ds_store_b32 v41, v11
	s_waitcnt lgkmcnt(0)
	s_barrier
	buffer_gl0_inv
	ds_load_b128 v[14:17], v1
	ds_load_b96 v[18:20], v1 offset:16
	v_and_b32_e32 v11, vcc_lo, v5
	s_waitcnt lgkmcnt(1)
	v_cndmask_b32_e64 v14, v14, 0, s3
	v_cndmask_b32_e64 v15, v15, 0, s4
	;; [unrolled: 1-line block ×3, first 2 shown]
	s_delay_alu instid0(VALU_DEP_3) | instskip(SKIP_3) | instid1(VALU_DEP_3)
	v_bcnt_u32_b32 v11, v11, v14
	v_cndmask_b32_e64 v14, v17, 0, s6
	s_waitcnt lgkmcnt(0)
	v_cndmask_b32_e64 v17, v18, 0, s7
	v_add3_u32 v11, v11, v15, v16
	v_cndmask_b32_e64 v15, v19, 0, s8
	v_cndmask_b32_e64 v16, v20, 0, s9
	s_delay_alu instid0(VALU_DEP_3) | instskip(SKIP_1) | instid1(VALU_DEP_2)
	v_add3_u32 v11, v11, v14, v17
	v_and_b32_e32 v14, 1, v10
	v_add3_u32 v10, v11, v15, v16
	s_delay_alu instid0(VALU_DEP_2)
	v_cmpx_eq_u32_e32 1, v14
	s_cbranch_execz .LBB139_68
; %bb.67:                               ;   in Loop: Header=BB139_66 Depth=2
	s_delay_alu instid0(VALU_DEP_2) | instskip(SKIP_1) | instid1(VALU_DEP_2)
	v_ashrrev_i32_e32 v11, 31, v10
	v_lshlrev_b64 v[14:15], 3, v[6:7]
	v_lshlrev_b64 v[16:17], 3, v[10:11]
	s_delay_alu instid0(VALU_DEP_2) | instskip(NEXT) | instid1(VALU_DEP_3)
	v_add_co_u32 v11, vcc_lo, s12, v14
	v_add_co_ci_u32_e32 v15, vcc_lo, s13, v15, vcc_lo
	s_delay_alu instid0(VALU_DEP_2) | instskip(NEXT) | instid1(VALU_DEP_2)
	v_add_co_u32 v14, vcc_lo, v11, v16
	v_add_co_ci_u32_e32 v15, vcc_lo, v15, v17, vcc_lo
	global_store_b64 v[14:15], v[8:9], off offset:-8
.LBB139_68:                             ;   in Loop: Header=BB139_66 Depth=2
	s_or_b32 exec_lo, exec_lo, s10
	s_and_saveexec_b32 s10, s2
	s_cbranch_execz .LBB139_65
; %bb.69:                               ;   in Loop: Header=BB139_66 Depth=2
	ds_store_b32 v1, v10 offset:28
	s_branch .LBB139_65
.LBB139_70:
	s_endpgm
	.section	.rodata,"a",@progbits
	.p2align	6, 0x0
	.amdhsa_kernel _ZN9rocsparseL51csrgemm_numeric_fill_block_per_row_multipass_kernelILj512ELj16ELj2048ELj64Ell21rocsparse_complex_numIfEEEvT4_PKS3_S5_NS_24const_host_device_scalarIT5_EEPKT3_S5_PKS7_SB_S5_SD_S8_SB_S5_SD_SB_S5_PS7_PS9_21rocsparse_index_base_SG_SG_SG_bbb
		.amdhsa_group_segment_fixed_size 18440
		.amdhsa_private_segment_fixed_size 0
		.amdhsa_kernarg_size 164
		.amdhsa_user_sgpr_count 15
		.amdhsa_user_sgpr_dispatch_ptr 0
		.amdhsa_user_sgpr_queue_ptr 0
		.amdhsa_user_sgpr_kernarg_segment_ptr 1
		.amdhsa_user_sgpr_dispatch_id 0
		.amdhsa_user_sgpr_private_segment_size 0
		.amdhsa_wavefront_size32 1
		.amdhsa_uses_dynamic_stack 0
		.amdhsa_enable_private_segment 0
		.amdhsa_system_sgpr_workgroup_id_x 1
		.amdhsa_system_sgpr_workgroup_id_y 0
		.amdhsa_system_sgpr_workgroup_id_z 0
		.amdhsa_system_sgpr_workgroup_info 0
		.amdhsa_system_vgpr_workitem_id 0
		.amdhsa_next_free_vgpr 47
		.amdhsa_next_free_sgpr 57
		.amdhsa_reserve_vcc 1
		.amdhsa_float_round_mode_32 0
		.amdhsa_float_round_mode_16_64 0
		.amdhsa_float_denorm_mode_32 3
		.amdhsa_float_denorm_mode_16_64 3
		.amdhsa_dx10_clamp 1
		.amdhsa_ieee_mode 1
		.amdhsa_fp16_overflow 0
		.amdhsa_workgroup_processor_mode 1
		.amdhsa_memory_ordered 1
		.amdhsa_forward_progress 0
		.amdhsa_shared_vgpr_count 0
		.amdhsa_exception_fp_ieee_invalid_op 0
		.amdhsa_exception_fp_denorm_src 0
		.amdhsa_exception_fp_ieee_div_zero 0
		.amdhsa_exception_fp_ieee_overflow 0
		.amdhsa_exception_fp_ieee_underflow 0
		.amdhsa_exception_fp_ieee_inexact 0
		.amdhsa_exception_int_div_zero 0
	.end_amdhsa_kernel
	.section	.text._ZN9rocsparseL51csrgemm_numeric_fill_block_per_row_multipass_kernelILj512ELj16ELj2048ELj64Ell21rocsparse_complex_numIfEEEvT4_PKS3_S5_NS_24const_host_device_scalarIT5_EEPKT3_S5_PKS7_SB_S5_SD_S8_SB_S5_SD_SB_S5_PS7_PS9_21rocsparse_index_base_SG_SG_SG_bbb,"axG",@progbits,_ZN9rocsparseL51csrgemm_numeric_fill_block_per_row_multipass_kernelILj512ELj16ELj2048ELj64Ell21rocsparse_complex_numIfEEEvT4_PKS3_S5_NS_24const_host_device_scalarIT5_EEPKT3_S5_PKS7_SB_S5_SD_S8_SB_S5_SD_SB_S5_PS7_PS9_21rocsparse_index_base_SG_SG_SG_bbb,comdat
.Lfunc_end139:
	.size	_ZN9rocsparseL51csrgemm_numeric_fill_block_per_row_multipass_kernelILj512ELj16ELj2048ELj64Ell21rocsparse_complex_numIfEEEvT4_PKS3_S5_NS_24const_host_device_scalarIT5_EEPKT3_S5_PKS7_SB_S5_SD_S8_SB_S5_SD_SB_S5_PS7_PS9_21rocsparse_index_base_SG_SG_SG_bbb, .Lfunc_end139-_ZN9rocsparseL51csrgemm_numeric_fill_block_per_row_multipass_kernelILj512ELj16ELj2048ELj64Ell21rocsparse_complex_numIfEEEvT4_PKS3_S5_NS_24const_host_device_scalarIT5_EEPKT3_S5_PKS7_SB_S5_SD_S8_SB_S5_SD_SB_S5_PS7_PS9_21rocsparse_index_base_SG_SG_SG_bbb
                                        ; -- End function
	.section	.AMDGPU.csdata,"",@progbits
; Kernel info:
; codeLenInByte = 3152
; NumSgprs: 59
; NumVgprs: 47
; ScratchSize: 0
; MemoryBound: 0
; FloatMode: 240
; IeeeMode: 1
; LDSByteSize: 18440 bytes/workgroup (compile time only)
; SGPRBlocks: 7
; VGPRBlocks: 5
; NumSGPRsForWavesPerEU: 59
; NumVGPRsForWavesPerEU: 47
; Occupancy: 16
; WaveLimiterHint : 1
; COMPUTE_PGM_RSRC2:SCRATCH_EN: 0
; COMPUTE_PGM_RSRC2:USER_SGPR: 15
; COMPUTE_PGM_RSRC2:TRAP_HANDLER: 0
; COMPUTE_PGM_RSRC2:TGID_X_EN: 1
; COMPUTE_PGM_RSRC2:TGID_Y_EN: 0
; COMPUTE_PGM_RSRC2:TGID_Z_EN: 0
; COMPUTE_PGM_RSRC2:TIDIG_COMP_CNT: 0
	.section	.text._ZN9rocsparseL38csrgemm_numeric_fill_wf_per_row_kernelILj256ELj8ELj16ELj137Ell21rocsparse_complex_numIdEEEvT4_S3_PKS3_S5_NS_24const_host_device_scalarIT5_EEPKT3_S5_PKS7_SB_S5_SD_S8_SB_S5_SD_SB_S5_PS7_21rocsparse_index_base_SF_SF_SF_bbb,"axG",@progbits,_ZN9rocsparseL38csrgemm_numeric_fill_wf_per_row_kernelILj256ELj8ELj16ELj137Ell21rocsparse_complex_numIdEEEvT4_S3_PKS3_S5_NS_24const_host_device_scalarIT5_EEPKT3_S5_PKS7_SB_S5_SD_S8_SB_S5_SD_SB_S5_PS7_21rocsparse_index_base_SF_SF_SF_bbb,comdat
	.globl	_ZN9rocsparseL38csrgemm_numeric_fill_wf_per_row_kernelILj256ELj8ELj16ELj137Ell21rocsparse_complex_numIdEEEvT4_S3_PKS3_S5_NS_24const_host_device_scalarIT5_EEPKT3_S5_PKS7_SB_S5_SD_S8_SB_S5_SD_SB_S5_PS7_21rocsparse_index_base_SF_SF_SF_bbb ; -- Begin function _ZN9rocsparseL38csrgemm_numeric_fill_wf_per_row_kernelILj256ELj8ELj16ELj137Ell21rocsparse_complex_numIdEEEvT4_S3_PKS3_S5_NS_24const_host_device_scalarIT5_EEPKT3_S5_PKS7_SB_S5_SD_S8_SB_S5_SD_SB_S5_PS7_21rocsparse_index_base_SF_SF_SF_bbb
	.p2align	8
	.type	_ZN9rocsparseL38csrgemm_numeric_fill_wf_per_row_kernelILj256ELj8ELj16ELj137Ell21rocsparse_complex_numIdEEEvT4_S3_PKS3_S5_NS_24const_host_device_scalarIT5_EEPKT3_S5_PKS7_SB_S5_SD_S8_SB_S5_SD_SB_S5_PS7_21rocsparse_index_base_SF_SF_SF_bbb,@function
_ZN9rocsparseL38csrgemm_numeric_fill_wf_per_row_kernelILj256ELj8ELj16ELj137Ell21rocsparse_complex_numIdEEEvT4_S3_PKS3_S5_NS_24const_host_device_scalarIT5_EEPKT3_S5_PKS7_SB_S5_SD_S8_SB_S5_SD_SB_S5_PS7_21rocsparse_index_base_SF_SF_SF_bbb: ; @_ZN9rocsparseL38csrgemm_numeric_fill_wf_per_row_kernelILj256ELj8ELj16ELj137Ell21rocsparse_complex_numIdEEEvT4_S3_PKS3_S5_NS_24const_host_device_scalarIT5_EEPKT3_S5_PKS7_SB_S5_SD_S8_SB_S5_SD_SB_S5_PS7_21rocsparse_index_base_SF_SF_SF_bbb
; %bb.0:
	s_load_b32 s34, s[2:3], 0xb0
	s_load_b64 s[8:9], s[0:1], 0x4
	s_clause 0x1
	s_load_b128 s[4:7], s[2:3], 0x20
	s_load_b128 s[40:43], s[2:3], 0x60
	v_dual_mov_b32 v4, 0 :: v_dual_and_b32 v1, 0x3ff, v0
	s_load_b128 s[24:27], s[2:3], 0xa0
	v_bfe_u32 v3, v0, 10, 10
	v_mov_b32_e32 v5, 0
	v_bfe_u32 v0, v0, 20, 10
	s_waitcnt lgkmcnt(0)
	s_bitcmp1_b32 s34, 0
	s_cselect_b32 s33, -1, 0
	s_bitcmp1_b32 s34, 16
	v_mov_b32_e32 v6, s40
	s_cselect_b32 s0, -1, 0
	s_lshr_b32 s1, s8, 16
	s_delay_alu instid0(SALU_CYCLE_1) | instskip(NEXT) | instid1(SALU_CYCLE_1)
	s_mul_i32 s1, s1, s9
	v_mul_lo_u32 v2, s1, v1
	s_xor_b32 s1, s0, -1
	s_bitcmp0_b32 s34, 0
	v_cndmask_b32_e64 v8, 0, 1, s1
	s_delay_alu instid0(VALU_DEP_2)
	v_mad_u32_u24 v9, v3, s9, v2
	v_dual_mov_b32 v2, s4 :: v_dual_mov_b32 v3, s5
	v_mov_b32_e32 v11, v5
	v_dual_mov_b32 v13, v5 :: v_dual_mov_b32 v12, v4
	v_dual_mov_b32 v7, s41 :: v_dual_mov_b32 v10, v4
	v_cmp_ne_u32_e32 vcc_lo, 1, v8
	v_add_lshl_u32 v0, v9, v0, 3
	ds_store_2addr_stride64_b64 v0, v[6:7], v[2:3] offset0:24 offset1:28
	s_cbranch_scc1 .LBB140_3
; %bb.1:
	s_mov_b64 s[8:9], src_shared_base
	s_and_b32 s8, s0, exec_lo
	s_cselect_b32 s8, s9, s5
	s_delay_alu instid0(SALU_CYCLE_1) | instskip(SKIP_2) | instid1(VALU_DEP_2)
	v_dual_mov_b32 v3, s8 :: v_dual_add_nc_u32 v2, 0x3800, v0
	v_dual_mov_b32 v13, s7 :: v_dual_mov_b32 v12, s6
	s_and_b32 vcc_lo, exec_lo, vcc_lo
	v_cndmask_b32_e64 v2, s4, v2, s0
	flat_load_b64 v[10:11], v[2:3]
	s_cbranch_vccnz .LBB140_3
; %bb.2:
	v_dual_mov_b32 v2, s4 :: v_dual_mov_b32 v3, s5
	flat_load_b64 v[12:13], v[2:3] offset:8
.LBB140_3:
	s_clause 0x4
	s_load_b64 s[12:13], s[2:3], 0x98
	s_load_b256 s[4:11], s[2:3], 0x70
	s_load_b128 s[28:31], s[2:3], 0x50
	s_load_b128 s[36:39], s[2:3], 0x10
	s_load_b256 s[16:23], s[2:3], 0x30
	s_bitcmp1_b32 s34, 8
	v_dual_mov_b32 v7, v5 :: v_dual_mov_b32 v6, v4
	s_cselect_b32 s14, -1, 0
	s_bfe_u32 s34, s34, 0x10008
	s_delay_alu instid0(SALU_CYCLE_1)
	s_cmp_eq_u32 s34, 0
	s_cbranch_scc1 .LBB140_6
; %bb.4:
	s_mov_b64 s[34:35], src_shared_base
	s_and_b32 s34, s0, exec_lo
	s_cselect_b32 s34, s35, s41
	s_delay_alu instid0(SALU_CYCLE_1) | instskip(SKIP_2) | instid1(VALU_DEP_2)
	v_dual_mov_b32 v3, s34 :: v_dual_add_nc_u32 v0, 0x3000, v0
	v_dual_mov_b32 v4, s42 :: v_dual_mov_b32 v5, s43
	s_and_not1_b32 vcc_lo, exec_lo, s1
	v_cndmask_b32_e64 v2, s40, v0, s0
	flat_load_b64 v[6:7], v[2:3]
	s_cbranch_vccnz .LBB140_6
; %bb.5:
	v_dual_mov_b32 v2, s40 :: v_dual_mov_b32 v3, s41
	flat_load_b64 v[4:5], v[2:3] offset:8
.LBB140_6:
	s_load_b128 s[0:3], s[2:3], 0x0
	v_lshrrev_b32_e32 v14, 3, v1
	v_dual_mov_b32 v0, 0 :: v_dual_and_b32 v35, 7, v1
	s_mov_b32 s34, 0
	s_delay_alu instid0(VALU_DEP_2) | instskip(NEXT) | instid1(VALU_DEP_2)
	v_lshlrev_b32_e32 v1, 7, v14
	v_lshlrev_b32_e32 v2, 3, v35
	;; [unrolled: 1-line block ×3, first 2 shown]
	v_or_b32_e32 v30, -8, v35
	s_delay_alu instid0(VALU_DEP_3) | instskip(NEXT) | instid1(VALU_DEP_3)
	v_or3_b32 v31, v1, v2, 0x2000
	v_lshl_or_b32 v32, v14, 8, v3
	v_mov_b32_e32 v1, v0
	v_mov_b32_e32 v2, v0
	;; [unrolled: 1-line block ×3, first 2 shown]
	s_delay_alu instid0(VALU_DEP_4)
	v_dual_mov_b32 v15, v31 :: v_dual_mov_b32 v16, v32
	v_mov_b32_e32 v17, v30
	s_waitcnt lgkmcnt(0)
	v_dual_mov_b32 v9, s3 :: v_dual_mov_b32 v8, s2
.LBB140_7:                              ; =>This Inner Loop Header: Depth=1
	s_delay_alu instid0(VALU_DEP_2) | instskip(NEXT) | instid1(VALU_DEP_1)
	v_add_co_u32 v17, s35, v17, 8
	s_xor_b32 s35, s35, -1
	ds_store_b64 v15, v[8:9]
	ds_store_b128 v16, v[0:3]
	v_add_nc_u32_e32 v16, 0x80, v16
	v_add_nc_u32_e32 v15, 64, v15
	s_and_b32 s35, exec_lo, s35
	s_delay_alu instid0(SALU_CYCLE_1) | instskip(NEXT) | instid1(SALU_CYCLE_1)
	s_or_b32 s34, s35, s34
	s_and_not1_b32 exec_lo, exec_lo, s34
	s_cbranch_execnz .LBB140_7
; %bb.8:
	s_or_b32 exec_lo, exec_lo, s34
	s_lshl_b32 s15, s15, 5
	v_mov_b32_e32 v1, 0
	v_and_or_b32 v0, 0x1fffffe0, s15, v14
	s_waitcnt vmcnt(0) lgkmcnt(0)
	buffer_gl0_inv
	v_cmp_gt_i64_e32 vcc_lo, s[0:1], v[0:1]
	s_and_saveexec_b32 s0, vcc_lo
	s_cbranch_execz .LBB140_68
; %bb.9:
	s_cmp_eq_u64 s[38:39], 0
	s_cbranch_scc1 .LBB140_11
; %bb.10:
	s_load_b64 s[0:1], s[36:37], 0x0
	v_lshlrev_b32_e32 v0, 3, v0
	s_waitcnt lgkmcnt(0)
	s_lshl_b64 s[0:1], s[0:1], 3
	s_delay_alu instid0(SALU_CYCLE_1)
	s_add_u32 s0, s38, s0
	s_addc_u32 s1, s39, s1
	global_load_b64 v[0:1], v0, s[0:1]
.LBB140_11:
	s_waitcnt vmcnt(0)
	v_lshlrev_b64 v[8:9], 3, v[0:1]
	v_lshl_or_b32 v33, v14, 7, 0x2000
	v_lshlrev_b32_e32 v34, 8, v14
	s_and_not1_b32 vcc_lo, exec_lo, s33
	s_cbranch_vccnz .LBB140_39
; %bb.12:
	s_delay_alu instid0(VALU_DEP_3) | instskip(SKIP_2) | instid1(VALU_DEP_1)
	v_add_co_u32 v0, vcc_lo, s16, v8
	v_add_co_ci_u32_e32 v1, vcc_lo, s17, v9, vcc_lo
	v_sub_co_u32 v16, s0, v35, s24
	v_sub_co_ci_u32_e64 v17, null, 0, 0, s0
	global_load_b128 v[0:3], v[0:1], off
	s_mov_b32 s1, 0
	s_mov_b32 s0, exec_lo
	s_waitcnt vmcnt(0)
	v_sub_co_u32 v14, vcc_lo, v2, s24
	v_subrev_co_ci_u32_e32 v15, vcc_lo, 0, v3, vcc_lo
	v_add_co_u32 v16, vcc_lo, v0, v16
	v_add_co_ci_u32_e32 v17, vcc_lo, v1, v17, vcc_lo
	s_delay_alu instid0(VALU_DEP_1)
	v_cmpx_lt_i64_e64 v[16:17], v[14:15]
	s_cbranch_execz .LBB140_38
; %bb.13:
	s_mov_b32 s15, s25
	s_branch .LBB140_15
.LBB140_14:                             ;   in Loop: Header=BB140_15 Depth=1
	s_or_b32 exec_lo, exec_lo, s16
	v_add_co_u32 v16, vcc_lo, v16, 8
	v_add_co_ci_u32_e32 v17, vcc_lo, 0, v17, vcc_lo
	s_delay_alu instid0(VALU_DEP_1) | instskip(SKIP_1) | instid1(SALU_CYCLE_1)
	v_cmp_ge_i64_e32 vcc_lo, v[16:17], v[14:15]
	s_or_b32 s1, vcc_lo, s1
	s_and_not1_b32 exec_lo, exec_lo, s1
	s_cbranch_execz .LBB140_38
.LBB140_15:                             ; =>This Loop Header: Depth=1
                                        ;     Child Loop BB140_18 Depth 2
                                        ;       Child Loop BB140_20 Depth 3
                                        ;         Child Loop BB140_26 Depth 4
                                        ;         Child Loop BB140_28 Depth 4
	;; [unrolled: 1-line block ×4, first 2 shown]
	v_lshlrev_b64 v[0:1], 3, v[16:17]
	s_mov_b32 s16, exec_lo
	s_delay_alu instid0(VALU_DEP_1) | instskip(NEXT) | instid1(VALU_DEP_2)
	v_add_co_u32 v0, vcc_lo, s18, v0
	v_add_co_ci_u32_e32 v1, vcc_lo, s19, v1, vcc_lo
	global_load_b64 v[0:1], v[0:1], off
	s_waitcnt vmcnt(0)
	v_sub_co_u32 v0, vcc_lo, v0, s24
	v_subrev_co_ci_u32_e32 v1, vcc_lo, 0, v1, vcc_lo
	s_delay_alu instid0(VALU_DEP_1) | instskip(NEXT) | instid1(VALU_DEP_1)
	v_lshlrev_b64 v[0:1], 3, v[0:1]
	v_add_co_u32 v0, vcc_lo, s22, v0
	s_delay_alu instid0(VALU_DEP_2)
	v_add_co_ci_u32_e32 v1, vcc_lo, s23, v1, vcc_lo
	global_load_b128 v[0:3], v[0:1], off
	s_waitcnt vmcnt(0)
	v_cmpx_lt_i64_e64 v[0:1], v[2:3]
	s_cbranch_execz .LBB140_14
; %bb.16:                               ;   in Loop: Header=BB140_15 Depth=1
	v_lshlrev_b64 v[18:19], 4, v[16:17]
	s_mov_b32 s17, 0
	s_delay_alu instid0(VALU_DEP_1) | instskip(NEXT) | instid1(VALU_DEP_2)
	v_add_co_u32 v18, vcc_lo, s20, v18
	v_add_co_ci_u32_e32 v19, vcc_lo, s21, v19, vcc_lo
	v_sub_co_u32 v2, vcc_lo, v2, s15
	v_subrev_co_ci_u32_e32 v3, vcc_lo, 0, v3, vcc_lo
	global_load_b128 v[20:23], v[18:19], off
	v_sub_co_u32 v0, vcc_lo, v0, s15
	v_subrev_co_ci_u32_e32 v1, vcc_lo, 0, v1, vcc_lo
	s_waitcnt vmcnt(0)
	v_mul_f64 v[18:19], v[22:23], -v[12:13]
	v_mul_f64 v[22:23], v[10:11], v[22:23]
	s_delay_alu instid0(VALU_DEP_2) | instskip(NEXT) | instid1(VALU_DEP_2)
	v_fma_f64 v[18:19], v[10:11], v[20:21], v[18:19]
	v_fma_f64 v[20:21], v[12:13], v[20:21], v[22:23]
	s_branch .LBB140_18
.LBB140_17:                             ;   in Loop: Header=BB140_18 Depth=2
	s_or_b32 exec_lo, exec_lo, s25
	v_add_co_u32 v0, vcc_lo, v0, 1
	v_add_co_ci_u32_e32 v1, vcc_lo, 0, v1, vcc_lo
	s_delay_alu instid0(VALU_DEP_1) | instskip(SKIP_1) | instid1(SALU_CYCLE_1)
	v_cmp_ge_i64_e32 vcc_lo, v[0:1], v[2:3]
	s_or_b32 s17, vcc_lo, s17
	s_and_not1_b32 exec_lo, exec_lo, s17
	s_cbranch_execz .LBB140_14
.LBB140_18:                             ;   Parent Loop BB140_15 Depth=1
                                        ; =>  This Loop Header: Depth=2
                                        ;       Child Loop BB140_20 Depth 3
                                        ;         Child Loop BB140_26 Depth 4
                                        ;         Child Loop BB140_28 Depth 4
	;; [unrolled: 1-line block ×4, first 2 shown]
	v_lshlrev_b64 v[22:23], 4, v[0:1]
	s_mov_b32 s25, 0
	s_delay_alu instid0(VALU_DEP_1) | instskip(NEXT) | instid1(VALU_DEP_2)
	v_add_co_u32 v22, vcc_lo, s30, v22
	v_add_co_ci_u32_e32 v23, vcc_lo, s31, v23, vcc_lo
	global_load_b128 v[24:27], v[22:23], off
	v_lshlrev_b64 v[22:23], 3, v[0:1]
	s_delay_alu instid0(VALU_DEP_1) | instskip(NEXT) | instid1(VALU_DEP_2)
	v_add_co_u32 v22, vcc_lo, s28, v22
	v_add_co_ci_u32_e32 v23, vcc_lo, s29, v23, vcc_lo
	global_load_b64 v[28:29], v[22:23], off
	s_waitcnt vmcnt(1)
	v_mul_f64 v[22:23], v[26:27], -v[20:21]
	v_mul_f64 v[26:27], v[18:19], v[26:27]
	s_delay_alu instid0(VALU_DEP_2) | instskip(NEXT) | instid1(VALU_DEP_2)
	v_fma_f64 v[22:23], v[18:19], v[24:25], v[22:23]
	v_fma_f64 v[24:25], v[20:21], v[24:25], v[26:27]
	s_waitcnt vmcnt(0)
	v_sub_co_u32 v26, vcc_lo, v28, s15
	v_subrev_co_ci_u32_e32 v27, vcc_lo, 0, v29, vcc_lo
	s_delay_alu instid0(VALU_DEP_2) | instskip(NEXT) | instid1(VALU_DEP_1)
	v_lshl_add_u32 v28, v26, 3, v26
	v_and_b32_e32 v36, 15, v28
	s_branch .LBB140_20
.LBB140_19:                             ;   in Loop: Header=BB140_20 Depth=3
	s_or_b32 exec_lo, exec_lo, s33
	s_xor_b32 s33, s34, -1
	s_delay_alu instid0(SALU_CYCLE_1) | instskip(NEXT) | instid1(SALU_CYCLE_1)
	s_and_b32 s33, exec_lo, s33
	s_or_b32 s25, s33, s25
	s_delay_alu instid0(SALU_CYCLE_1)
	s_and_not1_b32 exec_lo, exec_lo, s25
	s_cbranch_execz .LBB140_17
.LBB140_20:                             ;   Parent Loop BB140_15 Depth=1
                                        ;     Parent Loop BB140_18 Depth=2
                                        ; =>    This Loop Header: Depth=3
                                        ;         Child Loop BB140_26 Depth 4
                                        ;         Child Loop BB140_28 Depth 4
	;; [unrolled: 1-line block ×4, first 2 shown]
	s_delay_alu instid0(VALU_DEP_1)
	v_lshl_add_u32 v37, v36, 3, v33
	s_mov_b32 s33, exec_lo
                                        ; implicit-def: $sgpr34
	ds_load_b64 v[28:29], v37
	s_waitcnt lgkmcnt(0)
	v_cmpx_ne_u64_e64 v[28:29], v[26:27]
	s_xor_b32 s33, exec_lo, s33
	s_cbranch_execz .LBB140_32
; %bb.21:                               ;   in Loop: Header=BB140_20 Depth=3
	s_mov_b32 s35, exec_lo
                                        ; implicit-def: $sgpr34
	v_cmpx_ne_u64_e64 s[2:3], v[28:29]
	s_xor_b32 s35, exec_lo, s35
; %bb.22:                               ;   in Loop: Header=BB140_20 Depth=3
	v_add_nc_u32_e32 v28, 1, v36
	s_mov_b32 s34, -1
                                        ; implicit-def: $vgpr37
	s_delay_alu instid0(VALU_DEP_1)
	v_and_b32_e32 v36, 15, v28
; %bb.23:                               ;   in Loop: Header=BB140_20 Depth=3
	s_and_not1_saveexec_b32 s35, s35
	s_cbranch_execz .LBB140_31
; %bb.24:                               ;   in Loop: Header=BB140_20 Depth=3
	v_dual_mov_b32 v29, s3 :: v_dual_mov_b32 v28, s2
	s_mov_b32 s37, -1
	s_mov_b32 s36, exec_lo
	ds_cmpstore_rtn_b64 v[28:29], v37, v[26:27], v[28:29]
	s_waitcnt lgkmcnt(0)
	v_cmpx_eq_u64_e64 s[2:3], v[28:29]
	s_cbranch_execz .LBB140_30
; %bb.25:                               ;   in Loop: Header=BB140_20 Depth=3
	v_lshl_add_u32 v37, v36, 4, v34
	s_mov_b32 s37, 0
	ds_load_b64 v[28:29], v37
.LBB140_26:                             ;   Parent Loop BB140_15 Depth=1
                                        ;     Parent Loop BB140_18 Depth=2
                                        ;       Parent Loop BB140_20 Depth=3
                                        ; =>      This Inner Loop Header: Depth=4
	s_waitcnt lgkmcnt(0)
	v_add_f64 v[38:39], v[28:29], v[22:23]
	ds_cmpstore_rtn_b64 v[38:39], v37, v[38:39], v[28:29]
	s_waitcnt lgkmcnt(0)
	v_cmp_eq_u64_e32 vcc_lo, v[38:39], v[28:29]
	v_dual_mov_b32 v28, v38 :: v_dual_mov_b32 v29, v39
	s_or_b32 s37, vcc_lo, s37
	s_delay_alu instid0(SALU_CYCLE_1)
	s_and_not1_b32 exec_lo, exec_lo, s37
	s_cbranch_execnz .LBB140_26
; %bb.27:                               ;   in Loop: Header=BB140_20 Depth=3
	s_or_b32 exec_lo, exec_lo, s37
	ds_load_b64 v[28:29], v37 offset:8
	s_mov_b32 s37, 0
.LBB140_28:                             ;   Parent Loop BB140_15 Depth=1
                                        ;     Parent Loop BB140_18 Depth=2
                                        ;       Parent Loop BB140_20 Depth=3
                                        ; =>      This Inner Loop Header: Depth=4
	s_waitcnt lgkmcnt(0)
	v_add_f64 v[38:39], v[28:29], v[24:25]
	ds_cmpstore_rtn_b64 v[38:39], v37, v[38:39], v[28:29] offset:8
	s_waitcnt lgkmcnt(0)
	v_cmp_eq_u64_e32 vcc_lo, v[38:39], v[28:29]
	v_dual_mov_b32 v28, v38 :: v_dual_mov_b32 v29, v39
	s_or_b32 s37, vcc_lo, s37
	s_delay_alu instid0(SALU_CYCLE_1)
	s_and_not1_b32 exec_lo, exec_lo, s37
	s_cbranch_execnz .LBB140_28
; %bb.29:                               ;   in Loop: Header=BB140_20 Depth=3
	s_or_b32 exec_lo, exec_lo, s37
	s_delay_alu instid0(SALU_CYCLE_1)
	s_xor_b32 s37, exec_lo, -1
.LBB140_30:                             ;   in Loop: Header=BB140_20 Depth=3
	s_or_b32 exec_lo, exec_lo, s36
	s_delay_alu instid0(SALU_CYCLE_1) | instskip(SKIP_1) | instid1(SALU_CYCLE_1)
	s_and_not1_b32 s34, s34, exec_lo
	s_and_b32 s36, s37, exec_lo
	s_or_b32 s34, s34, s36
.LBB140_31:                             ;   in Loop: Header=BB140_20 Depth=3
	s_or_b32 exec_lo, exec_lo, s35
	s_delay_alu instid0(SALU_CYCLE_1)
	s_and_b32 s34, s34, exec_lo
.LBB140_32:                             ;   in Loop: Header=BB140_20 Depth=3
	s_and_not1_saveexec_b32 s33, s33
	s_cbranch_execz .LBB140_19
; %bb.33:                               ;   in Loop: Header=BB140_20 Depth=3
	v_lshl_add_u32 v37, v36, 4, v34
	s_mov_b32 s35, 0
	ds_load_b64 v[28:29], v37
.LBB140_34:                             ;   Parent Loop BB140_15 Depth=1
                                        ;     Parent Loop BB140_18 Depth=2
                                        ;       Parent Loop BB140_20 Depth=3
                                        ; =>      This Inner Loop Header: Depth=4
	s_waitcnt lgkmcnt(0)
	v_add_f64 v[38:39], v[28:29], v[22:23]
	ds_cmpstore_rtn_b64 v[38:39], v37, v[38:39], v[28:29]
	s_waitcnt lgkmcnt(0)
	v_cmp_eq_u64_e32 vcc_lo, v[38:39], v[28:29]
	v_dual_mov_b32 v28, v38 :: v_dual_mov_b32 v29, v39
	s_or_b32 s35, vcc_lo, s35
	s_delay_alu instid0(SALU_CYCLE_1)
	s_and_not1_b32 exec_lo, exec_lo, s35
	s_cbranch_execnz .LBB140_34
; %bb.35:                               ;   in Loop: Header=BB140_20 Depth=3
	s_or_b32 exec_lo, exec_lo, s35
	ds_load_b64 v[28:29], v37 offset:8
	s_mov_b32 s35, 0
.LBB140_36:                             ;   Parent Loop BB140_15 Depth=1
                                        ;     Parent Loop BB140_18 Depth=2
                                        ;       Parent Loop BB140_20 Depth=3
                                        ; =>      This Inner Loop Header: Depth=4
	s_waitcnt lgkmcnt(0)
	v_add_f64 v[38:39], v[28:29], v[24:25]
	ds_cmpstore_rtn_b64 v[38:39], v37, v[38:39], v[28:29] offset:8
	s_waitcnt lgkmcnt(0)
	v_cmp_eq_u64_e32 vcc_lo, v[38:39], v[28:29]
	v_dual_mov_b32 v28, v38 :: v_dual_mov_b32 v29, v39
	s_or_b32 s35, vcc_lo, s35
	s_delay_alu instid0(SALU_CYCLE_1)
	s_and_not1_b32 exec_lo, exec_lo, s35
	s_cbranch_execnz .LBB140_36
; %bb.37:                               ;   in Loop: Header=BB140_20 Depth=3
	s_or_b32 exec_lo, exec_lo, s35
	s_delay_alu instid0(SALU_CYCLE_1)
	s_and_not1_b32 s34, s34, exec_lo
	s_branch .LBB140_19
.LBB140_38:
	s_or_b32 exec_lo, exec_lo, s0
.LBB140_39:
	s_delay_alu instid0(SALU_CYCLE_1)
	s_and_not1_b32 vcc_lo, exec_lo, s14
	s_cbranch_vccnz .LBB140_64
; %bb.40:
	v_add_co_u32 v0, vcc_lo, s4, v8
	v_add_co_ci_u32_e32 v1, vcc_lo, s5, v9, vcc_lo
	v_sub_co_u32 v2, s0, v35, s27
	s_delay_alu instid0(VALU_DEP_1)
	v_sub_co_ci_u32_e64 v3, null, 0, 0, s0
	global_load_b128 v[10:13], v[0:1], off
	s_mov_b32 s0, 0
	s_mov_b32 s1, exec_lo
	s_waitcnt vmcnt(0)
	v_sub_co_u32 v0, vcc_lo, v12, s27
	v_subrev_co_ci_u32_e32 v1, vcc_lo, 0, v13, vcc_lo
	v_add_co_u32 v2, vcc_lo, v10, v2
	v_add_co_ci_u32_e32 v3, vcc_lo, v11, v3, vcc_lo
	s_delay_alu instid0(VALU_DEP_1)
	v_cmpx_lt_i64_e64 v[2:3], v[0:1]
	s_cbranch_execz .LBB140_63
; %bb.41:
	s_mov_b32 s4, s27
	s_branch .LBB140_43
.LBB140_42:                             ;   in Loop: Header=BB140_43 Depth=1
	s_or_b32 exec_lo, exec_lo, s5
	v_add_co_u32 v2, vcc_lo, v2, 8
	v_add_co_ci_u32_e32 v3, vcc_lo, 0, v3, vcc_lo
	s_delay_alu instid0(VALU_DEP_1) | instskip(SKIP_1) | instid1(SALU_CYCLE_1)
	v_cmp_ge_i64_e32 vcc_lo, v[2:3], v[0:1]
	s_or_b32 s0, vcc_lo, s0
	s_and_not1_b32 exec_lo, exec_lo, s0
	s_cbranch_execz .LBB140_63
.LBB140_43:                             ; =>This Loop Header: Depth=1
                                        ;     Child Loop BB140_45 Depth 2
                                        ;       Child Loop BB140_51 Depth 3
                                        ;       Child Loop BB140_53 Depth 3
	;; [unrolled: 1-line block ×4, first 2 shown]
	v_lshlrev_b64 v[10:11], 4, v[2:3]
	s_mov_b32 s5, 0
	s_delay_alu instid0(VALU_DEP_1) | instskip(NEXT) | instid1(VALU_DEP_2)
	v_add_co_u32 v10, vcc_lo, s8, v10
	v_add_co_ci_u32_e32 v11, vcc_lo, s9, v11, vcc_lo
	global_load_b128 v[12:15], v[10:11], off
	v_lshlrev_b64 v[10:11], 3, v[2:3]
	s_delay_alu instid0(VALU_DEP_1) | instskip(NEXT) | instid1(VALU_DEP_2)
	v_add_co_u32 v10, vcc_lo, s6, v10
	v_add_co_ci_u32_e32 v11, vcc_lo, s7, v11, vcc_lo
	global_load_b64 v[16:17], v[10:11], off
	s_waitcnt vmcnt(1)
	v_mul_f64 v[10:11], v[14:15], -v[4:5]
	v_mul_f64 v[14:15], v[6:7], v[14:15]
	s_delay_alu instid0(VALU_DEP_2) | instskip(NEXT) | instid1(VALU_DEP_2)
	v_fma_f64 v[10:11], v[6:7], v[12:13], v[10:11]
	v_fma_f64 v[12:13], v[4:5], v[12:13], v[14:15]
	s_waitcnt vmcnt(0)
	v_sub_co_u32 v14, vcc_lo, v16, s4
	v_subrev_co_ci_u32_e32 v15, vcc_lo, 0, v17, vcc_lo
	s_delay_alu instid0(VALU_DEP_2) | instskip(NEXT) | instid1(VALU_DEP_1)
	v_lshl_add_u32 v16, v14, 3, v14
	v_and_b32_e32 v18, 15, v16
	s_branch .LBB140_45
.LBB140_44:                             ;   in Loop: Header=BB140_45 Depth=2
	s_or_b32 exec_lo, exec_lo, s14
	s_xor_b32 s14, s15, -1
	s_delay_alu instid0(SALU_CYCLE_1) | instskip(NEXT) | instid1(SALU_CYCLE_1)
	s_and_b32 s14, exec_lo, s14
	s_or_b32 s5, s14, s5
	s_delay_alu instid0(SALU_CYCLE_1)
	s_and_not1_b32 exec_lo, exec_lo, s5
	s_cbranch_execz .LBB140_42
.LBB140_45:                             ;   Parent Loop BB140_43 Depth=1
                                        ; =>  This Loop Header: Depth=2
                                        ;       Child Loop BB140_51 Depth 3
                                        ;       Child Loop BB140_53 Depth 3
	;; [unrolled: 1-line block ×4, first 2 shown]
	s_delay_alu instid0(VALU_DEP_1)
	v_lshl_add_u32 v19, v18, 3, v33
	s_mov_b32 s14, exec_lo
                                        ; implicit-def: $sgpr15
	ds_load_b64 v[16:17], v19
	s_waitcnt lgkmcnt(0)
	v_cmpx_ne_u64_e64 v[16:17], v[14:15]
	s_xor_b32 s14, exec_lo, s14
	s_cbranch_execz .LBB140_57
; %bb.46:                               ;   in Loop: Header=BB140_45 Depth=2
	s_mov_b32 s16, exec_lo
                                        ; implicit-def: $sgpr15
	v_cmpx_ne_u64_e64 s[2:3], v[16:17]
	s_xor_b32 s16, exec_lo, s16
; %bb.47:                               ;   in Loop: Header=BB140_45 Depth=2
	v_add_nc_u32_e32 v16, 1, v18
	s_mov_b32 s15, -1
                                        ; implicit-def: $vgpr19
	s_delay_alu instid0(VALU_DEP_1)
	v_and_b32_e32 v18, 15, v16
; %bb.48:                               ;   in Loop: Header=BB140_45 Depth=2
	s_and_not1_saveexec_b32 s16, s16
	s_cbranch_execz .LBB140_56
; %bb.49:                               ;   in Loop: Header=BB140_45 Depth=2
	v_dual_mov_b32 v17, s3 :: v_dual_mov_b32 v16, s2
	s_mov_b32 s18, -1
	s_mov_b32 s17, exec_lo
	ds_cmpstore_rtn_b64 v[16:17], v19, v[14:15], v[16:17]
	s_waitcnt lgkmcnt(0)
	v_cmpx_eq_u64_e64 s[2:3], v[16:17]
	s_cbranch_execz .LBB140_55
; %bb.50:                               ;   in Loop: Header=BB140_45 Depth=2
	v_lshl_add_u32 v19, v18, 4, v34
	s_mov_b32 s18, 0
	ds_load_b64 v[16:17], v19
.LBB140_51:                             ;   Parent Loop BB140_43 Depth=1
                                        ;     Parent Loop BB140_45 Depth=2
                                        ; =>    This Inner Loop Header: Depth=3
	s_waitcnt lgkmcnt(0)
	v_add_f64 v[20:21], v[16:17], v[10:11]
	ds_cmpstore_rtn_b64 v[20:21], v19, v[20:21], v[16:17]
	s_waitcnt lgkmcnt(0)
	v_cmp_eq_u64_e32 vcc_lo, v[20:21], v[16:17]
	v_dual_mov_b32 v16, v20 :: v_dual_mov_b32 v17, v21
	s_or_b32 s18, vcc_lo, s18
	s_delay_alu instid0(SALU_CYCLE_1)
	s_and_not1_b32 exec_lo, exec_lo, s18
	s_cbranch_execnz .LBB140_51
; %bb.52:                               ;   in Loop: Header=BB140_45 Depth=2
	s_or_b32 exec_lo, exec_lo, s18
	ds_load_b64 v[16:17], v19 offset:8
	s_mov_b32 s18, 0
.LBB140_53:                             ;   Parent Loop BB140_43 Depth=1
                                        ;     Parent Loop BB140_45 Depth=2
                                        ; =>    This Inner Loop Header: Depth=3
	s_waitcnt lgkmcnt(0)
	v_add_f64 v[20:21], v[16:17], v[12:13]
	ds_cmpstore_rtn_b64 v[20:21], v19, v[20:21], v[16:17] offset:8
	s_waitcnt lgkmcnt(0)
	v_cmp_eq_u64_e32 vcc_lo, v[20:21], v[16:17]
	v_dual_mov_b32 v16, v20 :: v_dual_mov_b32 v17, v21
	s_or_b32 s18, vcc_lo, s18
	s_delay_alu instid0(SALU_CYCLE_1)
	s_and_not1_b32 exec_lo, exec_lo, s18
	s_cbranch_execnz .LBB140_53
; %bb.54:                               ;   in Loop: Header=BB140_45 Depth=2
	s_or_b32 exec_lo, exec_lo, s18
	s_delay_alu instid0(SALU_CYCLE_1)
	s_xor_b32 s18, exec_lo, -1
.LBB140_55:                             ;   in Loop: Header=BB140_45 Depth=2
	s_or_b32 exec_lo, exec_lo, s17
	s_delay_alu instid0(SALU_CYCLE_1) | instskip(SKIP_1) | instid1(SALU_CYCLE_1)
	s_and_not1_b32 s15, s15, exec_lo
	s_and_b32 s17, s18, exec_lo
	s_or_b32 s15, s15, s17
.LBB140_56:                             ;   in Loop: Header=BB140_45 Depth=2
	s_or_b32 exec_lo, exec_lo, s16
	s_delay_alu instid0(SALU_CYCLE_1)
	s_and_b32 s15, s15, exec_lo
.LBB140_57:                             ;   in Loop: Header=BB140_45 Depth=2
	s_and_not1_saveexec_b32 s14, s14
	s_cbranch_execz .LBB140_44
; %bb.58:                               ;   in Loop: Header=BB140_45 Depth=2
	v_lshl_add_u32 v19, v18, 4, v34
	s_mov_b32 s16, 0
	ds_load_b64 v[16:17], v19
.LBB140_59:                             ;   Parent Loop BB140_43 Depth=1
                                        ;     Parent Loop BB140_45 Depth=2
                                        ; =>    This Inner Loop Header: Depth=3
	s_waitcnt lgkmcnt(0)
	v_add_f64 v[20:21], v[16:17], v[10:11]
	ds_cmpstore_rtn_b64 v[20:21], v19, v[20:21], v[16:17]
	s_waitcnt lgkmcnt(0)
	v_cmp_eq_u64_e32 vcc_lo, v[20:21], v[16:17]
	v_dual_mov_b32 v16, v20 :: v_dual_mov_b32 v17, v21
	s_or_b32 s16, vcc_lo, s16
	s_delay_alu instid0(SALU_CYCLE_1)
	s_and_not1_b32 exec_lo, exec_lo, s16
	s_cbranch_execnz .LBB140_59
; %bb.60:                               ;   in Loop: Header=BB140_45 Depth=2
	s_or_b32 exec_lo, exec_lo, s16
	ds_load_b64 v[16:17], v19 offset:8
	s_mov_b32 s16, 0
.LBB140_61:                             ;   Parent Loop BB140_43 Depth=1
                                        ;     Parent Loop BB140_45 Depth=2
                                        ; =>    This Inner Loop Header: Depth=3
	s_waitcnt lgkmcnt(0)
	v_add_f64 v[20:21], v[16:17], v[12:13]
	ds_cmpstore_rtn_b64 v[20:21], v19, v[20:21], v[16:17] offset:8
	s_waitcnt lgkmcnt(0)
	v_cmp_eq_u64_e32 vcc_lo, v[20:21], v[16:17]
	v_dual_mov_b32 v16, v20 :: v_dual_mov_b32 v17, v21
	s_or_b32 s16, vcc_lo, s16
	s_delay_alu instid0(SALU_CYCLE_1)
	s_and_not1_b32 exec_lo, exec_lo, s16
	s_cbranch_execnz .LBB140_61
; %bb.62:                               ;   in Loop: Header=BB140_45 Depth=2
	s_or_b32 exec_lo, exec_lo, s16
	s_delay_alu instid0(SALU_CYCLE_1)
	s_and_not1_b32 s15, s15, exec_lo
	s_branch .LBB140_44
.LBB140_63:
	s_or_b32 exec_lo, exec_lo, s1
.LBB140_64:
	v_add_co_u32 v0, vcc_lo, s10, v8
	v_add_co_ci_u32_e32 v1, vcc_lo, s11, v9, vcc_lo
	buffer_gl0_inv
	s_mov_b32 s0, 0
	global_load_b64 v[0:1], v[0:1], off
	s_waitcnt vmcnt(0)
	v_sub_co_u32 v0, vcc_lo, v0, s26
	v_subrev_co_ci_u32_e32 v1, vcc_lo, 0, v1, vcc_lo
	s_delay_alu instid0(VALU_DEP_1) | instskip(NEXT) | instid1(VALU_DEP_1)
	v_lshlrev_b64 v[0:1], 4, v[0:1]
	v_add_co_u32 v2, vcc_lo, s12, v0
	s_delay_alu instid0(VALU_DEP_2)
	v_add_co_ci_u32_e32 v3, vcc_lo, s13, v1, vcc_lo
	s_branch .LBB140_66
.LBB140_65:                             ;   in Loop: Header=BB140_66 Depth=1
	s_or_b32 exec_lo, exec_lo, s1
	v_add_co_u32 v30, s1, v30, 8
	s_delay_alu instid0(VALU_DEP_1) | instskip(SKIP_3) | instid1(SALU_CYCLE_1)
	s_xor_b32 s1, s1, -1
	v_add_nc_u32_e32 v32, 0x80, v32
	v_add_nc_u32_e32 v31, 64, v31
	s_and_b32 s1, exec_lo, s1
	s_or_b32 s0, s1, s0
	s_delay_alu instid0(SALU_CYCLE_1)
	s_and_not1_b32 exec_lo, exec_lo, s0
	s_cbranch_execz .LBB140_68
.LBB140_66:                             ; =>This Inner Loop Header: Depth=1
	ds_load_b64 v[0:1], v31
	s_mov_b32 s1, exec_lo
	s_waitcnt lgkmcnt(0)
	v_cmpx_gt_i64_e64 s[2:3], v[0:1]
	s_cbranch_execz .LBB140_65
; %bb.67:                               ;   in Loop: Header=BB140_66 Depth=1
	ds_load_b128 v[4:7], v33
	ds_load_b128 v[8:11], v33 offset:16
	ds_load_b128 v[12:15], v33 offset:32
	;; [unrolled: 1-line block ×7, first 2 shown]
	s_waitcnt lgkmcnt(7)
	v_cmp_gt_i64_e32 vcc_lo, v[0:1], v[4:5]
	v_cndmask_b32_e64 v4, 0, 1, vcc_lo
	v_cmp_gt_i64_e32 vcc_lo, v[0:1], v[6:7]
	s_delay_alu instid0(VALU_DEP_2) | instskip(SKIP_3) | instid1(VALU_DEP_2)
	v_lshlrev_b32_e32 v4, 4, v4
	v_cndmask_b32_e64 v5, 0, 1, vcc_lo
	s_waitcnt lgkmcnt(6)
	v_cmp_gt_i64_e32 vcc_lo, v[0:1], v[8:9]
	v_lshlrev_b32_e32 v5, 4, v5
	v_cndmask_b32_e64 v6, 0, 1, vcc_lo
	v_cmp_gt_i64_e32 vcc_lo, v[0:1], v[10:11]
	s_delay_alu instid0(VALU_DEP_2) | instskip(SKIP_3) | instid1(VALU_DEP_2)
	v_lshlrev_b32_e32 v6, 4, v6
	v_cndmask_b32_e64 v7, 0, 1, vcc_lo
	s_waitcnt lgkmcnt(5)
	v_cmp_gt_i64_e32 vcc_lo, v[0:1], v[12:13]
	v_lshlrev_b32_e32 v7, 4, v7
	v_cndmask_b32_e64 v8, 0, 1, vcc_lo
	v_cmp_gt_i64_e32 vcc_lo, v[0:1], v[14:15]
	v_cndmask_b32_e64 v9, 0, 1, vcc_lo
	s_waitcnt lgkmcnt(4)
	v_cmp_gt_i64_e32 vcc_lo, v[0:1], v[16:17]
	v_cndmask_b32_e64 v10, 0, 1, vcc_lo
	v_cmp_gt_i64_e32 vcc_lo, v[0:1], v[18:19]
	v_cndmask_b32_e64 v11, 0, 1, vcc_lo
	v_add_co_u32 v4, vcc_lo, v2, v4
	v_add_co_ci_u32_e32 v12, vcc_lo, 0, v3, vcc_lo
	s_delay_alu instid0(VALU_DEP_2) | instskip(NEXT) | instid1(VALU_DEP_2)
	v_add_co_u32 v4, vcc_lo, v4, v5
	v_add_co_ci_u32_e32 v5, vcc_lo, 0, v12, vcc_lo
	s_delay_alu instid0(VALU_DEP_2) | instskip(NEXT) | instid1(VALU_DEP_2)
	v_add_co_u32 v4, vcc_lo, v4, v6
	v_add_co_ci_u32_e32 v5, vcc_lo, 0, v5, vcc_lo
	v_lshlrev_b32_e32 v6, 4, v8
	s_delay_alu instid0(VALU_DEP_3) | instskip(NEXT) | instid1(VALU_DEP_3)
	v_add_co_u32 v4, vcc_lo, v4, v7
	v_add_co_ci_u32_e32 v5, vcc_lo, 0, v5, vcc_lo
	v_lshlrev_b32_e32 v7, 4, v9
	s_delay_alu instid0(VALU_DEP_3) | instskip(NEXT) | instid1(VALU_DEP_3)
	;; [unrolled: 4-line block ×4, first 2 shown]
	v_add_co_u32 v4, vcc_lo, v4, v6
	v_add_co_ci_u32_e32 v5, vcc_lo, 0, v5, vcc_lo
	s_waitcnt lgkmcnt(3)
	v_cmp_gt_i64_e32 vcc_lo, v[0:1], v[20:21]
	v_cndmask_b32_e64 v6, 0, 1, vcc_lo
	v_add_co_u32 v4, vcc_lo, v4, v7
	v_add_co_ci_u32_e32 v5, vcc_lo, 0, v5, vcc_lo
	v_cmp_gt_i64_e32 vcc_lo, v[0:1], v[22:23]
	s_delay_alu instid0(VALU_DEP_4)
	v_lshlrev_b32_e32 v6, 4, v6
	v_cndmask_b32_e64 v7, 0, 1, vcc_lo
	s_waitcnt lgkmcnt(2)
	v_cmp_gt_i64_e32 vcc_lo, v[0:1], v[24:25]
	v_cndmask_b32_e64 v8, 0, 1, vcc_lo
	v_add_co_u32 v4, vcc_lo, v4, v6
	v_add_co_ci_u32_e32 v5, vcc_lo, 0, v5, vcc_lo
	v_cmp_gt_i64_e32 vcc_lo, v[0:1], v[26:27]
	v_lshlrev_b32_e32 v6, 4, v7
	v_lshlrev_b32_e32 v7, 4, v8
	v_cndmask_b32_e64 v8, 0, 1, vcc_lo
	s_delay_alu instid0(VALU_DEP_3) | instskip(SKIP_1) | instid1(VALU_DEP_3)
	v_add_co_u32 v4, vcc_lo, v4, v6
	v_add_co_ci_u32_e32 v5, vcc_lo, 0, v5, vcc_lo
	v_lshlrev_b32_e32 v6, 4, v8
	s_delay_alu instid0(VALU_DEP_3) | instskip(NEXT) | instid1(VALU_DEP_3)
	v_add_co_u32 v4, vcc_lo, v4, v7
	v_add_co_ci_u32_e32 v5, vcc_lo, 0, v5, vcc_lo
	s_waitcnt lgkmcnt(1)
	v_cmp_gt_i64_e32 vcc_lo, v[0:1], v[34:35]
	v_cndmask_b32_e64 v7, 0, 1, vcc_lo
	v_add_co_u32 v4, vcc_lo, v4, v6
	v_add_co_ci_u32_e32 v5, vcc_lo, 0, v5, vcc_lo
	v_cmp_gt_i64_e32 vcc_lo, v[0:1], v[36:37]
	s_delay_alu instid0(VALU_DEP_4) | instskip(SKIP_3) | instid1(VALU_DEP_2)
	v_lshlrev_b32_e32 v6, 4, v7
	v_cndmask_b32_e64 v7, 0, 1, vcc_lo
	s_waitcnt lgkmcnt(0)
	v_cmp_gt_i64_e32 vcc_lo, v[0:1], v[38:39]
	v_lshlrev_b32_e32 v11, 4, v7
	v_cndmask_b32_e64 v8, 0, 1, vcc_lo
	v_add_co_u32 v9, vcc_lo, v4, v6
	v_add_co_ci_u32_e32 v10, vcc_lo, 0, v5, vcc_lo
	v_cmp_gt_i64_e32 vcc_lo, v[0:1], v[40:41]
	ds_load_2addr_b64 v[4:7], v32 offset1:1
	v_lshlrev_b32_e32 v8, 4, v8
	v_cndmask_b32_e64 v0, 0, 1, vcc_lo
	v_add_co_u32 v1, vcc_lo, v9, v11
	v_add_co_ci_u32_e32 v9, vcc_lo, 0, v10, vcc_lo
	s_delay_alu instid0(VALU_DEP_3) | instskip(NEXT) | instid1(VALU_DEP_3)
	v_lshlrev_b32_e32 v0, 4, v0
	v_add_co_u32 v1, vcc_lo, v1, v8
	s_delay_alu instid0(VALU_DEP_3) | instskip(NEXT) | instid1(VALU_DEP_2)
	v_add_co_ci_u32_e32 v8, vcc_lo, 0, v9, vcc_lo
	v_add_co_u32 v0, vcc_lo, v1, v0
	s_delay_alu instid0(VALU_DEP_2)
	v_add_co_ci_u32_e32 v1, vcc_lo, 0, v8, vcc_lo
	s_waitcnt lgkmcnt(0)
	global_store_b128 v[0:1], v[4:7], off
	s_branch .LBB140_65
.LBB140_68:
	s_nop 0
	s_sendmsg sendmsg(MSG_DEALLOC_VGPRS)
	s_endpgm
	.section	.rodata,"a",@progbits
	.p2align	6, 0x0
	.amdhsa_kernel _ZN9rocsparseL38csrgemm_numeric_fill_wf_per_row_kernelILj256ELj8ELj16ELj137Ell21rocsparse_complex_numIdEEEvT4_S3_PKS3_S5_NS_24const_host_device_scalarIT5_EEPKT3_S5_PKS7_SB_S5_SD_S8_SB_S5_SD_SB_S5_PS7_21rocsparse_index_base_SF_SF_SF_bbb
		.amdhsa_group_segment_fixed_size 16384
		.amdhsa_private_segment_fixed_size 0
		.amdhsa_kernarg_size 180
		.amdhsa_user_sgpr_count 15
		.amdhsa_user_sgpr_dispatch_ptr 1
		.amdhsa_user_sgpr_queue_ptr 0
		.amdhsa_user_sgpr_kernarg_segment_ptr 1
		.amdhsa_user_sgpr_dispatch_id 0
		.amdhsa_user_sgpr_private_segment_size 0
		.amdhsa_wavefront_size32 1
		.amdhsa_uses_dynamic_stack 0
		.amdhsa_enable_private_segment 0
		.amdhsa_system_sgpr_workgroup_id_x 1
		.amdhsa_system_sgpr_workgroup_id_y 0
		.amdhsa_system_sgpr_workgroup_id_z 0
		.amdhsa_system_sgpr_workgroup_info 0
		.amdhsa_system_vgpr_workitem_id 2
		.amdhsa_next_free_vgpr 42
		.amdhsa_next_free_sgpr 44
		.amdhsa_reserve_vcc 1
		.amdhsa_float_round_mode_32 0
		.amdhsa_float_round_mode_16_64 0
		.amdhsa_float_denorm_mode_32 3
		.amdhsa_float_denorm_mode_16_64 3
		.amdhsa_dx10_clamp 1
		.amdhsa_ieee_mode 1
		.amdhsa_fp16_overflow 0
		.amdhsa_workgroup_processor_mode 1
		.amdhsa_memory_ordered 1
		.amdhsa_forward_progress 0
		.amdhsa_shared_vgpr_count 0
		.amdhsa_exception_fp_ieee_invalid_op 0
		.amdhsa_exception_fp_denorm_src 0
		.amdhsa_exception_fp_ieee_div_zero 0
		.amdhsa_exception_fp_ieee_overflow 0
		.amdhsa_exception_fp_ieee_underflow 0
		.amdhsa_exception_fp_ieee_inexact 0
		.amdhsa_exception_int_div_zero 0
	.end_amdhsa_kernel
	.section	.text._ZN9rocsparseL38csrgemm_numeric_fill_wf_per_row_kernelILj256ELj8ELj16ELj137Ell21rocsparse_complex_numIdEEEvT4_S3_PKS3_S5_NS_24const_host_device_scalarIT5_EEPKT3_S5_PKS7_SB_S5_SD_S8_SB_S5_SD_SB_S5_PS7_21rocsparse_index_base_SF_SF_SF_bbb,"axG",@progbits,_ZN9rocsparseL38csrgemm_numeric_fill_wf_per_row_kernelILj256ELj8ELj16ELj137Ell21rocsparse_complex_numIdEEEvT4_S3_PKS3_S5_NS_24const_host_device_scalarIT5_EEPKT3_S5_PKS7_SB_S5_SD_S8_SB_S5_SD_SB_S5_PS7_21rocsparse_index_base_SF_SF_SF_bbb,comdat
.Lfunc_end140:
	.size	_ZN9rocsparseL38csrgemm_numeric_fill_wf_per_row_kernelILj256ELj8ELj16ELj137Ell21rocsparse_complex_numIdEEEvT4_S3_PKS3_S5_NS_24const_host_device_scalarIT5_EEPKT3_S5_PKS7_SB_S5_SD_S8_SB_S5_SD_SB_S5_PS7_21rocsparse_index_base_SF_SF_SF_bbb, .Lfunc_end140-_ZN9rocsparseL38csrgemm_numeric_fill_wf_per_row_kernelILj256ELj8ELj16ELj137Ell21rocsparse_complex_numIdEEEvT4_S3_PKS3_S5_NS_24const_host_device_scalarIT5_EEPKT3_S5_PKS7_SB_S5_SD_S8_SB_S5_SD_SB_S5_PS7_21rocsparse_index_base_SF_SF_SF_bbb
                                        ; -- End function
	.section	.AMDGPU.csdata,"",@progbits
; Kernel info:
; codeLenInByte = 3368
; NumSgprs: 46
; NumVgprs: 42
; ScratchSize: 0
; MemoryBound: 0
; FloatMode: 240
; IeeeMode: 1
; LDSByteSize: 16384 bytes/workgroup (compile time only)
; SGPRBlocks: 5
; VGPRBlocks: 5
; NumSGPRsForWavesPerEU: 46
; NumVGPRsForWavesPerEU: 42
; Occupancy: 16
; WaveLimiterHint : 1
; COMPUTE_PGM_RSRC2:SCRATCH_EN: 0
; COMPUTE_PGM_RSRC2:USER_SGPR: 15
; COMPUTE_PGM_RSRC2:TRAP_HANDLER: 0
; COMPUTE_PGM_RSRC2:TGID_X_EN: 1
; COMPUTE_PGM_RSRC2:TGID_Y_EN: 0
; COMPUTE_PGM_RSRC2:TGID_Z_EN: 0
; COMPUTE_PGM_RSRC2:TIDIG_COMP_CNT: 2
	.section	.text._ZN9rocsparseL38csrgemm_numeric_fill_wf_per_row_kernelILj256ELj16ELj32ELj137Ell21rocsparse_complex_numIdEEEvT4_S3_PKS3_S5_NS_24const_host_device_scalarIT5_EEPKT3_S5_PKS7_SB_S5_SD_S8_SB_S5_SD_SB_S5_PS7_21rocsparse_index_base_SF_SF_SF_bbb,"axG",@progbits,_ZN9rocsparseL38csrgemm_numeric_fill_wf_per_row_kernelILj256ELj16ELj32ELj137Ell21rocsparse_complex_numIdEEEvT4_S3_PKS3_S5_NS_24const_host_device_scalarIT5_EEPKT3_S5_PKS7_SB_S5_SD_S8_SB_S5_SD_SB_S5_PS7_21rocsparse_index_base_SF_SF_SF_bbb,comdat
	.globl	_ZN9rocsparseL38csrgemm_numeric_fill_wf_per_row_kernelILj256ELj16ELj32ELj137Ell21rocsparse_complex_numIdEEEvT4_S3_PKS3_S5_NS_24const_host_device_scalarIT5_EEPKT3_S5_PKS7_SB_S5_SD_S8_SB_S5_SD_SB_S5_PS7_21rocsparse_index_base_SF_SF_SF_bbb ; -- Begin function _ZN9rocsparseL38csrgemm_numeric_fill_wf_per_row_kernelILj256ELj16ELj32ELj137Ell21rocsparse_complex_numIdEEEvT4_S3_PKS3_S5_NS_24const_host_device_scalarIT5_EEPKT3_S5_PKS7_SB_S5_SD_S8_SB_S5_SD_SB_S5_PS7_21rocsparse_index_base_SF_SF_SF_bbb
	.p2align	8
	.type	_ZN9rocsparseL38csrgemm_numeric_fill_wf_per_row_kernelILj256ELj16ELj32ELj137Ell21rocsparse_complex_numIdEEEvT4_S3_PKS3_S5_NS_24const_host_device_scalarIT5_EEPKT3_S5_PKS7_SB_S5_SD_S8_SB_S5_SD_SB_S5_PS7_21rocsparse_index_base_SF_SF_SF_bbb,@function
_ZN9rocsparseL38csrgemm_numeric_fill_wf_per_row_kernelILj256ELj16ELj32ELj137Ell21rocsparse_complex_numIdEEEvT4_S3_PKS3_S5_NS_24const_host_device_scalarIT5_EEPKT3_S5_PKS7_SB_S5_SD_S8_SB_S5_SD_SB_S5_PS7_21rocsparse_index_base_SF_SF_SF_bbb: ; @_ZN9rocsparseL38csrgemm_numeric_fill_wf_per_row_kernelILj256ELj16ELj32ELj137Ell21rocsparse_complex_numIdEEEvT4_S3_PKS3_S5_NS_24const_host_device_scalarIT5_EEPKT3_S5_PKS7_SB_S5_SD_S8_SB_S5_SD_SB_S5_PS7_21rocsparse_index_base_SF_SF_SF_bbb
; %bb.0:
	s_load_b32 s34, s[2:3], 0xb0
	s_load_b64 s[8:9], s[0:1], 0x4
	s_clause 0x1
	s_load_b128 s[4:7], s[2:3], 0x20
	s_load_b128 s[40:43], s[2:3], 0x60
	v_dual_mov_b32 v4, 0 :: v_dual_and_b32 v1, 0x3ff, v0
	s_load_b128 s[24:27], s[2:3], 0xa0
	v_bfe_u32 v3, v0, 10, 10
	v_mov_b32_e32 v5, 0
	v_bfe_u32 v0, v0, 20, 10
	s_waitcnt lgkmcnt(0)
	s_bitcmp1_b32 s34, 0
	s_cselect_b32 s33, -1, 0
	s_bitcmp1_b32 s34, 16
	v_mov_b32_e32 v6, s40
	s_cselect_b32 s0, -1, 0
	s_lshr_b32 s1, s8, 16
	s_delay_alu instid0(SALU_CYCLE_1) | instskip(NEXT) | instid1(SALU_CYCLE_1)
	s_mul_i32 s1, s1, s9
	v_mul_lo_u32 v2, s1, v1
	s_xor_b32 s1, s0, -1
	s_bitcmp0_b32 s34, 0
	v_cndmask_b32_e64 v8, 0, 1, s1
	s_delay_alu instid0(VALU_DEP_2)
	v_mad_u32_u24 v9, v3, s9, v2
	v_dual_mov_b32 v2, s4 :: v_dual_mov_b32 v3, s5
	v_mov_b32_e32 v11, v5
	v_dual_mov_b32 v13, v5 :: v_dual_mov_b32 v12, v4
	v_dual_mov_b32 v7, s41 :: v_dual_mov_b32 v10, v4
	v_cmp_ne_u32_e32 vcc_lo, 1, v8
	v_add_lshl_u32 v0, v9, v0, 3
	ds_store_2addr_stride64_b64 v0, v[6:7], v[2:3] offset0:24 offset1:28
	s_cbranch_scc1 .LBB141_3
; %bb.1:
	s_mov_b64 s[8:9], src_shared_base
	s_and_b32 s8, s0, exec_lo
	s_cselect_b32 s8, s9, s5
	s_delay_alu instid0(SALU_CYCLE_1) | instskip(SKIP_2) | instid1(VALU_DEP_2)
	v_dual_mov_b32 v3, s8 :: v_dual_add_nc_u32 v2, 0x3800, v0
	v_dual_mov_b32 v13, s7 :: v_dual_mov_b32 v12, s6
	s_and_b32 vcc_lo, exec_lo, vcc_lo
	v_cndmask_b32_e64 v2, s4, v2, s0
	flat_load_b64 v[10:11], v[2:3]
	s_cbranch_vccnz .LBB141_3
; %bb.2:
	v_dual_mov_b32 v2, s4 :: v_dual_mov_b32 v3, s5
	flat_load_b64 v[12:13], v[2:3] offset:8
.LBB141_3:
	s_clause 0x4
	s_load_b64 s[12:13], s[2:3], 0x98
	s_load_b256 s[4:11], s[2:3], 0x70
	s_load_b128 s[28:31], s[2:3], 0x50
	s_load_b128 s[36:39], s[2:3], 0x10
	s_load_b256 s[16:23], s[2:3], 0x30
	s_bitcmp1_b32 s34, 8
	v_dual_mov_b32 v7, v5 :: v_dual_mov_b32 v6, v4
	s_cselect_b32 s14, -1, 0
	s_bfe_u32 s34, s34, 0x10008
	s_delay_alu instid0(SALU_CYCLE_1)
	s_cmp_eq_u32 s34, 0
	s_cbranch_scc1 .LBB141_6
; %bb.4:
	s_mov_b64 s[34:35], src_shared_base
	s_and_b32 s34, s0, exec_lo
	s_cselect_b32 s34, s35, s41
	s_delay_alu instid0(SALU_CYCLE_1) | instskip(SKIP_2) | instid1(VALU_DEP_2)
	v_dual_mov_b32 v3, s34 :: v_dual_add_nc_u32 v0, 0x3000, v0
	v_dual_mov_b32 v4, s42 :: v_dual_mov_b32 v5, s43
	s_and_not1_b32 vcc_lo, exec_lo, s1
	v_cndmask_b32_e64 v2, s40, v0, s0
	flat_load_b64 v[6:7], v[2:3]
	s_cbranch_vccnz .LBB141_6
; %bb.5:
	v_dual_mov_b32 v2, s40 :: v_dual_mov_b32 v3, s41
	flat_load_b64 v[4:5], v[2:3] offset:8
.LBB141_6:
	s_load_b128 s[0:3], s[2:3], 0x0
	v_lshrrev_b32_e32 v14, 4, v1
	v_dual_mov_b32 v0, 0 :: v_dual_and_b32 v35, 15, v1
	s_mov_b32 s34, 0
	s_delay_alu instid0(VALU_DEP_2) | instskip(NEXT) | instid1(VALU_DEP_2)
	v_lshlrev_b32_e32 v1, 8, v14
	v_lshlrev_b32_e32 v2, 3, v35
	;; [unrolled: 1-line block ×3, first 2 shown]
	v_or_b32_e32 v30, -16, v35
	s_delay_alu instid0(VALU_DEP_3) | instskip(NEXT) | instid1(VALU_DEP_3)
	v_or3_b32 v31, v1, v2, 0x2000
	v_lshl_or_b32 v32, v14, 9, v3
	v_mov_b32_e32 v1, v0
	v_mov_b32_e32 v2, v0
	v_mov_b32_e32 v3, v0
	s_delay_alu instid0(VALU_DEP_4)
	v_dual_mov_b32 v15, v31 :: v_dual_mov_b32 v16, v32
	v_mov_b32_e32 v17, v30
	s_waitcnt lgkmcnt(0)
	v_dual_mov_b32 v9, s3 :: v_dual_mov_b32 v8, s2
.LBB141_7:                              ; =>This Inner Loop Header: Depth=1
	s_delay_alu instid0(VALU_DEP_2) | instskip(NEXT) | instid1(VALU_DEP_1)
	v_add_co_u32 v17, s35, v17, 16
	s_xor_b32 s35, s35, -1
	ds_store_b64 v15, v[8:9]
	ds_store_b128 v16, v[0:3]
	v_add_nc_u32_e32 v16, 0x100, v16
	v_add_nc_u32_e32 v15, 0x80, v15
	s_and_b32 s35, exec_lo, s35
	s_delay_alu instid0(SALU_CYCLE_1) | instskip(NEXT) | instid1(SALU_CYCLE_1)
	s_or_b32 s34, s35, s34
	s_and_not1_b32 exec_lo, exec_lo, s34
	s_cbranch_execnz .LBB141_7
; %bb.8:
	s_or_b32 exec_lo, exec_lo, s34
	s_lshl_b32 s15, s15, 4
	v_mov_b32_e32 v1, 0
	v_and_or_b32 v0, 0xffffff0, s15, v14
	s_waitcnt vmcnt(0) lgkmcnt(0)
	buffer_gl0_inv
	v_cmp_gt_i64_e32 vcc_lo, s[0:1], v[0:1]
	s_and_saveexec_b32 s0, vcc_lo
	s_cbranch_execz .LBB141_68
; %bb.9:
	s_cmp_eq_u64 s[38:39], 0
	s_cbranch_scc1 .LBB141_11
; %bb.10:
	s_load_b64 s[0:1], s[36:37], 0x0
	v_lshlrev_b32_e32 v0, 3, v0
	s_waitcnt lgkmcnt(0)
	s_lshl_b64 s[0:1], s[0:1], 3
	s_delay_alu instid0(SALU_CYCLE_1)
	s_add_u32 s0, s38, s0
	s_addc_u32 s1, s39, s1
	global_load_b64 v[0:1], v0, s[0:1]
.LBB141_11:
	s_waitcnt vmcnt(0)
	v_lshlrev_b64 v[8:9], 3, v[0:1]
	v_lshl_or_b32 v33, v14, 8, 0x2000
	v_lshlrev_b32_e32 v34, 9, v14
	s_and_not1_b32 vcc_lo, exec_lo, s33
	s_cbranch_vccnz .LBB141_39
; %bb.12:
	s_delay_alu instid0(VALU_DEP_3) | instskip(SKIP_2) | instid1(VALU_DEP_1)
	v_add_co_u32 v0, vcc_lo, s16, v8
	v_add_co_ci_u32_e32 v1, vcc_lo, s17, v9, vcc_lo
	v_sub_co_u32 v16, s0, v35, s24
	v_sub_co_ci_u32_e64 v17, null, 0, 0, s0
	global_load_b128 v[0:3], v[0:1], off
	s_mov_b32 s1, 0
	s_mov_b32 s0, exec_lo
	s_waitcnt vmcnt(0)
	v_sub_co_u32 v14, vcc_lo, v2, s24
	v_subrev_co_ci_u32_e32 v15, vcc_lo, 0, v3, vcc_lo
	v_add_co_u32 v16, vcc_lo, v0, v16
	v_add_co_ci_u32_e32 v17, vcc_lo, v1, v17, vcc_lo
	s_delay_alu instid0(VALU_DEP_1)
	v_cmpx_lt_i64_e64 v[16:17], v[14:15]
	s_cbranch_execz .LBB141_38
; %bb.13:
	s_mov_b32 s15, s25
	s_branch .LBB141_15
.LBB141_14:                             ;   in Loop: Header=BB141_15 Depth=1
	s_or_b32 exec_lo, exec_lo, s16
	v_add_co_u32 v16, vcc_lo, v16, 16
	v_add_co_ci_u32_e32 v17, vcc_lo, 0, v17, vcc_lo
	s_delay_alu instid0(VALU_DEP_1) | instskip(SKIP_1) | instid1(SALU_CYCLE_1)
	v_cmp_ge_i64_e32 vcc_lo, v[16:17], v[14:15]
	s_or_b32 s1, vcc_lo, s1
	s_and_not1_b32 exec_lo, exec_lo, s1
	s_cbranch_execz .LBB141_38
.LBB141_15:                             ; =>This Loop Header: Depth=1
                                        ;     Child Loop BB141_18 Depth 2
                                        ;       Child Loop BB141_20 Depth 3
                                        ;         Child Loop BB141_26 Depth 4
                                        ;         Child Loop BB141_28 Depth 4
	;; [unrolled: 1-line block ×4, first 2 shown]
	v_lshlrev_b64 v[0:1], 3, v[16:17]
	s_mov_b32 s16, exec_lo
	s_delay_alu instid0(VALU_DEP_1) | instskip(NEXT) | instid1(VALU_DEP_2)
	v_add_co_u32 v0, vcc_lo, s18, v0
	v_add_co_ci_u32_e32 v1, vcc_lo, s19, v1, vcc_lo
	global_load_b64 v[0:1], v[0:1], off
	s_waitcnt vmcnt(0)
	v_sub_co_u32 v0, vcc_lo, v0, s24
	v_subrev_co_ci_u32_e32 v1, vcc_lo, 0, v1, vcc_lo
	s_delay_alu instid0(VALU_DEP_1) | instskip(NEXT) | instid1(VALU_DEP_1)
	v_lshlrev_b64 v[0:1], 3, v[0:1]
	v_add_co_u32 v0, vcc_lo, s22, v0
	s_delay_alu instid0(VALU_DEP_2)
	v_add_co_ci_u32_e32 v1, vcc_lo, s23, v1, vcc_lo
	global_load_b128 v[0:3], v[0:1], off
	s_waitcnt vmcnt(0)
	v_cmpx_lt_i64_e64 v[0:1], v[2:3]
	s_cbranch_execz .LBB141_14
; %bb.16:                               ;   in Loop: Header=BB141_15 Depth=1
	v_lshlrev_b64 v[18:19], 4, v[16:17]
	s_mov_b32 s17, 0
	s_delay_alu instid0(VALU_DEP_1) | instskip(NEXT) | instid1(VALU_DEP_2)
	v_add_co_u32 v18, vcc_lo, s20, v18
	v_add_co_ci_u32_e32 v19, vcc_lo, s21, v19, vcc_lo
	v_sub_co_u32 v2, vcc_lo, v2, s15
	v_subrev_co_ci_u32_e32 v3, vcc_lo, 0, v3, vcc_lo
	global_load_b128 v[20:23], v[18:19], off
	v_sub_co_u32 v0, vcc_lo, v0, s15
	v_subrev_co_ci_u32_e32 v1, vcc_lo, 0, v1, vcc_lo
	s_waitcnt vmcnt(0)
	v_mul_f64 v[18:19], v[22:23], -v[12:13]
	v_mul_f64 v[22:23], v[10:11], v[22:23]
	s_delay_alu instid0(VALU_DEP_2) | instskip(NEXT) | instid1(VALU_DEP_2)
	v_fma_f64 v[18:19], v[10:11], v[20:21], v[18:19]
	v_fma_f64 v[20:21], v[12:13], v[20:21], v[22:23]
	s_branch .LBB141_18
.LBB141_17:                             ;   in Loop: Header=BB141_18 Depth=2
	s_or_b32 exec_lo, exec_lo, s25
	v_add_co_u32 v0, vcc_lo, v0, 1
	v_add_co_ci_u32_e32 v1, vcc_lo, 0, v1, vcc_lo
	s_delay_alu instid0(VALU_DEP_1) | instskip(SKIP_1) | instid1(SALU_CYCLE_1)
	v_cmp_ge_i64_e32 vcc_lo, v[0:1], v[2:3]
	s_or_b32 s17, vcc_lo, s17
	s_and_not1_b32 exec_lo, exec_lo, s17
	s_cbranch_execz .LBB141_14
.LBB141_18:                             ;   Parent Loop BB141_15 Depth=1
                                        ; =>  This Loop Header: Depth=2
                                        ;       Child Loop BB141_20 Depth 3
                                        ;         Child Loop BB141_26 Depth 4
                                        ;         Child Loop BB141_28 Depth 4
	;; [unrolled: 1-line block ×4, first 2 shown]
	v_lshlrev_b64 v[22:23], 4, v[0:1]
	s_mov_b32 s25, 0
	s_delay_alu instid0(VALU_DEP_1) | instskip(NEXT) | instid1(VALU_DEP_2)
	v_add_co_u32 v22, vcc_lo, s30, v22
	v_add_co_ci_u32_e32 v23, vcc_lo, s31, v23, vcc_lo
	global_load_b128 v[24:27], v[22:23], off
	v_lshlrev_b64 v[22:23], 3, v[0:1]
	s_delay_alu instid0(VALU_DEP_1) | instskip(NEXT) | instid1(VALU_DEP_2)
	v_add_co_u32 v22, vcc_lo, s28, v22
	v_add_co_ci_u32_e32 v23, vcc_lo, s29, v23, vcc_lo
	global_load_b64 v[28:29], v[22:23], off
	s_waitcnt vmcnt(1)
	v_mul_f64 v[22:23], v[26:27], -v[20:21]
	v_mul_f64 v[26:27], v[18:19], v[26:27]
	s_delay_alu instid0(VALU_DEP_2) | instskip(NEXT) | instid1(VALU_DEP_2)
	v_fma_f64 v[22:23], v[18:19], v[24:25], v[22:23]
	v_fma_f64 v[24:25], v[20:21], v[24:25], v[26:27]
	s_waitcnt vmcnt(0)
	v_sub_co_u32 v26, vcc_lo, v28, s15
	v_subrev_co_ci_u32_e32 v27, vcc_lo, 0, v29, vcc_lo
	s_delay_alu instid0(VALU_DEP_2) | instskip(NEXT) | instid1(VALU_DEP_1)
	v_lshl_add_u32 v28, v26, 3, v26
	v_and_b32_e32 v36, 31, v28
	s_branch .LBB141_20
.LBB141_19:                             ;   in Loop: Header=BB141_20 Depth=3
	s_or_b32 exec_lo, exec_lo, s33
	s_xor_b32 s33, s34, -1
	s_delay_alu instid0(SALU_CYCLE_1) | instskip(NEXT) | instid1(SALU_CYCLE_1)
	s_and_b32 s33, exec_lo, s33
	s_or_b32 s25, s33, s25
	s_delay_alu instid0(SALU_CYCLE_1)
	s_and_not1_b32 exec_lo, exec_lo, s25
	s_cbranch_execz .LBB141_17
.LBB141_20:                             ;   Parent Loop BB141_15 Depth=1
                                        ;     Parent Loop BB141_18 Depth=2
                                        ; =>    This Loop Header: Depth=3
                                        ;         Child Loop BB141_26 Depth 4
                                        ;         Child Loop BB141_28 Depth 4
	;; [unrolled: 1-line block ×4, first 2 shown]
	s_delay_alu instid0(VALU_DEP_1)
	v_lshl_add_u32 v37, v36, 3, v33
	s_mov_b32 s33, exec_lo
                                        ; implicit-def: $sgpr34
	ds_load_b64 v[28:29], v37
	s_waitcnt lgkmcnt(0)
	v_cmpx_ne_u64_e64 v[28:29], v[26:27]
	s_xor_b32 s33, exec_lo, s33
	s_cbranch_execz .LBB141_32
; %bb.21:                               ;   in Loop: Header=BB141_20 Depth=3
	s_mov_b32 s35, exec_lo
                                        ; implicit-def: $sgpr34
	v_cmpx_ne_u64_e64 s[2:3], v[28:29]
	s_xor_b32 s35, exec_lo, s35
; %bb.22:                               ;   in Loop: Header=BB141_20 Depth=3
	v_add_nc_u32_e32 v28, 1, v36
	s_mov_b32 s34, -1
                                        ; implicit-def: $vgpr37
	s_delay_alu instid0(VALU_DEP_1)
	v_and_b32_e32 v36, 31, v28
; %bb.23:                               ;   in Loop: Header=BB141_20 Depth=3
	s_and_not1_saveexec_b32 s35, s35
	s_cbranch_execz .LBB141_31
; %bb.24:                               ;   in Loop: Header=BB141_20 Depth=3
	v_dual_mov_b32 v29, s3 :: v_dual_mov_b32 v28, s2
	s_mov_b32 s37, -1
	s_mov_b32 s36, exec_lo
	ds_cmpstore_rtn_b64 v[28:29], v37, v[26:27], v[28:29]
	s_waitcnt lgkmcnt(0)
	v_cmpx_eq_u64_e64 s[2:3], v[28:29]
	s_cbranch_execz .LBB141_30
; %bb.25:                               ;   in Loop: Header=BB141_20 Depth=3
	v_lshl_add_u32 v37, v36, 4, v34
	s_mov_b32 s37, 0
	ds_load_b64 v[28:29], v37
.LBB141_26:                             ;   Parent Loop BB141_15 Depth=1
                                        ;     Parent Loop BB141_18 Depth=2
                                        ;       Parent Loop BB141_20 Depth=3
                                        ; =>      This Inner Loop Header: Depth=4
	s_waitcnt lgkmcnt(0)
	v_add_f64 v[38:39], v[28:29], v[22:23]
	ds_cmpstore_rtn_b64 v[38:39], v37, v[38:39], v[28:29]
	s_waitcnt lgkmcnt(0)
	v_cmp_eq_u64_e32 vcc_lo, v[38:39], v[28:29]
	v_dual_mov_b32 v28, v38 :: v_dual_mov_b32 v29, v39
	s_or_b32 s37, vcc_lo, s37
	s_delay_alu instid0(SALU_CYCLE_1)
	s_and_not1_b32 exec_lo, exec_lo, s37
	s_cbranch_execnz .LBB141_26
; %bb.27:                               ;   in Loop: Header=BB141_20 Depth=3
	s_or_b32 exec_lo, exec_lo, s37
	ds_load_b64 v[28:29], v37 offset:8
	s_mov_b32 s37, 0
.LBB141_28:                             ;   Parent Loop BB141_15 Depth=1
                                        ;     Parent Loop BB141_18 Depth=2
                                        ;       Parent Loop BB141_20 Depth=3
                                        ; =>      This Inner Loop Header: Depth=4
	s_waitcnt lgkmcnt(0)
	v_add_f64 v[38:39], v[28:29], v[24:25]
	ds_cmpstore_rtn_b64 v[38:39], v37, v[38:39], v[28:29] offset:8
	s_waitcnt lgkmcnt(0)
	v_cmp_eq_u64_e32 vcc_lo, v[38:39], v[28:29]
	v_dual_mov_b32 v28, v38 :: v_dual_mov_b32 v29, v39
	s_or_b32 s37, vcc_lo, s37
	s_delay_alu instid0(SALU_CYCLE_1)
	s_and_not1_b32 exec_lo, exec_lo, s37
	s_cbranch_execnz .LBB141_28
; %bb.29:                               ;   in Loop: Header=BB141_20 Depth=3
	s_or_b32 exec_lo, exec_lo, s37
	s_delay_alu instid0(SALU_CYCLE_1)
	s_xor_b32 s37, exec_lo, -1
.LBB141_30:                             ;   in Loop: Header=BB141_20 Depth=3
	s_or_b32 exec_lo, exec_lo, s36
	s_delay_alu instid0(SALU_CYCLE_1) | instskip(SKIP_1) | instid1(SALU_CYCLE_1)
	s_and_not1_b32 s34, s34, exec_lo
	s_and_b32 s36, s37, exec_lo
	s_or_b32 s34, s34, s36
.LBB141_31:                             ;   in Loop: Header=BB141_20 Depth=3
	s_or_b32 exec_lo, exec_lo, s35
	s_delay_alu instid0(SALU_CYCLE_1)
	s_and_b32 s34, s34, exec_lo
.LBB141_32:                             ;   in Loop: Header=BB141_20 Depth=3
	s_and_not1_saveexec_b32 s33, s33
	s_cbranch_execz .LBB141_19
; %bb.33:                               ;   in Loop: Header=BB141_20 Depth=3
	v_lshl_add_u32 v37, v36, 4, v34
	s_mov_b32 s35, 0
	ds_load_b64 v[28:29], v37
.LBB141_34:                             ;   Parent Loop BB141_15 Depth=1
                                        ;     Parent Loop BB141_18 Depth=2
                                        ;       Parent Loop BB141_20 Depth=3
                                        ; =>      This Inner Loop Header: Depth=4
	s_waitcnt lgkmcnt(0)
	v_add_f64 v[38:39], v[28:29], v[22:23]
	ds_cmpstore_rtn_b64 v[38:39], v37, v[38:39], v[28:29]
	s_waitcnt lgkmcnt(0)
	v_cmp_eq_u64_e32 vcc_lo, v[38:39], v[28:29]
	v_dual_mov_b32 v28, v38 :: v_dual_mov_b32 v29, v39
	s_or_b32 s35, vcc_lo, s35
	s_delay_alu instid0(SALU_CYCLE_1)
	s_and_not1_b32 exec_lo, exec_lo, s35
	s_cbranch_execnz .LBB141_34
; %bb.35:                               ;   in Loop: Header=BB141_20 Depth=3
	s_or_b32 exec_lo, exec_lo, s35
	ds_load_b64 v[28:29], v37 offset:8
	s_mov_b32 s35, 0
.LBB141_36:                             ;   Parent Loop BB141_15 Depth=1
                                        ;     Parent Loop BB141_18 Depth=2
                                        ;       Parent Loop BB141_20 Depth=3
                                        ; =>      This Inner Loop Header: Depth=4
	s_waitcnt lgkmcnt(0)
	v_add_f64 v[38:39], v[28:29], v[24:25]
	ds_cmpstore_rtn_b64 v[38:39], v37, v[38:39], v[28:29] offset:8
	s_waitcnt lgkmcnt(0)
	v_cmp_eq_u64_e32 vcc_lo, v[38:39], v[28:29]
	v_dual_mov_b32 v28, v38 :: v_dual_mov_b32 v29, v39
	s_or_b32 s35, vcc_lo, s35
	s_delay_alu instid0(SALU_CYCLE_1)
	s_and_not1_b32 exec_lo, exec_lo, s35
	s_cbranch_execnz .LBB141_36
; %bb.37:                               ;   in Loop: Header=BB141_20 Depth=3
	s_or_b32 exec_lo, exec_lo, s35
	s_delay_alu instid0(SALU_CYCLE_1)
	s_and_not1_b32 s34, s34, exec_lo
	s_branch .LBB141_19
.LBB141_38:
	s_or_b32 exec_lo, exec_lo, s0
.LBB141_39:
	s_delay_alu instid0(SALU_CYCLE_1)
	s_and_not1_b32 vcc_lo, exec_lo, s14
	s_cbranch_vccnz .LBB141_64
; %bb.40:
	v_add_co_u32 v0, vcc_lo, s4, v8
	v_add_co_ci_u32_e32 v1, vcc_lo, s5, v9, vcc_lo
	v_sub_co_u32 v2, s0, v35, s27
	s_delay_alu instid0(VALU_DEP_1)
	v_sub_co_ci_u32_e64 v3, null, 0, 0, s0
	global_load_b128 v[10:13], v[0:1], off
	s_mov_b32 s0, 0
	s_mov_b32 s1, exec_lo
	s_waitcnt vmcnt(0)
	v_sub_co_u32 v0, vcc_lo, v12, s27
	v_subrev_co_ci_u32_e32 v1, vcc_lo, 0, v13, vcc_lo
	v_add_co_u32 v2, vcc_lo, v10, v2
	v_add_co_ci_u32_e32 v3, vcc_lo, v11, v3, vcc_lo
	s_delay_alu instid0(VALU_DEP_1)
	v_cmpx_lt_i64_e64 v[2:3], v[0:1]
	s_cbranch_execz .LBB141_63
; %bb.41:
	s_mov_b32 s4, s27
	s_branch .LBB141_43
.LBB141_42:                             ;   in Loop: Header=BB141_43 Depth=1
	s_or_b32 exec_lo, exec_lo, s5
	v_add_co_u32 v2, vcc_lo, v2, 16
	v_add_co_ci_u32_e32 v3, vcc_lo, 0, v3, vcc_lo
	s_delay_alu instid0(VALU_DEP_1) | instskip(SKIP_1) | instid1(SALU_CYCLE_1)
	v_cmp_ge_i64_e32 vcc_lo, v[2:3], v[0:1]
	s_or_b32 s0, vcc_lo, s0
	s_and_not1_b32 exec_lo, exec_lo, s0
	s_cbranch_execz .LBB141_63
.LBB141_43:                             ; =>This Loop Header: Depth=1
                                        ;     Child Loop BB141_45 Depth 2
                                        ;       Child Loop BB141_51 Depth 3
                                        ;       Child Loop BB141_53 Depth 3
	;; [unrolled: 1-line block ×4, first 2 shown]
	v_lshlrev_b64 v[10:11], 4, v[2:3]
	s_mov_b32 s5, 0
	s_delay_alu instid0(VALU_DEP_1) | instskip(NEXT) | instid1(VALU_DEP_2)
	v_add_co_u32 v10, vcc_lo, s8, v10
	v_add_co_ci_u32_e32 v11, vcc_lo, s9, v11, vcc_lo
	global_load_b128 v[12:15], v[10:11], off
	v_lshlrev_b64 v[10:11], 3, v[2:3]
	s_delay_alu instid0(VALU_DEP_1) | instskip(NEXT) | instid1(VALU_DEP_2)
	v_add_co_u32 v10, vcc_lo, s6, v10
	v_add_co_ci_u32_e32 v11, vcc_lo, s7, v11, vcc_lo
	global_load_b64 v[16:17], v[10:11], off
	s_waitcnt vmcnt(1)
	v_mul_f64 v[10:11], v[14:15], -v[4:5]
	v_mul_f64 v[14:15], v[6:7], v[14:15]
	s_delay_alu instid0(VALU_DEP_2) | instskip(NEXT) | instid1(VALU_DEP_2)
	v_fma_f64 v[10:11], v[6:7], v[12:13], v[10:11]
	v_fma_f64 v[12:13], v[4:5], v[12:13], v[14:15]
	s_waitcnt vmcnt(0)
	v_sub_co_u32 v14, vcc_lo, v16, s4
	v_subrev_co_ci_u32_e32 v15, vcc_lo, 0, v17, vcc_lo
	s_delay_alu instid0(VALU_DEP_2) | instskip(NEXT) | instid1(VALU_DEP_1)
	v_lshl_add_u32 v16, v14, 3, v14
	v_and_b32_e32 v18, 31, v16
	s_branch .LBB141_45
.LBB141_44:                             ;   in Loop: Header=BB141_45 Depth=2
	s_or_b32 exec_lo, exec_lo, s14
	s_xor_b32 s14, s15, -1
	s_delay_alu instid0(SALU_CYCLE_1) | instskip(NEXT) | instid1(SALU_CYCLE_1)
	s_and_b32 s14, exec_lo, s14
	s_or_b32 s5, s14, s5
	s_delay_alu instid0(SALU_CYCLE_1)
	s_and_not1_b32 exec_lo, exec_lo, s5
	s_cbranch_execz .LBB141_42
.LBB141_45:                             ;   Parent Loop BB141_43 Depth=1
                                        ; =>  This Loop Header: Depth=2
                                        ;       Child Loop BB141_51 Depth 3
                                        ;       Child Loop BB141_53 Depth 3
	;; [unrolled: 1-line block ×4, first 2 shown]
	s_delay_alu instid0(VALU_DEP_1)
	v_lshl_add_u32 v19, v18, 3, v33
	s_mov_b32 s14, exec_lo
                                        ; implicit-def: $sgpr15
	ds_load_b64 v[16:17], v19
	s_waitcnt lgkmcnt(0)
	v_cmpx_ne_u64_e64 v[16:17], v[14:15]
	s_xor_b32 s14, exec_lo, s14
	s_cbranch_execz .LBB141_57
; %bb.46:                               ;   in Loop: Header=BB141_45 Depth=2
	s_mov_b32 s16, exec_lo
                                        ; implicit-def: $sgpr15
	v_cmpx_ne_u64_e64 s[2:3], v[16:17]
	s_xor_b32 s16, exec_lo, s16
; %bb.47:                               ;   in Loop: Header=BB141_45 Depth=2
	v_add_nc_u32_e32 v16, 1, v18
	s_mov_b32 s15, -1
                                        ; implicit-def: $vgpr19
	s_delay_alu instid0(VALU_DEP_1)
	v_and_b32_e32 v18, 31, v16
; %bb.48:                               ;   in Loop: Header=BB141_45 Depth=2
	s_and_not1_saveexec_b32 s16, s16
	s_cbranch_execz .LBB141_56
; %bb.49:                               ;   in Loop: Header=BB141_45 Depth=2
	v_dual_mov_b32 v17, s3 :: v_dual_mov_b32 v16, s2
	s_mov_b32 s18, -1
	s_mov_b32 s17, exec_lo
	ds_cmpstore_rtn_b64 v[16:17], v19, v[14:15], v[16:17]
	s_waitcnt lgkmcnt(0)
	v_cmpx_eq_u64_e64 s[2:3], v[16:17]
	s_cbranch_execz .LBB141_55
; %bb.50:                               ;   in Loop: Header=BB141_45 Depth=2
	v_lshl_add_u32 v19, v18, 4, v34
	s_mov_b32 s18, 0
	ds_load_b64 v[16:17], v19
.LBB141_51:                             ;   Parent Loop BB141_43 Depth=1
                                        ;     Parent Loop BB141_45 Depth=2
                                        ; =>    This Inner Loop Header: Depth=3
	s_waitcnt lgkmcnt(0)
	v_add_f64 v[20:21], v[16:17], v[10:11]
	ds_cmpstore_rtn_b64 v[20:21], v19, v[20:21], v[16:17]
	s_waitcnt lgkmcnt(0)
	v_cmp_eq_u64_e32 vcc_lo, v[20:21], v[16:17]
	v_dual_mov_b32 v16, v20 :: v_dual_mov_b32 v17, v21
	s_or_b32 s18, vcc_lo, s18
	s_delay_alu instid0(SALU_CYCLE_1)
	s_and_not1_b32 exec_lo, exec_lo, s18
	s_cbranch_execnz .LBB141_51
; %bb.52:                               ;   in Loop: Header=BB141_45 Depth=2
	s_or_b32 exec_lo, exec_lo, s18
	ds_load_b64 v[16:17], v19 offset:8
	s_mov_b32 s18, 0
.LBB141_53:                             ;   Parent Loop BB141_43 Depth=1
                                        ;     Parent Loop BB141_45 Depth=2
                                        ; =>    This Inner Loop Header: Depth=3
	s_waitcnt lgkmcnt(0)
	v_add_f64 v[20:21], v[16:17], v[12:13]
	ds_cmpstore_rtn_b64 v[20:21], v19, v[20:21], v[16:17] offset:8
	s_waitcnt lgkmcnt(0)
	v_cmp_eq_u64_e32 vcc_lo, v[20:21], v[16:17]
	v_dual_mov_b32 v16, v20 :: v_dual_mov_b32 v17, v21
	s_or_b32 s18, vcc_lo, s18
	s_delay_alu instid0(SALU_CYCLE_1)
	s_and_not1_b32 exec_lo, exec_lo, s18
	s_cbranch_execnz .LBB141_53
; %bb.54:                               ;   in Loop: Header=BB141_45 Depth=2
	s_or_b32 exec_lo, exec_lo, s18
	s_delay_alu instid0(SALU_CYCLE_1)
	s_xor_b32 s18, exec_lo, -1
.LBB141_55:                             ;   in Loop: Header=BB141_45 Depth=2
	s_or_b32 exec_lo, exec_lo, s17
	s_delay_alu instid0(SALU_CYCLE_1) | instskip(SKIP_1) | instid1(SALU_CYCLE_1)
	s_and_not1_b32 s15, s15, exec_lo
	s_and_b32 s17, s18, exec_lo
	s_or_b32 s15, s15, s17
.LBB141_56:                             ;   in Loop: Header=BB141_45 Depth=2
	s_or_b32 exec_lo, exec_lo, s16
	s_delay_alu instid0(SALU_CYCLE_1)
	s_and_b32 s15, s15, exec_lo
.LBB141_57:                             ;   in Loop: Header=BB141_45 Depth=2
	s_and_not1_saveexec_b32 s14, s14
	s_cbranch_execz .LBB141_44
; %bb.58:                               ;   in Loop: Header=BB141_45 Depth=2
	v_lshl_add_u32 v19, v18, 4, v34
	s_mov_b32 s16, 0
	ds_load_b64 v[16:17], v19
.LBB141_59:                             ;   Parent Loop BB141_43 Depth=1
                                        ;     Parent Loop BB141_45 Depth=2
                                        ; =>    This Inner Loop Header: Depth=3
	s_waitcnt lgkmcnt(0)
	v_add_f64 v[20:21], v[16:17], v[10:11]
	ds_cmpstore_rtn_b64 v[20:21], v19, v[20:21], v[16:17]
	s_waitcnt lgkmcnt(0)
	v_cmp_eq_u64_e32 vcc_lo, v[20:21], v[16:17]
	v_dual_mov_b32 v16, v20 :: v_dual_mov_b32 v17, v21
	s_or_b32 s16, vcc_lo, s16
	s_delay_alu instid0(SALU_CYCLE_1)
	s_and_not1_b32 exec_lo, exec_lo, s16
	s_cbranch_execnz .LBB141_59
; %bb.60:                               ;   in Loop: Header=BB141_45 Depth=2
	s_or_b32 exec_lo, exec_lo, s16
	ds_load_b64 v[16:17], v19 offset:8
	s_mov_b32 s16, 0
.LBB141_61:                             ;   Parent Loop BB141_43 Depth=1
                                        ;     Parent Loop BB141_45 Depth=2
                                        ; =>    This Inner Loop Header: Depth=3
	s_waitcnt lgkmcnt(0)
	v_add_f64 v[20:21], v[16:17], v[12:13]
	ds_cmpstore_rtn_b64 v[20:21], v19, v[20:21], v[16:17] offset:8
	s_waitcnt lgkmcnt(0)
	v_cmp_eq_u64_e32 vcc_lo, v[20:21], v[16:17]
	v_dual_mov_b32 v16, v20 :: v_dual_mov_b32 v17, v21
	s_or_b32 s16, vcc_lo, s16
	s_delay_alu instid0(SALU_CYCLE_1)
	s_and_not1_b32 exec_lo, exec_lo, s16
	s_cbranch_execnz .LBB141_61
; %bb.62:                               ;   in Loop: Header=BB141_45 Depth=2
	s_or_b32 exec_lo, exec_lo, s16
	s_delay_alu instid0(SALU_CYCLE_1)
	s_and_not1_b32 s15, s15, exec_lo
	s_branch .LBB141_44
.LBB141_63:
	s_or_b32 exec_lo, exec_lo, s1
.LBB141_64:
	v_add_co_u32 v0, vcc_lo, s10, v8
	v_add_co_ci_u32_e32 v1, vcc_lo, s11, v9, vcc_lo
	buffer_gl0_inv
	s_mov_b32 s0, 0
	global_load_b64 v[0:1], v[0:1], off
	s_waitcnt vmcnt(0)
	v_sub_co_u32 v0, vcc_lo, v0, s26
	v_subrev_co_ci_u32_e32 v1, vcc_lo, 0, v1, vcc_lo
	s_delay_alu instid0(VALU_DEP_1) | instskip(NEXT) | instid1(VALU_DEP_1)
	v_lshlrev_b64 v[0:1], 4, v[0:1]
	v_add_co_u32 v2, vcc_lo, s12, v0
	s_delay_alu instid0(VALU_DEP_2)
	v_add_co_ci_u32_e32 v3, vcc_lo, s13, v1, vcc_lo
	s_branch .LBB141_66
.LBB141_65:                             ;   in Loop: Header=BB141_66 Depth=1
	s_or_b32 exec_lo, exec_lo, s1
	v_add_co_u32 v30, s1, v30, 16
	s_delay_alu instid0(VALU_DEP_1) | instskip(SKIP_3) | instid1(SALU_CYCLE_1)
	s_xor_b32 s1, s1, -1
	v_add_nc_u32_e32 v32, 0x100, v32
	v_add_nc_u32_e32 v31, 0x80, v31
	s_and_b32 s1, exec_lo, s1
	s_or_b32 s0, s1, s0
	s_delay_alu instid0(SALU_CYCLE_1)
	s_and_not1_b32 exec_lo, exec_lo, s0
	s_cbranch_execz .LBB141_68
.LBB141_66:                             ; =>This Inner Loop Header: Depth=1
	ds_load_b64 v[0:1], v31
	s_mov_b32 s1, exec_lo
	s_waitcnt lgkmcnt(0)
	v_cmpx_gt_i64_e64 s[2:3], v[0:1]
	s_cbranch_execz .LBB141_65
; %bb.67:                               ;   in Loop: Header=BB141_66 Depth=1
	ds_load_b128 v[4:7], v33
	ds_load_b128 v[8:11], v33 offset:16
	ds_load_b128 v[12:15], v33 offset:32
	;; [unrolled: 1-line block ×15, first 2 shown]
	s_waitcnt lgkmcnt(15)
	v_cmp_gt_i64_e32 vcc_lo, v[0:1], v[4:5]
	v_cndmask_b32_e64 v4, 0, 1, vcc_lo
	v_cmp_gt_i64_e32 vcc_lo, v[0:1], v[6:7]
	s_delay_alu instid0(VALU_DEP_2) | instskip(SKIP_3) | instid1(VALU_DEP_2)
	v_lshlrev_b32_e32 v4, 4, v4
	v_cndmask_b32_e64 v5, 0, 1, vcc_lo
	s_waitcnt lgkmcnt(14)
	v_cmp_gt_i64_e32 vcc_lo, v[0:1], v[8:9]
	v_lshlrev_b32_e32 v5, 4, v5
	v_cndmask_b32_e64 v6, 0, 1, vcc_lo
	v_cmp_gt_i64_e32 vcc_lo, v[0:1], v[10:11]
	s_delay_alu instid0(VALU_DEP_2) | instskip(SKIP_3) | instid1(VALU_DEP_3)
	v_lshlrev_b32_e32 v6, 4, v6
	v_cndmask_b32_e64 v7, 0, 1, vcc_lo
	v_add_co_u32 v4, vcc_lo, v2, v4
	v_add_co_ci_u32_e32 v8, vcc_lo, 0, v3, vcc_lo
	v_lshlrev_b32_e32 v7, 4, v7
	s_delay_alu instid0(VALU_DEP_3) | instskip(NEXT) | instid1(VALU_DEP_3)
	v_add_co_u32 v4, vcc_lo, v4, v5
	v_add_co_ci_u32_e32 v5, vcc_lo, 0, v8, vcc_lo
	s_delay_alu instid0(VALU_DEP_2) | instskip(NEXT) | instid1(VALU_DEP_2)
	v_add_co_u32 v4, vcc_lo, v4, v6
	v_add_co_ci_u32_e32 v5, vcc_lo, 0, v5, vcc_lo
	s_waitcnt lgkmcnt(13)
	v_cmp_gt_i64_e32 vcc_lo, v[0:1], v[12:13]
	v_cndmask_b32_e64 v6, 0, 1, vcc_lo
	v_add_co_u32 v4, vcc_lo, v4, v7
	v_add_co_ci_u32_e32 v5, vcc_lo, 0, v5, vcc_lo
	v_cmp_gt_i64_e32 vcc_lo, v[0:1], v[14:15]
	s_delay_alu instid0(VALU_DEP_4)
	v_lshlrev_b32_e32 v6, 4, v6
	v_cndmask_b32_e64 v7, 0, 1, vcc_lo
	s_waitcnt lgkmcnt(12)
	v_cmp_gt_i64_e32 vcc_lo, v[0:1], v[16:17]
	v_cndmask_b32_e64 v8, 0, 1, vcc_lo
	v_add_co_u32 v4, vcc_lo, v4, v6
	v_add_co_ci_u32_e32 v5, vcc_lo, 0, v5, vcc_lo
	v_cmp_gt_i64_e32 vcc_lo, v[0:1], v[18:19]
	v_lshlrev_b32_e32 v6, 4, v7
	v_lshlrev_b32_e32 v7, 4, v8
	v_cndmask_b32_e64 v8, 0, 1, vcc_lo
	s_delay_alu instid0(VALU_DEP_3) | instskip(SKIP_1) | instid1(VALU_DEP_3)
	v_add_co_u32 v4, vcc_lo, v4, v6
	v_add_co_ci_u32_e32 v5, vcc_lo, 0, v5, vcc_lo
	v_lshlrev_b32_e32 v6, 4, v8
	s_delay_alu instid0(VALU_DEP_3) | instskip(NEXT) | instid1(VALU_DEP_3)
	v_add_co_u32 v4, vcc_lo, v4, v7
	v_add_co_ci_u32_e32 v5, vcc_lo, 0, v5, vcc_lo
	s_waitcnt lgkmcnt(11)
	v_cmp_gt_i64_e32 vcc_lo, v[0:1], v[20:21]
	v_cndmask_b32_e64 v7, 0, 1, vcc_lo
	v_add_co_u32 v4, vcc_lo, v4, v6
	v_add_co_ci_u32_e32 v5, vcc_lo, 0, v5, vcc_lo
	v_cmp_gt_i64_e32 vcc_lo, v[0:1], v[22:23]
	s_delay_alu instid0(VALU_DEP_4)
	v_lshlrev_b32_e32 v6, 4, v7
	v_cndmask_b32_e64 v7, 0, 1, vcc_lo
	s_waitcnt lgkmcnt(10)
	v_cmp_gt_i64_e32 vcc_lo, v[0:1], v[24:25]
	v_cndmask_b32_e64 v8, 0, 1, vcc_lo
	v_add_co_u32 v4, vcc_lo, v4, v6
	v_add_co_ci_u32_e32 v5, vcc_lo, 0, v5, vcc_lo
	v_cmp_gt_i64_e32 vcc_lo, v[0:1], v[26:27]
	v_lshlrev_b32_e32 v6, 4, v7
	v_lshlrev_b32_e32 v7, 4, v8
	v_cndmask_b32_e64 v8, 0, 1, vcc_lo
	s_delay_alu instid0(VALU_DEP_3) | instskip(SKIP_1) | instid1(VALU_DEP_3)
	v_add_co_u32 v4, vcc_lo, v4, v6
	v_add_co_ci_u32_e32 v5, vcc_lo, 0, v5, vcc_lo
	v_lshlrev_b32_e32 v6, 4, v8
	s_delay_alu instid0(VALU_DEP_3) | instskip(NEXT) | instid1(VALU_DEP_3)
	;; [unrolled: 25-line block ×6, first 2 shown]
	v_add_co_u32 v4, vcc_lo, v4, v7
	v_add_co_ci_u32_e32 v5, vcc_lo, 0, v5, vcc_lo
	s_waitcnt lgkmcnt(1)
	v_cmp_gt_i64_e32 vcc_lo, v[0:1], v[66:67]
	v_cndmask_b32_e64 v7, 0, 1, vcc_lo
	v_add_co_u32 v4, vcc_lo, v4, v6
	v_add_co_ci_u32_e32 v5, vcc_lo, 0, v5, vcc_lo
	v_cmp_gt_i64_e32 vcc_lo, v[0:1], v[68:69]
	s_delay_alu instid0(VALU_DEP_4) | instskip(SKIP_3) | instid1(VALU_DEP_2)
	v_lshlrev_b32_e32 v6, 4, v7
	v_cndmask_b32_e64 v7, 0, 1, vcc_lo
	s_waitcnt lgkmcnt(0)
	v_cmp_gt_i64_e32 vcc_lo, v[0:1], v[70:71]
	v_lshlrev_b32_e32 v11, 4, v7
	v_cndmask_b32_e64 v8, 0, 1, vcc_lo
	v_add_co_u32 v9, vcc_lo, v4, v6
	v_add_co_ci_u32_e32 v10, vcc_lo, 0, v5, vcc_lo
	v_cmp_gt_i64_e32 vcc_lo, v[0:1], v[72:73]
	ds_load_2addr_b64 v[4:7], v32 offset1:1
	v_lshlrev_b32_e32 v8, 4, v8
	v_cndmask_b32_e64 v0, 0, 1, vcc_lo
	v_add_co_u32 v1, vcc_lo, v9, v11
	v_add_co_ci_u32_e32 v9, vcc_lo, 0, v10, vcc_lo
	s_delay_alu instid0(VALU_DEP_3) | instskip(NEXT) | instid1(VALU_DEP_3)
	v_lshlrev_b32_e32 v0, 4, v0
	v_add_co_u32 v1, vcc_lo, v1, v8
	s_delay_alu instid0(VALU_DEP_3) | instskip(NEXT) | instid1(VALU_DEP_2)
	v_add_co_ci_u32_e32 v8, vcc_lo, 0, v9, vcc_lo
	v_add_co_u32 v0, vcc_lo, v1, v0
	s_delay_alu instid0(VALU_DEP_2)
	v_add_co_ci_u32_e32 v1, vcc_lo, 0, v8, vcc_lo
	s_waitcnt lgkmcnt(0)
	global_store_b128 v[0:1], v[4:7], off
	s_branch .LBB141_65
.LBB141_68:
	s_nop 0
	s_sendmsg sendmsg(MSG_DEALLOC_VGPRS)
	s_endpgm
	.section	.rodata,"a",@progbits
	.p2align	6, 0x0
	.amdhsa_kernel _ZN9rocsparseL38csrgemm_numeric_fill_wf_per_row_kernelILj256ELj16ELj32ELj137Ell21rocsparse_complex_numIdEEEvT4_S3_PKS3_S5_NS_24const_host_device_scalarIT5_EEPKT3_S5_PKS7_SB_S5_SD_S8_SB_S5_SD_SB_S5_PS7_21rocsparse_index_base_SF_SF_SF_bbb
		.amdhsa_group_segment_fixed_size 16384
		.amdhsa_private_segment_fixed_size 0
		.amdhsa_kernarg_size 180
		.amdhsa_user_sgpr_count 15
		.amdhsa_user_sgpr_dispatch_ptr 1
		.amdhsa_user_sgpr_queue_ptr 0
		.amdhsa_user_sgpr_kernarg_segment_ptr 1
		.amdhsa_user_sgpr_dispatch_id 0
		.amdhsa_user_sgpr_private_segment_size 0
		.amdhsa_wavefront_size32 1
		.amdhsa_uses_dynamic_stack 0
		.amdhsa_enable_private_segment 0
		.amdhsa_system_sgpr_workgroup_id_x 1
		.amdhsa_system_sgpr_workgroup_id_y 0
		.amdhsa_system_sgpr_workgroup_id_z 0
		.amdhsa_system_sgpr_workgroup_info 0
		.amdhsa_system_vgpr_workitem_id 2
		.amdhsa_next_free_vgpr 74
		.amdhsa_next_free_sgpr 44
		.amdhsa_reserve_vcc 1
		.amdhsa_float_round_mode_32 0
		.amdhsa_float_round_mode_16_64 0
		.amdhsa_float_denorm_mode_32 3
		.amdhsa_float_denorm_mode_16_64 3
		.amdhsa_dx10_clamp 1
		.amdhsa_ieee_mode 1
		.amdhsa_fp16_overflow 0
		.amdhsa_workgroup_processor_mode 1
		.amdhsa_memory_ordered 1
		.amdhsa_forward_progress 0
		.amdhsa_shared_vgpr_count 0
		.amdhsa_exception_fp_ieee_invalid_op 0
		.amdhsa_exception_fp_denorm_src 0
		.amdhsa_exception_fp_ieee_div_zero 0
		.amdhsa_exception_fp_ieee_overflow 0
		.amdhsa_exception_fp_ieee_underflow 0
		.amdhsa_exception_fp_ieee_inexact 0
		.amdhsa_exception_int_div_zero 0
	.end_amdhsa_kernel
	.section	.text._ZN9rocsparseL38csrgemm_numeric_fill_wf_per_row_kernelILj256ELj16ELj32ELj137Ell21rocsparse_complex_numIdEEEvT4_S3_PKS3_S5_NS_24const_host_device_scalarIT5_EEPKT3_S5_PKS7_SB_S5_SD_S8_SB_S5_SD_SB_S5_PS7_21rocsparse_index_base_SF_SF_SF_bbb,"axG",@progbits,_ZN9rocsparseL38csrgemm_numeric_fill_wf_per_row_kernelILj256ELj16ELj32ELj137Ell21rocsparse_complex_numIdEEEvT4_S3_PKS3_S5_NS_24const_host_device_scalarIT5_EEPKT3_S5_PKS7_SB_S5_SD_S8_SB_S5_SD_SB_S5_PS7_21rocsparse_index_base_SF_SF_SF_bbb,comdat
.Lfunc_end141:
	.size	_ZN9rocsparseL38csrgemm_numeric_fill_wf_per_row_kernelILj256ELj16ELj32ELj137Ell21rocsparse_complex_numIdEEEvT4_S3_PKS3_S5_NS_24const_host_device_scalarIT5_EEPKT3_S5_PKS7_SB_S5_SD_S8_SB_S5_SD_SB_S5_PS7_21rocsparse_index_base_SF_SF_SF_bbb, .Lfunc_end141-_ZN9rocsparseL38csrgemm_numeric_fill_wf_per_row_kernelILj256ELj16ELj32ELj137Ell21rocsparse_complex_numIdEEEvT4_S3_PKS3_S5_NS_24const_host_device_scalarIT5_EEPKT3_S5_PKS7_SB_S5_SD_S8_SB_S5_SD_SB_S5_PS7_21rocsparse_index_base_SF_SF_SF_bbb
                                        ; -- End function
	.section	.AMDGPU.csdata,"",@progbits
; Kernel info:
; codeLenInByte = 3964
; NumSgprs: 46
; NumVgprs: 74
; ScratchSize: 0
; MemoryBound: 0
; FloatMode: 240
; IeeeMode: 1
; LDSByteSize: 16384 bytes/workgroup (compile time only)
; SGPRBlocks: 5
; VGPRBlocks: 9
; NumSGPRsForWavesPerEU: 46
; NumVGPRsForWavesPerEU: 74
; Occupancy: 16
; WaveLimiterHint : 1
; COMPUTE_PGM_RSRC2:SCRATCH_EN: 0
; COMPUTE_PGM_RSRC2:USER_SGPR: 15
; COMPUTE_PGM_RSRC2:TRAP_HANDLER: 0
; COMPUTE_PGM_RSRC2:TGID_X_EN: 1
; COMPUTE_PGM_RSRC2:TGID_Y_EN: 0
; COMPUTE_PGM_RSRC2:TGID_Z_EN: 0
; COMPUTE_PGM_RSRC2:TIDIG_COMP_CNT: 2
	.section	.text._ZN9rocsparseL41csrgemm_numeric_fill_block_per_row_kernelILj128ELj16ELj256ELj137ELj32Ell21rocsparse_complex_numIdEEEvT5_PKS3_S5_NS_24const_host_device_scalarIT6_EEPKT4_S5_PKS7_SB_S5_SD_S8_SB_S5_SD_SB_S5_PS7_21rocsparse_index_base_SF_SF_SF_bbb,"axG",@progbits,_ZN9rocsparseL41csrgemm_numeric_fill_block_per_row_kernelILj128ELj16ELj256ELj137ELj32Ell21rocsparse_complex_numIdEEEvT5_PKS3_S5_NS_24const_host_device_scalarIT6_EEPKT4_S5_PKS7_SB_S5_SD_S8_SB_S5_SD_SB_S5_PS7_21rocsparse_index_base_SF_SF_SF_bbb,comdat
	.globl	_ZN9rocsparseL41csrgemm_numeric_fill_block_per_row_kernelILj128ELj16ELj256ELj137ELj32Ell21rocsparse_complex_numIdEEEvT5_PKS3_S5_NS_24const_host_device_scalarIT6_EEPKT4_S5_PKS7_SB_S5_SD_S8_SB_S5_SD_SB_S5_PS7_21rocsparse_index_base_SF_SF_SF_bbb ; -- Begin function _ZN9rocsparseL41csrgemm_numeric_fill_block_per_row_kernelILj128ELj16ELj256ELj137ELj32Ell21rocsparse_complex_numIdEEEvT5_PKS3_S5_NS_24const_host_device_scalarIT6_EEPKT4_S5_PKS7_SB_S5_SD_S8_SB_S5_SD_SB_S5_PS7_21rocsparse_index_base_SF_SF_SF_bbb
	.p2align	8
	.type	_ZN9rocsparseL41csrgemm_numeric_fill_block_per_row_kernelILj128ELj16ELj256ELj137ELj32Ell21rocsparse_complex_numIdEEEvT5_PKS3_S5_NS_24const_host_device_scalarIT6_EEPKT4_S5_PKS7_SB_S5_SD_S8_SB_S5_SD_SB_S5_PS7_21rocsparse_index_base_SF_SF_SF_bbb,@function
_ZN9rocsparseL41csrgemm_numeric_fill_block_per_row_kernelILj128ELj16ELj256ELj137ELj32Ell21rocsparse_complex_numIdEEEvT5_PKS3_S5_NS_24const_host_device_scalarIT6_EEPKT4_S5_PKS7_SB_S5_SD_S8_SB_S5_SD_SB_S5_PS7_21rocsparse_index_base_SF_SF_SF_bbb: ; @_ZN9rocsparseL41csrgemm_numeric_fill_block_per_row_kernelILj128ELj16ELj256ELj137ELj32Ell21rocsparse_complex_numIdEEEvT5_PKS3_S5_NS_24const_host_device_scalarIT6_EEPKT4_S5_PKS7_SB_S5_SD_S8_SB_S5_SD_SB_S5_PS7_21rocsparse_index_base_SF_SF_SF_bbb
; %bb.0:
	s_clause 0x2
	s_load_b32 s12, s[0:1], 0xa8
	s_load_b128 s[8:11], s[0:1], 0x18
	s_load_b128 s[4:7], s[0:1], 0x58
	v_mov_b32_e32 v1, 0
	v_mov_b32_e32 v2, 0
	s_mov_b32 s36, s15
	s_waitcnt lgkmcnt(0)
	s_bitcmp1_b32 s12, 0
	v_mov_b32_e32 v3, s8
	s_cselect_b32 s40, -1, 0
	s_bitcmp1_b32 s12, 16
	v_dual_mov_b32 v6, v2 :: v_dual_mov_b32 v5, v1
	s_cselect_b32 s2, -1, 0
	v_mov_b32_e32 v4, s9
	s_xor_b32 s3, s2, -1
	v_dual_mov_b32 v10, s5 :: v_dual_mov_b32 v9, s4
	v_cndmask_b32_e64 v7, 0, 1, s3
	s_bitcmp0_b32 s12, 0
	s_clause 0x1
	scratch_store_b64 off, v[3:4], off offset:16
	scratch_store_b64 off, v[9:10], off offset:24
	v_cmp_ne_u32_e32 vcc_lo, 1, v7
	v_dual_mov_b32 v8, v2 :: v_dual_mov_b32 v7, v1
	s_cbranch_scc1 .LBB142_3
; %bb.1:
	s_mov_b64 s[14:15], src_private_base
	s_and_b32 s13, s2, exec_lo
	s_cselect_b32 s13, s15, s9
	s_delay_alu instid0(SALU_CYCLE_1) | instskip(SKIP_2) | instid1(VALU_DEP_2)
	v_dual_mov_b32 v3, 16 :: v_dual_mov_b32 v4, s13
	v_dual_mov_b32 v7, s10 :: v_dual_mov_b32 v8, s11
	s_and_b32 vcc_lo, exec_lo, vcc_lo
	v_cndmask_b32_e64 v3, s8, v3, s2
	flat_load_b64 v[5:6], v[3:4]
	s_cbranch_vccnz .LBB142_3
; %bb.2:
	v_dual_mov_b32 v3, s8 :: v_dual_mov_b32 v4, s9
	flat_load_b64 v[7:8], v[3:4] offset:8
.LBB142_3:
	s_load_b128 s[20:23], s[0:1], 0x98
	s_bitcmp1_b32 s12, 8
	v_dual_mov_b32 v4, v2 :: v_dual_mov_b32 v3, v1
	s_cselect_b32 s33, -1, 0
	s_bfe_u32 s8, s12, 0x10008
	s_delay_alu instid0(SALU_CYCLE_1)
	s_cmp_eq_u32 s8, 0
	s_cbranch_scc1 .LBB142_6
; %bb.4:
	s_mov_b64 s[8:9], src_private_base
	s_and_b32 s8, s2, exec_lo
	s_cselect_b32 s8, s9, s5
	s_delay_alu instid0(SALU_CYCLE_1) | instskip(SKIP_1) | instid1(VALU_DEP_1)
	v_dual_mov_b32 v1, 24 :: v_dual_mov_b32 v2, s8
	s_and_not1_b32 vcc_lo, exec_lo, s3
	v_cndmask_b32_e64 v1, s4, v1, s2
	flat_load_b64 v[3:4], v[1:2]
	v_dual_mov_b32 v1, s6 :: v_dual_mov_b32 v2, s7
	s_cbranch_vccnz .LBB142_6
; %bb.5:
	v_dual_mov_b32 v1, s4 :: v_dual_mov_b32 v2, s5
	flat_load_b64 v[1:2], v[1:2] offset:8
.LBB142_6:
	s_clause 0x5
	s_load_b64 s[34:35], s[0:1], 0x90
	s_load_b256 s[4:11], s[0:1], 0x68
	s_load_b128 s[28:31], s[0:1], 0x48
	s_load_b128 s[24:27], s[0:1], 0x0
	s_load_b64 s[2:3], s[0:1], 0x10
	s_load_b256 s[12:19], s[0:1], 0x28
	v_cmp_gt_u32_e64 s0, 0x100, v0
	v_lshlrev_b32_e32 v29, 4, v0
	v_or_b32_e32 v27, 0xffffff80, v0
	v_lshl_add_u32 v28, v0, 3, 0
	s_delay_alu instid0(VALU_DEP_4)
	s_and_saveexec_b32 s1, s0
	s_cbranch_execz .LBB142_9
; %bb.7:
	s_mov_b32 s38, 0
	v_add3_u32 v15, v29, 0, 0x800
	s_mov_b32 s39, s38
	s_mov_b32 s42, s38
	;; [unrolled: 1-line block ×3, first 2 shown]
	v_or_b32_e32 v16, 0xffffff80, v0
	v_lshl_add_u32 v17, v0, 3, 0
	s_waitcnt lgkmcnt(0)
	v_dual_mov_b32 v9, s24 :: v_dual_mov_b32 v10, s25
	v_dual_mov_b32 v11, s38 :: v_dual_mov_b32 v12, s39
	;; [unrolled: 1-line block ×3, first 2 shown]
.LBB142_8:                              ; =>This Inner Loop Header: Depth=1
	v_add_co_u32 v16, s37, 0x80, v16
	s_delay_alu instid0(VALU_DEP_1)
	s_xor_b32 s37, s37, -1
	ds_store_b64 v17, v[9:10]
	ds_store_2addr_b64 v15, v[11:12], v[13:14] offset1:1
	v_add_nc_u32_e32 v15, 0x800, v15
	v_add_nc_u32_e32 v17, 0x400, v17
	s_and_b32 s37, exec_lo, s37
	s_delay_alu instid0(SALU_CYCLE_1) | instskip(NEXT) | instid1(SALU_CYCLE_1)
	s_or_b32 s38, s37, s38
	s_and_not1_b32 exec_lo, exec_lo, s38
	s_cbranch_execnz .LBB142_8
.LBB142_9:
	s_or_b32 exec_lo, exec_lo, s1
	s_waitcnt vmcnt(0) lgkmcnt(0)
	s_waitcnt_vscnt null, 0x0
	s_barrier
	buffer_gl0_inv
	s_load_b64 s[26:27], s[26:27], 0x0
	s_mov_b32 s37, 0
	s_waitcnt lgkmcnt(0)
	s_lshl_b64 s[26:27], s[26:27], 3
	s_delay_alu instid0(SALU_CYCLE_1) | instskip(SKIP_2) | instid1(SALU_CYCLE_1)
	s_add_u32 s1, s2, s26
	s_addc_u32 s26, s3, s27
	s_lshl_b64 s[2:3], s[36:37], 3
	s_add_u32 s2, s1, s2
	s_addc_u32 s3, s26, s3
	s_and_b32 vcc_lo, exec_lo, s40
	s_load_b64 s[26:27], s[2:3], 0x0
	s_cbranch_vccz .LBB142_37
; %bb.10:
	s_waitcnt lgkmcnt(0)
	s_lshl_b64 s[2:3], s[26:27], 3
	v_lshrrev_b32_e32 v9, 4, v0
	s_add_u32 s2, s12, s2
	s_addc_u32 s3, s13, s3
	s_load_b128 s[36:39], s[2:3], 0x0
	s_delay_alu instid0(VALU_DEP_1) | instskip(NEXT) | instid1(VALU_DEP_1)
	v_sub_co_u32 v9, s1, v9, s20
	v_sub_co_ci_u32_e64 v10, null, 0, 0, s1
	s_mov_b32 s1, exec_lo
	s_waitcnt lgkmcnt(0)
	s_delay_alu instid0(VALU_DEP_2) | instskip(NEXT) | instid1(VALU_DEP_2)
	v_add_co_u32 v9, vcc_lo, s36, v9
	v_add_co_ci_u32_e32 v10, vcc_lo, s37, v10, vcc_lo
	s_sub_u32 s2, s38, s20
	s_subb_u32 s3, s39, 0
	s_delay_alu instid0(VALU_DEP_1) | instid1(SALU_CYCLE_1)
	v_cmpx_gt_i64_e64 s[2:3], v[9:10]
	s_cbranch_execz .LBB142_36
; %bb.11:
	v_and_b32_e32 v11, 15, v0
	s_mov_b32 s13, s21
	s_delay_alu instid0(VALU_DEP_1) | instskip(NEXT) | instid1(VALU_DEP_1)
	v_sub_co_u32 v30, s12, v11, s21
	v_sub_co_ci_u32_e64 v31, null, 0, 0, s12
	s_mov_b32 s12, 0
	s_branch .LBB142_13
.LBB142_12:                             ;   in Loop: Header=BB142_13 Depth=1
	s_or_b32 exec_lo, exec_lo, s21
	v_add_co_u32 v9, vcc_lo, v9, 8
	v_add_co_ci_u32_e32 v10, vcc_lo, 0, v10, vcc_lo
	s_delay_alu instid0(VALU_DEP_1) | instskip(SKIP_1) | instid1(SALU_CYCLE_1)
	v_cmp_le_i64_e32 vcc_lo, s[2:3], v[9:10]
	s_or_b32 s12, vcc_lo, s12
	s_and_not1_b32 exec_lo, exec_lo, s12
	s_cbranch_execz .LBB142_36
.LBB142_13:                             ; =>This Loop Header: Depth=1
                                        ;     Child Loop BB142_16 Depth 2
                                        ;       Child Loop BB142_18 Depth 3
                                        ;         Child Loop BB142_24 Depth 4
                                        ;         Child Loop BB142_26 Depth 4
                                        ;         Child Loop BB142_32 Depth 4
                                        ;         Child Loop BB142_34 Depth 4
	v_lshlrev_b64 v[11:12], 3, v[9:10]
	s_mov_b32 s21, exec_lo
	s_delay_alu instid0(VALU_DEP_1) | instskip(NEXT) | instid1(VALU_DEP_2)
	v_add_co_u32 v11, vcc_lo, s14, v11
	v_add_co_ci_u32_e32 v12, vcc_lo, s15, v12, vcc_lo
	global_load_b64 v[11:12], v[11:12], off
	s_waitcnt vmcnt(0)
	v_sub_co_u32 v11, vcc_lo, v11, s20
	v_subrev_co_ci_u32_e32 v12, vcc_lo, 0, v12, vcc_lo
	s_delay_alu instid0(VALU_DEP_1) | instskip(NEXT) | instid1(VALU_DEP_1)
	v_lshlrev_b64 v[11:12], 3, v[11:12]
	v_add_co_u32 v11, vcc_lo, s18, v11
	s_delay_alu instid0(VALU_DEP_2)
	v_add_co_ci_u32_e32 v12, vcc_lo, s19, v12, vcc_lo
	global_load_b128 v[13:16], v[11:12], off
	s_waitcnt vmcnt(0)
	v_sub_co_u32 v11, vcc_lo, v15, s13
	v_subrev_co_ci_u32_e32 v12, vcc_lo, 0, v16, vcc_lo
	v_add_co_u32 v13, vcc_lo, v13, v30
	v_add_co_ci_u32_e32 v14, vcc_lo, v14, v31, vcc_lo
	s_delay_alu instid0(VALU_DEP_1)
	v_cmpx_lt_i64_e64 v[13:14], v[11:12]
	s_cbranch_execz .LBB142_12
; %bb.14:                               ;   in Loop: Header=BB142_13 Depth=1
	v_lshlrev_b64 v[15:16], 4, v[9:10]
	s_mov_b32 s36, 0
	s_delay_alu instid0(VALU_DEP_1) | instskip(NEXT) | instid1(VALU_DEP_2)
	v_add_co_u32 v15, vcc_lo, s16, v15
	v_add_co_ci_u32_e32 v16, vcc_lo, s17, v16, vcc_lo
	global_load_b128 v[17:20], v[15:16], off
	s_waitcnt vmcnt(0)
	v_mul_f64 v[15:16], v[19:20], -v[7:8]
	v_mul_f64 v[19:20], v[5:6], v[19:20]
	s_delay_alu instid0(VALU_DEP_2) | instskip(NEXT) | instid1(VALU_DEP_2)
	v_fma_f64 v[15:16], v[5:6], v[17:18], v[15:16]
	v_fma_f64 v[17:18], v[7:8], v[17:18], v[19:20]
	s_branch .LBB142_16
.LBB142_15:                             ;   in Loop: Header=BB142_16 Depth=2
	s_or_b32 exec_lo, exec_lo, s37
	v_add_co_u32 v13, vcc_lo, v13, 16
	v_add_co_ci_u32_e32 v14, vcc_lo, 0, v14, vcc_lo
	s_delay_alu instid0(VALU_DEP_1) | instskip(SKIP_1) | instid1(SALU_CYCLE_1)
	v_cmp_ge_i64_e32 vcc_lo, v[13:14], v[11:12]
	s_or_b32 s36, vcc_lo, s36
	s_and_not1_b32 exec_lo, exec_lo, s36
	s_cbranch_execz .LBB142_12
.LBB142_16:                             ;   Parent Loop BB142_13 Depth=1
                                        ; =>  This Loop Header: Depth=2
                                        ;       Child Loop BB142_18 Depth 3
                                        ;         Child Loop BB142_24 Depth 4
                                        ;         Child Loop BB142_26 Depth 4
	;; [unrolled: 1-line block ×4, first 2 shown]
	v_lshlrev_b64 v[19:20], 4, v[13:14]
	s_mov_b32 s37, 0
	s_delay_alu instid0(VALU_DEP_1) | instskip(NEXT) | instid1(VALU_DEP_2)
	v_add_co_u32 v19, vcc_lo, s30, v19
	v_add_co_ci_u32_e32 v20, vcc_lo, s31, v20, vcc_lo
	global_load_b128 v[21:24], v[19:20], off
	v_lshlrev_b64 v[19:20], 3, v[13:14]
	s_delay_alu instid0(VALU_DEP_1) | instskip(NEXT) | instid1(VALU_DEP_2)
	v_add_co_u32 v19, vcc_lo, s28, v19
	v_add_co_ci_u32_e32 v20, vcc_lo, s29, v20, vcc_lo
	global_load_b64 v[25:26], v[19:20], off
	s_waitcnt vmcnt(1)
	v_mul_f64 v[19:20], v[23:24], -v[17:18]
	v_mul_f64 v[23:24], v[15:16], v[23:24]
	s_delay_alu instid0(VALU_DEP_2) | instskip(NEXT) | instid1(VALU_DEP_2)
	v_fma_f64 v[19:20], v[15:16], v[21:22], v[19:20]
	v_fma_f64 v[21:22], v[17:18], v[21:22], v[23:24]
	s_waitcnt vmcnt(0)
	v_sub_co_u32 v23, vcc_lo, v25, s13
	v_subrev_co_ci_u32_e32 v24, vcc_lo, 0, v26, vcc_lo
	s_delay_alu instid0(VALU_DEP_2) | instskip(NEXT) | instid1(VALU_DEP_1)
	v_mul_lo_u32 v25, 0x89, v23
	v_and_b32_e32 v32, 0xff, v25
	s_branch .LBB142_18
.LBB142_17:                             ;   in Loop: Header=BB142_18 Depth=3
	s_or_b32 exec_lo, exec_lo, s38
	s_xor_b32 s38, s39, -1
	s_delay_alu instid0(SALU_CYCLE_1) | instskip(NEXT) | instid1(SALU_CYCLE_1)
	s_and_b32 s38, exec_lo, s38
	s_or_b32 s37, s38, s37
	s_delay_alu instid0(SALU_CYCLE_1)
	s_and_not1_b32 exec_lo, exec_lo, s37
	s_cbranch_execz .LBB142_15
.LBB142_18:                             ;   Parent Loop BB142_13 Depth=1
                                        ;     Parent Loop BB142_16 Depth=2
                                        ; =>    This Loop Header: Depth=3
                                        ;         Child Loop BB142_24 Depth 4
                                        ;         Child Loop BB142_26 Depth 4
	;; [unrolled: 1-line block ×4, first 2 shown]
	s_delay_alu instid0(VALU_DEP_1)
	v_lshl_add_u32 v33, v32, 3, 0
	s_mov_b32 s38, exec_lo
                                        ; implicit-def: $sgpr39
	ds_load_b64 v[25:26], v33
	s_waitcnt lgkmcnt(0)
	v_cmpx_ne_u64_e64 v[25:26], v[23:24]
	s_xor_b32 s38, exec_lo, s38
	s_cbranch_execz .LBB142_30
; %bb.19:                               ;   in Loop: Header=BB142_18 Depth=3
	s_mov_b32 s40, exec_lo
                                        ; implicit-def: $sgpr39
	v_cmpx_ne_u64_e64 s[24:25], v[25:26]
	s_xor_b32 s40, exec_lo, s40
; %bb.20:                               ;   in Loop: Header=BB142_18 Depth=3
	v_add_nc_u32_e32 v25, 1, v32
	s_mov_b32 s39, -1
                                        ; implicit-def: $vgpr33
	s_delay_alu instid0(VALU_DEP_1)
	v_and_b32_e32 v32, 0xff, v25
; %bb.21:                               ;   in Loop: Header=BB142_18 Depth=3
	s_and_not1_saveexec_b32 s40, s40
	s_cbranch_execz .LBB142_29
; %bb.22:                               ;   in Loop: Header=BB142_18 Depth=3
	v_dual_mov_b32 v26, s25 :: v_dual_mov_b32 v25, s24
	s_mov_b32 s42, -1
	s_mov_b32 s41, exec_lo
	ds_cmpstore_rtn_b64 v[25:26], v33, v[23:24], v[25:26]
	s_waitcnt lgkmcnt(0)
	v_cmpx_eq_u64_e64 s[24:25], v[25:26]
	s_cbranch_execz .LBB142_28
; %bb.23:                               ;   in Loop: Header=BB142_18 Depth=3
	v_lshlrev_b32_e32 v25, 3, v32
	s_mov_b32 s42, 0
	s_delay_alu instid0(VALU_DEP_1)
	v_add_nc_u32_e32 v33, v33, v25
	ds_load_b64 v[25:26], v33 offset:2048
.LBB142_24:                             ;   Parent Loop BB142_13 Depth=1
                                        ;     Parent Loop BB142_16 Depth=2
                                        ;       Parent Loop BB142_18 Depth=3
                                        ; =>      This Inner Loop Header: Depth=4
	s_waitcnt lgkmcnt(0)
	v_add_f64 v[34:35], v[25:26], v[19:20]
	ds_cmpstore_rtn_b64 v[34:35], v33, v[34:35], v[25:26] offset:2048
	s_waitcnt lgkmcnt(0)
	v_cmp_eq_u64_e32 vcc_lo, v[34:35], v[25:26]
	v_dual_mov_b32 v25, v34 :: v_dual_mov_b32 v26, v35
	s_or_b32 s42, vcc_lo, s42
	s_delay_alu instid0(SALU_CYCLE_1)
	s_and_not1_b32 exec_lo, exec_lo, s42
	s_cbranch_execnz .LBB142_24
; %bb.25:                               ;   in Loop: Header=BB142_18 Depth=3
	s_or_b32 exec_lo, exec_lo, s42
	ds_load_b64 v[25:26], v33 offset:2056
	s_mov_b32 s42, 0
.LBB142_26:                             ;   Parent Loop BB142_13 Depth=1
                                        ;     Parent Loop BB142_16 Depth=2
                                        ;       Parent Loop BB142_18 Depth=3
                                        ; =>      This Inner Loop Header: Depth=4
	s_waitcnt lgkmcnt(0)
	v_add_f64 v[34:35], v[25:26], v[21:22]
	ds_cmpstore_rtn_b64 v[34:35], v33, v[34:35], v[25:26] offset:2056
	s_waitcnt lgkmcnt(0)
	v_cmp_eq_u64_e32 vcc_lo, v[34:35], v[25:26]
	v_dual_mov_b32 v25, v34 :: v_dual_mov_b32 v26, v35
	s_or_b32 s42, vcc_lo, s42
	s_delay_alu instid0(SALU_CYCLE_1)
	s_and_not1_b32 exec_lo, exec_lo, s42
	s_cbranch_execnz .LBB142_26
; %bb.27:                               ;   in Loop: Header=BB142_18 Depth=3
	s_or_b32 exec_lo, exec_lo, s42
	s_delay_alu instid0(SALU_CYCLE_1)
	s_xor_b32 s42, exec_lo, -1
.LBB142_28:                             ;   in Loop: Header=BB142_18 Depth=3
	s_or_b32 exec_lo, exec_lo, s41
	s_delay_alu instid0(SALU_CYCLE_1) | instskip(SKIP_1) | instid1(SALU_CYCLE_1)
	s_and_not1_b32 s39, s39, exec_lo
	s_and_b32 s41, s42, exec_lo
	s_or_b32 s39, s39, s41
.LBB142_29:                             ;   in Loop: Header=BB142_18 Depth=3
	s_or_b32 exec_lo, exec_lo, s40
	s_delay_alu instid0(SALU_CYCLE_1)
	s_and_b32 s39, s39, exec_lo
                                        ; implicit-def: $vgpr33
.LBB142_30:                             ;   in Loop: Header=BB142_18 Depth=3
	s_and_not1_saveexec_b32 s38, s38
	s_cbranch_execz .LBB142_17
; %bb.31:                               ;   in Loop: Header=BB142_18 Depth=3
	v_lshlrev_b32_e32 v25, 3, v32
	s_mov_b32 s40, 0
	s_delay_alu instid0(VALU_DEP_1)
	v_add_nc_u32_e32 v33, v33, v25
	ds_load_b64 v[25:26], v33 offset:2048
.LBB142_32:                             ;   Parent Loop BB142_13 Depth=1
                                        ;     Parent Loop BB142_16 Depth=2
                                        ;       Parent Loop BB142_18 Depth=3
                                        ; =>      This Inner Loop Header: Depth=4
	s_waitcnt lgkmcnt(0)
	v_add_f64 v[34:35], v[25:26], v[19:20]
	ds_cmpstore_rtn_b64 v[34:35], v33, v[34:35], v[25:26] offset:2048
	s_waitcnt lgkmcnt(0)
	v_cmp_eq_u64_e32 vcc_lo, v[34:35], v[25:26]
	v_dual_mov_b32 v25, v34 :: v_dual_mov_b32 v26, v35
	s_or_b32 s40, vcc_lo, s40
	s_delay_alu instid0(SALU_CYCLE_1)
	s_and_not1_b32 exec_lo, exec_lo, s40
	s_cbranch_execnz .LBB142_32
; %bb.33:                               ;   in Loop: Header=BB142_18 Depth=3
	s_or_b32 exec_lo, exec_lo, s40
	ds_load_b64 v[25:26], v33 offset:2056
	s_mov_b32 s40, 0
.LBB142_34:                             ;   Parent Loop BB142_13 Depth=1
                                        ;     Parent Loop BB142_16 Depth=2
                                        ;       Parent Loop BB142_18 Depth=3
                                        ; =>      This Inner Loop Header: Depth=4
	s_waitcnt lgkmcnt(0)
	v_add_f64 v[34:35], v[25:26], v[21:22]
	ds_cmpstore_rtn_b64 v[34:35], v33, v[34:35], v[25:26] offset:2056
	s_waitcnt lgkmcnt(0)
	v_cmp_eq_u64_e32 vcc_lo, v[34:35], v[25:26]
	v_dual_mov_b32 v25, v34 :: v_dual_mov_b32 v26, v35
	s_or_b32 s40, vcc_lo, s40
	s_delay_alu instid0(SALU_CYCLE_1)
	s_and_not1_b32 exec_lo, exec_lo, s40
	s_cbranch_execnz .LBB142_34
; %bb.35:                               ;   in Loop: Header=BB142_18 Depth=3
	s_or_b32 exec_lo, exec_lo, s40
	s_delay_alu instid0(SALU_CYCLE_1)
	s_and_not1_b32 s39, s39, exec_lo
	s_branch .LBB142_17
.LBB142_36:
	s_or_b32 exec_lo, exec_lo, s1
.LBB142_37:
	s_delay_alu instid0(SALU_CYCLE_1)
	s_and_not1_b32 vcc_lo, exec_lo, s33
	s_cbranch_vccnz .LBB142_62
; %bb.38:
	s_waitcnt lgkmcnt(0)
	s_lshl_b64 s[2:3], s[26:27], 3
	v_sub_co_u32 v5, s1, v0, s23
	s_add_u32 s2, s4, s2
	s_addc_u32 s3, s5, s3
	v_sub_co_ci_u32_e64 v6, null, 0, 0, s1
	s_load_b128 s[12:15], s[2:3], 0x0
	s_mov_b32 s1, 0
	s_mov_b32 s4, exec_lo
	s_waitcnt lgkmcnt(0)
	v_add_co_u32 v5, vcc_lo, s12, v5
	v_add_co_ci_u32_e32 v6, vcc_lo, s13, v6, vcc_lo
	s_sub_u32 s2, s14, s23
	s_subb_u32 s3, s15, 0
	s_delay_alu instid0(VALU_DEP_1) | instid1(SALU_CYCLE_1)
	v_cmpx_gt_i64_e64 s[2:3], v[5:6]
	s_cbranch_execz .LBB142_61
; %bb.39:
	s_mov_b32 s5, s23
	s_branch .LBB142_41
.LBB142_40:                             ;   in Loop: Header=BB142_41 Depth=1
	s_or_b32 exec_lo, exec_lo, s12
	v_add_co_u32 v5, vcc_lo, 0x80, v5
	v_add_co_ci_u32_e32 v6, vcc_lo, 0, v6, vcc_lo
	s_delay_alu instid0(VALU_DEP_1) | instskip(SKIP_1) | instid1(SALU_CYCLE_1)
	v_cmp_le_i64_e32 vcc_lo, s[2:3], v[5:6]
	s_or_b32 s1, vcc_lo, s1
	s_and_not1_b32 exec_lo, exec_lo, s1
	s_cbranch_execz .LBB142_61
.LBB142_41:                             ; =>This Loop Header: Depth=1
                                        ;     Child Loop BB142_43 Depth 2
                                        ;       Child Loop BB142_49 Depth 3
                                        ;       Child Loop BB142_51 Depth 3
	;; [unrolled: 1-line block ×4, first 2 shown]
	v_lshlrev_b64 v[7:8], 4, v[5:6]
	s_mov_b32 s12, 0
	s_delay_alu instid0(VALU_DEP_1) | instskip(NEXT) | instid1(VALU_DEP_2)
	v_add_co_u32 v7, vcc_lo, s8, v7
	v_add_co_ci_u32_e32 v8, vcc_lo, s9, v8, vcc_lo
	global_load_b128 v[9:12], v[7:8], off
	v_lshlrev_b64 v[7:8], 3, v[5:6]
	s_delay_alu instid0(VALU_DEP_1) | instskip(NEXT) | instid1(VALU_DEP_2)
	v_add_co_u32 v7, vcc_lo, s6, v7
	v_add_co_ci_u32_e32 v8, vcc_lo, s7, v8, vcc_lo
	global_load_b64 v[13:14], v[7:8], off
	s_waitcnt vmcnt(1)
	v_mul_f64 v[7:8], v[11:12], -v[1:2]
	v_mul_f64 v[11:12], v[3:4], v[11:12]
	s_delay_alu instid0(VALU_DEP_2) | instskip(NEXT) | instid1(VALU_DEP_2)
	v_fma_f64 v[7:8], v[3:4], v[9:10], v[7:8]
	v_fma_f64 v[9:10], v[1:2], v[9:10], v[11:12]
	s_waitcnt vmcnt(0)
	v_sub_co_u32 v11, vcc_lo, v13, s5
	v_subrev_co_ci_u32_e32 v12, vcc_lo, 0, v14, vcc_lo
	s_delay_alu instid0(VALU_DEP_2) | instskip(NEXT) | instid1(VALU_DEP_1)
	v_mul_lo_u32 v13, 0x89, v11
	v_and_b32_e32 v15, 0xff, v13
	s_branch .LBB142_43
.LBB142_42:                             ;   in Loop: Header=BB142_43 Depth=2
	s_or_b32 exec_lo, exec_lo, s13
	s_xor_b32 s13, s14, -1
	s_delay_alu instid0(SALU_CYCLE_1) | instskip(NEXT) | instid1(SALU_CYCLE_1)
	s_and_b32 s13, exec_lo, s13
	s_or_b32 s12, s13, s12
	s_delay_alu instid0(SALU_CYCLE_1)
	s_and_not1_b32 exec_lo, exec_lo, s12
	s_cbranch_execz .LBB142_40
.LBB142_43:                             ;   Parent Loop BB142_41 Depth=1
                                        ; =>  This Loop Header: Depth=2
                                        ;       Child Loop BB142_49 Depth 3
                                        ;       Child Loop BB142_51 Depth 3
	;; [unrolled: 1-line block ×4, first 2 shown]
	s_delay_alu instid0(VALU_DEP_1)
	v_lshl_add_u32 v16, v15, 3, 0
	s_mov_b32 s13, exec_lo
                                        ; implicit-def: $sgpr14
	ds_load_b64 v[13:14], v16
	s_waitcnt lgkmcnt(0)
	v_cmpx_ne_u64_e64 v[13:14], v[11:12]
	s_xor_b32 s13, exec_lo, s13
	s_cbranch_execz .LBB142_55
; %bb.44:                               ;   in Loop: Header=BB142_43 Depth=2
	s_mov_b32 s15, exec_lo
                                        ; implicit-def: $sgpr14
	v_cmpx_ne_u64_e64 s[24:25], v[13:14]
	s_xor_b32 s15, exec_lo, s15
; %bb.45:                               ;   in Loop: Header=BB142_43 Depth=2
	v_add_nc_u32_e32 v13, 1, v15
	s_mov_b32 s14, -1
                                        ; implicit-def: $vgpr16
	s_delay_alu instid0(VALU_DEP_1)
	v_and_b32_e32 v15, 0xff, v13
; %bb.46:                               ;   in Loop: Header=BB142_43 Depth=2
	s_and_not1_saveexec_b32 s15, s15
	s_cbranch_execz .LBB142_54
; %bb.47:                               ;   in Loop: Header=BB142_43 Depth=2
	v_dual_mov_b32 v13, s24 :: v_dual_mov_b32 v14, s25
	s_mov_b32 s17, -1
	s_mov_b32 s16, exec_lo
	ds_cmpstore_rtn_b64 v[13:14], v16, v[11:12], v[13:14]
	s_waitcnt lgkmcnt(0)
	v_cmpx_eq_u64_e64 s[24:25], v[13:14]
	s_cbranch_execz .LBB142_53
; %bb.48:                               ;   in Loop: Header=BB142_43 Depth=2
	v_lshlrev_b32_e32 v13, 3, v15
	s_mov_b32 s17, 0
	s_delay_alu instid0(VALU_DEP_1)
	v_add_nc_u32_e32 v16, v16, v13
	ds_load_b64 v[13:14], v16 offset:2048
.LBB142_49:                             ;   Parent Loop BB142_41 Depth=1
                                        ;     Parent Loop BB142_43 Depth=2
                                        ; =>    This Inner Loop Header: Depth=3
	s_waitcnt lgkmcnt(0)
	v_add_f64 v[17:18], v[13:14], v[7:8]
	ds_cmpstore_rtn_b64 v[17:18], v16, v[17:18], v[13:14] offset:2048
	s_waitcnt lgkmcnt(0)
	v_cmp_eq_u64_e32 vcc_lo, v[17:18], v[13:14]
	v_dual_mov_b32 v13, v17 :: v_dual_mov_b32 v14, v18
	s_or_b32 s17, vcc_lo, s17
	s_delay_alu instid0(SALU_CYCLE_1)
	s_and_not1_b32 exec_lo, exec_lo, s17
	s_cbranch_execnz .LBB142_49
; %bb.50:                               ;   in Loop: Header=BB142_43 Depth=2
	s_or_b32 exec_lo, exec_lo, s17
	ds_load_b64 v[13:14], v16 offset:2056
	s_mov_b32 s17, 0
.LBB142_51:                             ;   Parent Loop BB142_41 Depth=1
                                        ;     Parent Loop BB142_43 Depth=2
                                        ; =>    This Inner Loop Header: Depth=3
	s_waitcnt lgkmcnt(0)
	v_add_f64 v[17:18], v[13:14], v[9:10]
	ds_cmpstore_rtn_b64 v[17:18], v16, v[17:18], v[13:14] offset:2056
	s_waitcnt lgkmcnt(0)
	v_cmp_eq_u64_e32 vcc_lo, v[17:18], v[13:14]
	v_dual_mov_b32 v13, v17 :: v_dual_mov_b32 v14, v18
	s_or_b32 s17, vcc_lo, s17
	s_delay_alu instid0(SALU_CYCLE_1)
	s_and_not1_b32 exec_lo, exec_lo, s17
	s_cbranch_execnz .LBB142_51
; %bb.52:                               ;   in Loop: Header=BB142_43 Depth=2
	s_or_b32 exec_lo, exec_lo, s17
	s_delay_alu instid0(SALU_CYCLE_1)
	s_xor_b32 s17, exec_lo, -1
.LBB142_53:                             ;   in Loop: Header=BB142_43 Depth=2
	s_or_b32 exec_lo, exec_lo, s16
	s_delay_alu instid0(SALU_CYCLE_1) | instskip(SKIP_1) | instid1(SALU_CYCLE_1)
	s_and_not1_b32 s14, s14, exec_lo
	s_and_b32 s16, s17, exec_lo
	s_or_b32 s14, s14, s16
.LBB142_54:                             ;   in Loop: Header=BB142_43 Depth=2
	s_or_b32 exec_lo, exec_lo, s15
	s_delay_alu instid0(SALU_CYCLE_1)
	s_and_b32 s14, s14, exec_lo
                                        ; implicit-def: $vgpr16
.LBB142_55:                             ;   in Loop: Header=BB142_43 Depth=2
	s_and_not1_saveexec_b32 s13, s13
	s_cbranch_execz .LBB142_42
; %bb.56:                               ;   in Loop: Header=BB142_43 Depth=2
	v_lshlrev_b32_e32 v13, 3, v15
	s_mov_b32 s15, 0
	s_delay_alu instid0(VALU_DEP_1)
	v_add_nc_u32_e32 v16, v16, v13
	ds_load_b64 v[13:14], v16 offset:2048
.LBB142_57:                             ;   Parent Loop BB142_41 Depth=1
                                        ;     Parent Loop BB142_43 Depth=2
                                        ; =>    This Inner Loop Header: Depth=3
	s_waitcnt lgkmcnt(0)
	v_add_f64 v[17:18], v[13:14], v[7:8]
	ds_cmpstore_rtn_b64 v[17:18], v16, v[17:18], v[13:14] offset:2048
	s_waitcnt lgkmcnt(0)
	v_cmp_eq_u64_e32 vcc_lo, v[17:18], v[13:14]
	v_dual_mov_b32 v13, v17 :: v_dual_mov_b32 v14, v18
	s_or_b32 s15, vcc_lo, s15
	s_delay_alu instid0(SALU_CYCLE_1)
	s_and_not1_b32 exec_lo, exec_lo, s15
	s_cbranch_execnz .LBB142_57
; %bb.58:                               ;   in Loop: Header=BB142_43 Depth=2
	s_or_b32 exec_lo, exec_lo, s15
	ds_load_b64 v[13:14], v16 offset:2056
	s_mov_b32 s15, 0
.LBB142_59:                             ;   Parent Loop BB142_41 Depth=1
                                        ;     Parent Loop BB142_43 Depth=2
                                        ; =>    This Inner Loop Header: Depth=3
	s_waitcnt lgkmcnt(0)
	v_add_f64 v[17:18], v[13:14], v[9:10]
	ds_cmpstore_rtn_b64 v[17:18], v16, v[17:18], v[13:14] offset:2056
	s_waitcnt lgkmcnt(0)
	v_cmp_eq_u64_e32 vcc_lo, v[17:18], v[13:14]
	v_dual_mov_b32 v13, v17 :: v_dual_mov_b32 v14, v18
	s_or_b32 s15, vcc_lo, s15
	s_delay_alu instid0(SALU_CYCLE_1)
	s_and_not1_b32 exec_lo, exec_lo, s15
	s_cbranch_execnz .LBB142_59
; %bb.60:                               ;   in Loop: Header=BB142_43 Depth=2
	s_or_b32 exec_lo, exec_lo, s15
	s_delay_alu instid0(SALU_CYCLE_1)
	s_and_not1_b32 s14, s14, exec_lo
	s_branch .LBB142_42
.LBB142_61:
	s_or_b32 exec_lo, exec_lo, s4
.LBB142_62:
	s_waitcnt lgkmcnt(0)
	s_barrier
	buffer_gl0_inv
	s_and_saveexec_b32 s4, s0
	s_cbranch_execz .LBB142_75
; %bb.63:
	v_mbcnt_lo_u32_b32 v1, -1, 0
	v_lshrrev_b32_e32 v2, 2, v0
	v_cmp_eq_u32_e32 vcc_lo, 0x7f, v0
	v_cmp_lt_u32_e64 s0, 31, v0
	v_cmp_lt_u32_e64 s1, 63, v0
	v_xor_b32_e32 v1, 63, v1
	v_and_b32_e32 v3, 24, v2
	v_cmp_lt_u32_e64 s2, 0x5f, v0
	v_add3_u32 v10, v29, 0, 0x800
	v_mov_b32_e32 v5, 0
	v_lshrrev_b64 v[1:2], v1, -1
	v_dual_mov_b32 v2, 0 :: v_dual_add_nc_u32 v11, 0, v3
	v_mov_b32_e32 v3, 0
	s_mov_b32 s5, 0
	s_branch .LBB142_65
.LBB142_64:                             ;   in Loop: Header=BB142_65 Depth=1
	s_or_b32 exec_lo, exec_lo, s3
	s_waitcnt lgkmcnt(0)
	s_barrier
	buffer_gl0_inv
	ds_load_b64 v[6:7], v5 offset:6168
	v_add_co_u32 v27, s3, 0x80, v27
	s_delay_alu instid0(VALU_DEP_1) | instskip(SKIP_4) | instid1(VALU_DEP_1)
	s_xor_b32 s6, s3, -1
	v_add_nc_u32_e32 v10, 0x800, v10
	v_add_nc_u32_e32 v28, 0x400, v28
	s_waitcnt lgkmcnt(0)
	v_add_co_u32 v2, s3, v6, v2
	v_add_co_ci_u32_e64 v3, s3, v7, v3, s3
	s_and_b32 s3, exec_lo, s6
	s_delay_alu instid0(SALU_CYCLE_1) | instskip(NEXT) | instid1(SALU_CYCLE_1)
	s_or_b32 s5, s3, s5
	s_and_not1_b32 exec_lo, exec_lo, s5
	s_cbranch_execz .LBB142_75
.LBB142_65:                             ; =>This Inner Loop Header: Depth=1
	ds_load_b64 v[6:7], v28
	ds_load_2addr_b64 v[12:15], v10 offset1:1
	s_waitcnt lgkmcnt(1)
	v_cmp_gt_i64_e64 s3, s[24:25], v[6:7]
	s_waitcnt lgkmcnt(0)
	scratch_store_b128 off, v[12:15], off
	s_waitcnt_vscnt null, 0x0
	s_barrier
	buffer_gl0_inv
	v_and_b32_e32 v8, s3, v1
	s_bcnt1_i32_b32 s6, s3
	s_delay_alu instid0(SALU_CYCLE_1) | instskip(NEXT) | instid1(VALU_DEP_2)
	v_mov_b32_e32 v4, s6
	v_bcnt_u32_b32 v8, v8, 0
	ds_store_b64 v11, v[4:5] offset:6144
	s_waitcnt lgkmcnt(0)
	s_barrier
	buffer_gl0_inv
	s_and_saveexec_b32 s6, s0
	s_cbranch_execnz .LBB142_70
; %bb.66:                               ;   in Loop: Header=BB142_65 Depth=1
	s_or_b32 exec_lo, exec_lo, s6
	s_and_saveexec_b32 s6, s1
	s_cbranch_execnz .LBB142_71
.LBB142_67:                             ;   in Loop: Header=BB142_65 Depth=1
	s_or_b32 exec_lo, exec_lo, s6
	s_and_saveexec_b32 s6, s2
	s_cbranch_execnz .LBB142_72
.LBB142_68:                             ;   in Loop: Header=BB142_65 Depth=1
	s_or_b32 exec_lo, exec_lo, s6
	v_ashrrev_i32_e32 v9, 31, v8
	s_and_saveexec_b32 s6, s3
	s_cbranch_execnz .LBB142_73
.LBB142_69:                             ;   in Loop: Header=BB142_65 Depth=1
	s_or_b32 exec_lo, exec_lo, s6
	s_and_saveexec_b32 s3, vcc_lo
	s_cbranch_execz .LBB142_64
	s_branch .LBB142_74
.LBB142_70:                             ;   in Loop: Header=BB142_65 Depth=1
	ds_load_b32 v4, v5 offset:6144
	s_waitcnt lgkmcnt(0)
	v_add_nc_u32_e32 v8, v4, v8
	s_or_b32 exec_lo, exec_lo, s6
	s_and_saveexec_b32 s6, s1
	s_cbranch_execz .LBB142_67
.LBB142_71:                             ;   in Loop: Header=BB142_65 Depth=1
	ds_load_b32 v4, v5 offset:6152
	s_waitcnt lgkmcnt(0)
	v_add_nc_u32_e32 v8, v8, v4
	s_or_b32 exec_lo, exec_lo, s6
	s_and_saveexec_b32 s6, s2
	s_cbranch_execz .LBB142_68
.LBB142_72:                             ;   in Loop: Header=BB142_65 Depth=1
	ds_load_b32 v4, v5 offset:6160
	s_waitcnt lgkmcnt(0)
	v_add_nc_u32_e32 v8, v8, v4
	s_or_b32 exec_lo, exec_lo, s6
	s_delay_alu instid0(VALU_DEP_1)
	v_ashrrev_i32_e32 v9, 31, v8
	s_and_saveexec_b32 s6, s3
	s_cbranch_execz .LBB142_69
.LBB142_73:                             ;   in Loop: Header=BB142_65 Depth=1
	scratch_load_b128 v[12:15], off, off
	v_add3_u32 v4, v2, -1, v8
	s_delay_alu instid0(VALU_DEP_1) | instskip(SKIP_1) | instid1(VALU_DEP_2)
	v_lshlrev_b32_e32 v16, 4, v4
	v_lshl_add_u32 v4, v4, 3, 0
	v_add3_u32 v16, 0, v16, 0x800
	ds_store_b64 v4, v[6:7]
	s_waitcnt vmcnt(0)
	ds_store_2addr_b64 v16, v[12:13], v[14:15] offset1:1
	s_or_b32 exec_lo, exec_lo, s6
	s_and_saveexec_b32 s3, vcc_lo
	s_cbranch_execz .LBB142_64
.LBB142_74:                             ;   in Loop: Header=BB142_65 Depth=1
	ds_store_b64 v5, v[8:9] offset:6168
	s_branch .LBB142_64
.LBB142_75:
	s_or_b32 exec_lo, exec_lo, s4
	s_lshl_b64 s[0:1], s[26:27], 3
	v_mov_b32_e32 v1, 0
	s_add_u32 s0, s10, s0
	s_addc_u32 s1, s11, s1
	s_mov_b32 s6, exec_lo
	s_load_b128 s[0:3], s[0:1], 0x0
	s_waitcnt lgkmcnt(0)
	s_sub_u32 s4, s2, s0
	s_subb_u32 s5, s3, s1
	s_delay_alu instid0(SALU_CYCLE_1)
	v_cmpx_gt_i64_e64 s[4:5], v[0:1]
	s_cbranch_execz .LBB142_85
; %bb.76:
	s_sub_u32 s8, s0, s22
	s_subb_u32 s9, s1, 0
	s_and_b32 s6, s4, 7
	s_sub_u32 s0, s0, s2
	s_subb_u32 s1, s1, s3
	s_mov_b32 s7, 0
	v_cmp_lt_u64_e64 s12, s[0:1], -7
	s_and_b32 s2, s4, -8
	s_cmp_lg_u64 s[6:7], 0
	s_mov_b32 s3, s5
	s_cselect_b32 s13, -1, 0
	s_mov_b32 s14, s7
	s_branch .LBB142_78
.LBB142_77:                             ;   in Loop: Header=BB142_78 Depth=1
	s_waitcnt lgkmcnt(0)
	v_lshlrev_b32_e32 v2, 3, v0
	v_add_co_u32 v0, vcc_lo, 0x80, v0
	v_add_co_ci_u32_e32 v1, vcc_lo, 0, v1, vcc_lo
	s_delay_alu instid0(VALU_DEP_3) | instskip(NEXT) | instid1(VALU_DEP_2)
	v_add3_u32 v2, v6, v2, 0x800
	v_cmp_le_i64_e32 vcc_lo, s[4:5], v[0:1]
	ds_load_2addr_b64 v[6:9], v2 offset1:1
	v_lshlrev_b64 v[2:3], 4, v[4:5]
	s_or_b32 s14, vcc_lo, s14
	s_delay_alu instid0(VALU_DEP_1) | instskip(NEXT) | instid1(VALU_DEP_1)
	v_add_co_u32 v2, s0, s34, v2
	v_add_co_ci_u32_e64 v3, s0, s35, v3, s0
	s_waitcnt lgkmcnt(0)
	global_store_b128 v[2:3], v[6:9], off
	s_and_not1_b32 exec_lo, exec_lo, s14
	s_cbranch_execz .LBB142_85
.LBB142_78:                             ; =>This Loop Header: Depth=1
                                        ;     Child Loop BB142_80 Depth 2
                                        ;     Child Loop BB142_84 Depth 2
	v_lshl_add_u32 v6, v0, 3, 0
	v_dual_mov_b32 v4, s8 :: v_dual_mov_b32 v5, s9
	s_and_not1_b32 vcc_lo, exec_lo, s12
	s_mov_b64 s[0:1], 0
	ds_load_b64 v[2:3], v6
	s_cbranch_vccnz .LBB142_82
; %bb.79:                               ;   in Loop: Header=BB142_78 Depth=1
	v_dual_mov_b32 v4, s8 :: v_dual_mov_b32 v5, s9
	s_mov_b64 s[10:11], 0
	s_mov_b32 s1, 0
.LBB142_80:                             ;   Parent Loop BB142_78 Depth=1
                                        ; =>  This Inner Loop Header: Depth=2
	s_delay_alu instid0(SALU_CYCLE_1)
	v_mov_b32_e32 v19, s1
	s_add_u32 s10, s10, 8
	s_addc_u32 s11, s11, 0
	s_add_i32 s1, s1, 64
	s_cmp_eq_u64 s[2:3], s[10:11]
	ds_load_2addr_b64 v[7:10], v19 offset1:1
	ds_load_2addr_b64 v[11:14], v19 offset0:2 offset1:3
	ds_load_2addr_b64 v[15:18], v19 offset0:4 offset1:5
	;; [unrolled: 1-line block ×3, first 2 shown]
	s_waitcnt lgkmcnt(3)
	v_cmp_gt_i64_e32 vcc_lo, v[2:3], v[7:8]
	v_cndmask_b32_e64 v7, 0, 1, vcc_lo
	v_cmp_gt_i64_e32 vcc_lo, v[2:3], v[9:10]
	v_cndmask_b32_e64 v8, 0, 1, vcc_lo
	s_waitcnt lgkmcnt(2)
	v_cmp_gt_i64_e32 vcc_lo, v[2:3], v[11:12]
	v_cndmask_b32_e64 v9, 0, 1, vcc_lo
	v_cmp_gt_i64_e32 vcc_lo, v[2:3], v[13:14]
	v_cndmask_b32_e64 v10, 0, 1, vcc_lo
	s_waitcnt lgkmcnt(1)
	v_cmp_gt_i64_e32 vcc_lo, v[2:3], v[15:16]
	v_cndmask_b32_e64 v11, 0, 1, vcc_lo
	v_add_co_u32 v4, vcc_lo, v4, v7
	v_add_co_ci_u32_e32 v5, vcc_lo, 0, v5, vcc_lo
	v_cmp_gt_i64_e32 vcc_lo, v[2:3], v[17:18]
	s_delay_alu instid0(VALU_DEP_3) | instskip(NEXT) | instid1(VALU_DEP_1)
	v_add_co_u32 v4, s0, v4, v8
	v_add_co_ci_u32_e64 v5, s0, 0, v5, s0
	v_cndmask_b32_e64 v7, 0, 1, vcc_lo
	s_delay_alu instid0(VALU_DEP_3) | instskip(NEXT) | instid1(VALU_DEP_3)
	v_add_co_u32 v4, vcc_lo, v4, v9
	v_add_co_ci_u32_e32 v5, vcc_lo, 0, v5, vcc_lo
	s_waitcnt lgkmcnt(0)
	v_cmp_gt_i64_e32 vcc_lo, v[2:3], v[19:20]
	s_delay_alu instid0(VALU_DEP_3) | instskip(NEXT) | instid1(VALU_DEP_1)
	v_add_co_u32 v4, s0, v4, v10
	v_add_co_ci_u32_e64 v5, s0, 0, v5, s0
	v_cndmask_b32_e64 v8, 0, 1, vcc_lo
	s_delay_alu instid0(VALU_DEP_3) | instskip(NEXT) | instid1(VALU_DEP_3)
	v_add_co_u32 v4, vcc_lo, v4, v11
	v_add_co_ci_u32_e32 v5, vcc_lo, 0, v5, vcc_lo
	v_cmp_gt_i64_e32 vcc_lo, v[2:3], v[21:22]
	s_delay_alu instid0(VALU_DEP_3) | instskip(NEXT) | instid1(VALU_DEP_1)
	v_add_co_u32 v4, s0, v4, v7
	v_add_co_ci_u32_e64 v5, s0, 0, v5, s0
	v_cndmask_b32_e64 v7, 0, 1, vcc_lo
	s_delay_alu instid0(VALU_DEP_3) | instskip(NEXT) | instid1(VALU_DEP_3)
	v_add_co_u32 v4, vcc_lo, v4, v8
	v_add_co_ci_u32_e32 v5, vcc_lo, 0, v5, vcc_lo
	s_delay_alu instid0(VALU_DEP_2) | instskip(NEXT) | instid1(VALU_DEP_2)
	v_add_co_u32 v4, vcc_lo, v4, v7
	v_add_co_ci_u32_e32 v5, vcc_lo, 0, v5, vcc_lo
	s_cbranch_scc0 .LBB142_80
; %bb.81:                               ;   in Loop: Header=BB142_78 Depth=1
	s_mov_b64 s[0:1], s[2:3]
.LBB142_82:                             ;   in Loop: Header=BB142_78 Depth=1
	s_and_not1_b32 vcc_lo, exec_lo, s13
	s_cbranch_vccnz .LBB142_77
; %bb.83:                               ;   in Loop: Header=BB142_78 Depth=1
	s_lshl_b32 s0, s0, 3
	s_delay_alu instid0(SALU_CYCLE_1)
	s_add_i32 s10, s0, 0
	s_mov_b64 s[0:1], s[6:7]
.LBB142_84:                             ;   Parent Loop BB142_78 Depth=1
                                        ; =>  This Inner Loop Header: Depth=2
	v_mov_b32_e32 v7, s10
	s_add_i32 s10, s10, 8
	s_add_u32 s0, s0, -1
	s_addc_u32 s1, s1, -1
	s_delay_alu instid0(SALU_CYCLE_1) | instskip(SKIP_4) | instid1(VALU_DEP_1)
	s_cmp_lg_u64 s[0:1], 0
	ds_load_b64 v[7:8], v7
	s_waitcnt lgkmcnt(0)
	v_cmp_gt_i64_e32 vcc_lo, v[2:3], v[7:8]
	v_cndmask_b32_e64 v7, 0, 1, vcc_lo
	v_add_co_u32 v4, vcc_lo, v4, v7
	v_add_co_ci_u32_e32 v5, vcc_lo, 0, v5, vcc_lo
	s_cbranch_scc1 .LBB142_84
	s_branch .LBB142_77
.LBB142_85:
	s_nop 0
	s_sendmsg sendmsg(MSG_DEALLOC_VGPRS)
	s_endpgm
	.section	.rodata,"a",@progbits
	.p2align	6, 0x0
	.amdhsa_kernel _ZN9rocsparseL41csrgemm_numeric_fill_block_per_row_kernelILj128ELj16ELj256ELj137ELj32Ell21rocsparse_complex_numIdEEEvT5_PKS3_S5_NS_24const_host_device_scalarIT6_EEPKT4_S5_PKS7_SB_S5_SD_S8_SB_S5_SD_SB_S5_PS7_21rocsparse_index_base_SF_SF_SF_bbb
		.amdhsa_group_segment_fixed_size 0
		.amdhsa_private_segment_fixed_size 40
		.amdhsa_kernarg_size 172
		.amdhsa_user_sgpr_count 15
		.amdhsa_user_sgpr_dispatch_ptr 0
		.amdhsa_user_sgpr_queue_ptr 0
		.amdhsa_user_sgpr_kernarg_segment_ptr 1
		.amdhsa_user_sgpr_dispatch_id 0
		.amdhsa_user_sgpr_private_segment_size 0
		.amdhsa_wavefront_size32 1
		.amdhsa_uses_dynamic_stack 0
		.amdhsa_enable_private_segment 1
		.amdhsa_system_sgpr_workgroup_id_x 1
		.amdhsa_system_sgpr_workgroup_id_y 0
		.amdhsa_system_sgpr_workgroup_id_z 0
		.amdhsa_system_sgpr_workgroup_info 0
		.amdhsa_system_vgpr_workitem_id 0
		.amdhsa_next_free_vgpr 36
		.amdhsa_next_free_sgpr 44
		.amdhsa_reserve_vcc 1
		.amdhsa_float_round_mode_32 0
		.amdhsa_float_round_mode_16_64 0
		.amdhsa_float_denorm_mode_32 3
		.amdhsa_float_denorm_mode_16_64 3
		.amdhsa_dx10_clamp 1
		.amdhsa_ieee_mode 1
		.amdhsa_fp16_overflow 0
		.amdhsa_workgroup_processor_mode 1
		.amdhsa_memory_ordered 1
		.amdhsa_forward_progress 0
		.amdhsa_shared_vgpr_count 0
		.amdhsa_exception_fp_ieee_invalid_op 0
		.amdhsa_exception_fp_denorm_src 0
		.amdhsa_exception_fp_ieee_div_zero 0
		.amdhsa_exception_fp_ieee_overflow 0
		.amdhsa_exception_fp_ieee_underflow 0
		.amdhsa_exception_fp_ieee_inexact 0
		.amdhsa_exception_int_div_zero 0
	.end_amdhsa_kernel
	.section	.text._ZN9rocsparseL41csrgemm_numeric_fill_block_per_row_kernelILj128ELj16ELj256ELj137ELj32Ell21rocsparse_complex_numIdEEEvT5_PKS3_S5_NS_24const_host_device_scalarIT6_EEPKT4_S5_PKS7_SB_S5_SD_S8_SB_S5_SD_SB_S5_PS7_21rocsparse_index_base_SF_SF_SF_bbb,"axG",@progbits,_ZN9rocsparseL41csrgemm_numeric_fill_block_per_row_kernelILj128ELj16ELj256ELj137ELj32Ell21rocsparse_complex_numIdEEEvT5_PKS3_S5_NS_24const_host_device_scalarIT6_EEPKT4_S5_PKS7_SB_S5_SD_S8_SB_S5_SD_SB_S5_PS7_21rocsparse_index_base_SF_SF_SF_bbb,comdat
.Lfunc_end142:
	.size	_ZN9rocsparseL41csrgemm_numeric_fill_block_per_row_kernelILj128ELj16ELj256ELj137ELj32Ell21rocsparse_complex_numIdEEEvT5_PKS3_S5_NS_24const_host_device_scalarIT6_EEPKT4_S5_PKS7_SB_S5_SD_S8_SB_S5_SD_SB_S5_PS7_21rocsparse_index_base_SF_SF_SF_bbb, .Lfunc_end142-_ZN9rocsparseL41csrgemm_numeric_fill_block_per_row_kernelILj128ELj16ELj256ELj137ELj32Ell21rocsparse_complex_numIdEEEvT5_PKS3_S5_NS_24const_host_device_scalarIT6_EEPKT4_S5_PKS7_SB_S5_SD_S8_SB_S5_SD_SB_S5_PS7_21rocsparse_index_base_SF_SF_SF_bbb
                                        ; -- End function
	.section	.AMDGPU.csdata,"",@progbits
; Kernel info:
; codeLenInByte = 3820
; NumSgprs: 46
; NumVgprs: 36
; ScratchSize: 40
; MemoryBound: 0
; FloatMode: 240
; IeeeMode: 1
; LDSByteSize: 0 bytes/workgroup (compile time only)
; SGPRBlocks: 5
; VGPRBlocks: 4
; NumSGPRsForWavesPerEU: 46
; NumVGPRsForWavesPerEU: 36
; Occupancy: 16
; WaveLimiterHint : 1
; COMPUTE_PGM_RSRC2:SCRATCH_EN: 1
; COMPUTE_PGM_RSRC2:USER_SGPR: 15
; COMPUTE_PGM_RSRC2:TRAP_HANDLER: 0
; COMPUTE_PGM_RSRC2:TGID_X_EN: 1
; COMPUTE_PGM_RSRC2:TGID_Y_EN: 0
; COMPUTE_PGM_RSRC2:TGID_Z_EN: 0
; COMPUTE_PGM_RSRC2:TIDIG_COMP_CNT: 0
	.section	.text._ZN9rocsparseL41csrgemm_numeric_fill_block_per_row_kernelILj128ELj16ELj256ELj137ELj64Ell21rocsparse_complex_numIdEEEvT5_PKS3_S5_NS_24const_host_device_scalarIT6_EEPKT4_S5_PKS7_SB_S5_SD_S8_SB_S5_SD_SB_S5_PS7_21rocsparse_index_base_SF_SF_SF_bbb,"axG",@progbits,_ZN9rocsparseL41csrgemm_numeric_fill_block_per_row_kernelILj128ELj16ELj256ELj137ELj64Ell21rocsparse_complex_numIdEEEvT5_PKS3_S5_NS_24const_host_device_scalarIT6_EEPKT4_S5_PKS7_SB_S5_SD_S8_SB_S5_SD_SB_S5_PS7_21rocsparse_index_base_SF_SF_SF_bbb,comdat
	.globl	_ZN9rocsparseL41csrgemm_numeric_fill_block_per_row_kernelILj128ELj16ELj256ELj137ELj64Ell21rocsparse_complex_numIdEEEvT5_PKS3_S5_NS_24const_host_device_scalarIT6_EEPKT4_S5_PKS7_SB_S5_SD_S8_SB_S5_SD_SB_S5_PS7_21rocsparse_index_base_SF_SF_SF_bbb ; -- Begin function _ZN9rocsparseL41csrgemm_numeric_fill_block_per_row_kernelILj128ELj16ELj256ELj137ELj64Ell21rocsparse_complex_numIdEEEvT5_PKS3_S5_NS_24const_host_device_scalarIT6_EEPKT4_S5_PKS7_SB_S5_SD_S8_SB_S5_SD_SB_S5_PS7_21rocsparse_index_base_SF_SF_SF_bbb
	.p2align	8
	.type	_ZN9rocsparseL41csrgemm_numeric_fill_block_per_row_kernelILj128ELj16ELj256ELj137ELj64Ell21rocsparse_complex_numIdEEEvT5_PKS3_S5_NS_24const_host_device_scalarIT6_EEPKT4_S5_PKS7_SB_S5_SD_S8_SB_S5_SD_SB_S5_PS7_21rocsparse_index_base_SF_SF_SF_bbb,@function
_ZN9rocsparseL41csrgemm_numeric_fill_block_per_row_kernelILj128ELj16ELj256ELj137ELj64Ell21rocsparse_complex_numIdEEEvT5_PKS3_S5_NS_24const_host_device_scalarIT6_EEPKT4_S5_PKS7_SB_S5_SD_S8_SB_S5_SD_SB_S5_PS7_21rocsparse_index_base_SF_SF_SF_bbb: ; @_ZN9rocsparseL41csrgemm_numeric_fill_block_per_row_kernelILj128ELj16ELj256ELj137ELj64Ell21rocsparse_complex_numIdEEEvT5_PKS3_S5_NS_24const_host_device_scalarIT6_EEPKT4_S5_PKS7_SB_S5_SD_S8_SB_S5_SD_SB_S5_PS7_21rocsparse_index_base_SF_SF_SF_bbb
; %bb.0:
	s_clause 0x2
	s_load_b32 s12, s[0:1], 0xa8
	s_load_b128 s[8:11], s[0:1], 0x18
	s_load_b128 s[4:7], s[0:1], 0x58
	v_mov_b32_e32 v1, 0
	v_mov_b32_e32 v2, 0
	s_mov_b32 s36, s15
	s_waitcnt lgkmcnt(0)
	s_bitcmp1_b32 s12, 0
	v_mov_b32_e32 v3, s8
	s_cselect_b32 s40, -1, 0
	s_bitcmp1_b32 s12, 16
	v_dual_mov_b32 v6, v2 :: v_dual_mov_b32 v5, v1
	s_cselect_b32 s2, -1, 0
	v_mov_b32_e32 v4, s9
	s_xor_b32 s3, s2, -1
	v_dual_mov_b32 v10, s5 :: v_dual_mov_b32 v9, s4
	v_cndmask_b32_e64 v7, 0, 1, s3
	s_bitcmp0_b32 s12, 0
	s_clause 0x1
	scratch_store_b64 off, v[3:4], off offset:16
	scratch_store_b64 off, v[9:10], off offset:24
	v_cmp_ne_u32_e32 vcc_lo, 1, v7
	v_dual_mov_b32 v8, v2 :: v_dual_mov_b32 v7, v1
	s_cbranch_scc1 .LBB143_3
; %bb.1:
	s_mov_b64 s[14:15], src_private_base
	s_and_b32 s13, s2, exec_lo
	s_cselect_b32 s13, s15, s9
	s_delay_alu instid0(SALU_CYCLE_1) | instskip(SKIP_2) | instid1(VALU_DEP_2)
	v_dual_mov_b32 v3, 16 :: v_dual_mov_b32 v4, s13
	v_dual_mov_b32 v7, s10 :: v_dual_mov_b32 v8, s11
	s_and_b32 vcc_lo, exec_lo, vcc_lo
	v_cndmask_b32_e64 v3, s8, v3, s2
	flat_load_b64 v[5:6], v[3:4]
	s_cbranch_vccnz .LBB143_3
; %bb.2:
	v_dual_mov_b32 v3, s8 :: v_dual_mov_b32 v4, s9
	flat_load_b64 v[7:8], v[3:4] offset:8
.LBB143_3:
	s_load_b128 s[20:23], s[0:1], 0x98
	s_bitcmp1_b32 s12, 8
	v_dual_mov_b32 v4, v2 :: v_dual_mov_b32 v3, v1
	s_cselect_b32 s33, -1, 0
	s_bfe_u32 s8, s12, 0x10008
	s_delay_alu instid0(SALU_CYCLE_1)
	s_cmp_eq_u32 s8, 0
	s_cbranch_scc1 .LBB143_6
; %bb.4:
	s_mov_b64 s[8:9], src_private_base
	s_and_b32 s8, s2, exec_lo
	s_cselect_b32 s8, s9, s5
	s_delay_alu instid0(SALU_CYCLE_1) | instskip(SKIP_1) | instid1(VALU_DEP_1)
	v_dual_mov_b32 v1, 24 :: v_dual_mov_b32 v2, s8
	s_and_not1_b32 vcc_lo, exec_lo, s3
	v_cndmask_b32_e64 v1, s4, v1, s2
	flat_load_b64 v[3:4], v[1:2]
	v_dual_mov_b32 v1, s6 :: v_dual_mov_b32 v2, s7
	s_cbranch_vccnz .LBB143_6
; %bb.5:
	v_dual_mov_b32 v1, s4 :: v_dual_mov_b32 v2, s5
	flat_load_b64 v[1:2], v[1:2] offset:8
.LBB143_6:
	s_clause 0x5
	s_load_b64 s[34:35], s[0:1], 0x90
	s_load_b256 s[4:11], s[0:1], 0x68
	s_load_b128 s[28:31], s[0:1], 0x48
	s_load_b128 s[24:27], s[0:1], 0x0
	s_load_b64 s[2:3], s[0:1], 0x10
	s_load_b256 s[12:19], s[0:1], 0x28
	v_cmp_gt_u32_e64 s0, 0x100, v0
	v_lshlrev_b32_e32 v29, 4, v0
	v_or_b32_e32 v27, 0xffffff80, v0
	v_lshl_add_u32 v28, v0, 3, 0
	s_delay_alu instid0(VALU_DEP_4)
	s_and_saveexec_b32 s1, s0
	s_cbranch_execz .LBB143_9
; %bb.7:
	s_mov_b32 s38, 0
	v_add3_u32 v15, v29, 0, 0x800
	s_mov_b32 s39, s38
	s_mov_b32 s42, s38
	;; [unrolled: 1-line block ×3, first 2 shown]
	v_or_b32_e32 v16, 0xffffff80, v0
	v_lshl_add_u32 v17, v0, 3, 0
	s_waitcnt lgkmcnt(0)
	v_dual_mov_b32 v9, s24 :: v_dual_mov_b32 v10, s25
	v_dual_mov_b32 v11, s38 :: v_dual_mov_b32 v12, s39
	;; [unrolled: 1-line block ×3, first 2 shown]
.LBB143_8:                              ; =>This Inner Loop Header: Depth=1
	v_add_co_u32 v16, s37, 0x80, v16
	s_delay_alu instid0(VALU_DEP_1)
	s_xor_b32 s37, s37, -1
	ds_store_b64 v17, v[9:10]
	ds_store_2addr_b64 v15, v[11:12], v[13:14] offset1:1
	v_add_nc_u32_e32 v15, 0x800, v15
	v_add_nc_u32_e32 v17, 0x400, v17
	s_and_b32 s37, exec_lo, s37
	s_delay_alu instid0(SALU_CYCLE_1) | instskip(NEXT) | instid1(SALU_CYCLE_1)
	s_or_b32 s38, s37, s38
	s_and_not1_b32 exec_lo, exec_lo, s38
	s_cbranch_execnz .LBB143_8
.LBB143_9:
	s_or_b32 exec_lo, exec_lo, s1
	s_waitcnt vmcnt(0) lgkmcnt(0)
	s_waitcnt_vscnt null, 0x0
	s_barrier
	buffer_gl0_inv
	s_load_b64 s[26:27], s[26:27], 0x0
	s_mov_b32 s37, 0
	s_waitcnt lgkmcnt(0)
	s_lshl_b64 s[26:27], s[26:27], 3
	s_delay_alu instid0(SALU_CYCLE_1) | instskip(SKIP_2) | instid1(SALU_CYCLE_1)
	s_add_u32 s1, s2, s26
	s_addc_u32 s26, s3, s27
	s_lshl_b64 s[2:3], s[36:37], 3
	s_add_u32 s2, s1, s2
	s_addc_u32 s3, s26, s3
	s_and_b32 vcc_lo, exec_lo, s40
	s_load_b64 s[26:27], s[2:3], 0x0
	s_cbranch_vccz .LBB143_37
; %bb.10:
	s_waitcnt lgkmcnt(0)
	s_lshl_b64 s[2:3], s[26:27], 3
	v_lshrrev_b32_e32 v9, 4, v0
	s_add_u32 s2, s12, s2
	s_addc_u32 s3, s13, s3
	s_load_b128 s[36:39], s[2:3], 0x0
	s_delay_alu instid0(VALU_DEP_1) | instskip(NEXT) | instid1(VALU_DEP_1)
	v_sub_co_u32 v9, s1, v9, s20
	v_sub_co_ci_u32_e64 v10, null, 0, 0, s1
	s_mov_b32 s1, exec_lo
	s_waitcnt lgkmcnt(0)
	s_delay_alu instid0(VALU_DEP_2) | instskip(NEXT) | instid1(VALU_DEP_2)
	v_add_co_u32 v9, vcc_lo, s36, v9
	v_add_co_ci_u32_e32 v10, vcc_lo, s37, v10, vcc_lo
	s_sub_u32 s2, s38, s20
	s_subb_u32 s3, s39, 0
	s_delay_alu instid0(VALU_DEP_1) | instid1(SALU_CYCLE_1)
	v_cmpx_gt_i64_e64 s[2:3], v[9:10]
	s_cbranch_execz .LBB143_36
; %bb.11:
	v_and_b32_e32 v11, 15, v0
	s_mov_b32 s13, s21
	s_delay_alu instid0(VALU_DEP_1) | instskip(NEXT) | instid1(VALU_DEP_1)
	v_sub_co_u32 v30, s12, v11, s21
	v_sub_co_ci_u32_e64 v31, null, 0, 0, s12
	s_mov_b32 s12, 0
	s_branch .LBB143_13
.LBB143_12:                             ;   in Loop: Header=BB143_13 Depth=1
	s_or_b32 exec_lo, exec_lo, s21
	v_add_co_u32 v9, vcc_lo, v9, 8
	v_add_co_ci_u32_e32 v10, vcc_lo, 0, v10, vcc_lo
	s_delay_alu instid0(VALU_DEP_1) | instskip(SKIP_1) | instid1(SALU_CYCLE_1)
	v_cmp_le_i64_e32 vcc_lo, s[2:3], v[9:10]
	s_or_b32 s12, vcc_lo, s12
	s_and_not1_b32 exec_lo, exec_lo, s12
	s_cbranch_execz .LBB143_36
.LBB143_13:                             ; =>This Loop Header: Depth=1
                                        ;     Child Loop BB143_16 Depth 2
                                        ;       Child Loop BB143_18 Depth 3
                                        ;         Child Loop BB143_24 Depth 4
                                        ;         Child Loop BB143_26 Depth 4
	;; [unrolled: 1-line block ×4, first 2 shown]
	v_lshlrev_b64 v[11:12], 3, v[9:10]
	s_mov_b32 s21, exec_lo
	s_delay_alu instid0(VALU_DEP_1) | instskip(NEXT) | instid1(VALU_DEP_2)
	v_add_co_u32 v11, vcc_lo, s14, v11
	v_add_co_ci_u32_e32 v12, vcc_lo, s15, v12, vcc_lo
	global_load_b64 v[11:12], v[11:12], off
	s_waitcnt vmcnt(0)
	v_sub_co_u32 v11, vcc_lo, v11, s20
	v_subrev_co_ci_u32_e32 v12, vcc_lo, 0, v12, vcc_lo
	s_delay_alu instid0(VALU_DEP_1) | instskip(NEXT) | instid1(VALU_DEP_1)
	v_lshlrev_b64 v[11:12], 3, v[11:12]
	v_add_co_u32 v11, vcc_lo, s18, v11
	s_delay_alu instid0(VALU_DEP_2)
	v_add_co_ci_u32_e32 v12, vcc_lo, s19, v12, vcc_lo
	global_load_b128 v[13:16], v[11:12], off
	s_waitcnt vmcnt(0)
	v_sub_co_u32 v11, vcc_lo, v15, s13
	v_subrev_co_ci_u32_e32 v12, vcc_lo, 0, v16, vcc_lo
	v_add_co_u32 v13, vcc_lo, v13, v30
	v_add_co_ci_u32_e32 v14, vcc_lo, v14, v31, vcc_lo
	s_delay_alu instid0(VALU_DEP_1)
	v_cmpx_lt_i64_e64 v[13:14], v[11:12]
	s_cbranch_execz .LBB143_12
; %bb.14:                               ;   in Loop: Header=BB143_13 Depth=1
	v_lshlrev_b64 v[15:16], 4, v[9:10]
	s_mov_b32 s36, 0
	s_delay_alu instid0(VALU_DEP_1) | instskip(NEXT) | instid1(VALU_DEP_2)
	v_add_co_u32 v15, vcc_lo, s16, v15
	v_add_co_ci_u32_e32 v16, vcc_lo, s17, v16, vcc_lo
	global_load_b128 v[17:20], v[15:16], off
	s_waitcnt vmcnt(0)
	v_mul_f64 v[15:16], v[19:20], -v[7:8]
	v_mul_f64 v[19:20], v[5:6], v[19:20]
	s_delay_alu instid0(VALU_DEP_2) | instskip(NEXT) | instid1(VALU_DEP_2)
	v_fma_f64 v[15:16], v[5:6], v[17:18], v[15:16]
	v_fma_f64 v[17:18], v[7:8], v[17:18], v[19:20]
	s_branch .LBB143_16
.LBB143_15:                             ;   in Loop: Header=BB143_16 Depth=2
	s_or_b32 exec_lo, exec_lo, s37
	v_add_co_u32 v13, vcc_lo, v13, 16
	v_add_co_ci_u32_e32 v14, vcc_lo, 0, v14, vcc_lo
	s_delay_alu instid0(VALU_DEP_1) | instskip(SKIP_1) | instid1(SALU_CYCLE_1)
	v_cmp_ge_i64_e32 vcc_lo, v[13:14], v[11:12]
	s_or_b32 s36, vcc_lo, s36
	s_and_not1_b32 exec_lo, exec_lo, s36
	s_cbranch_execz .LBB143_12
.LBB143_16:                             ;   Parent Loop BB143_13 Depth=1
                                        ; =>  This Loop Header: Depth=2
                                        ;       Child Loop BB143_18 Depth 3
                                        ;         Child Loop BB143_24 Depth 4
                                        ;         Child Loop BB143_26 Depth 4
	;; [unrolled: 1-line block ×4, first 2 shown]
	v_lshlrev_b64 v[19:20], 4, v[13:14]
	s_mov_b32 s37, 0
	s_delay_alu instid0(VALU_DEP_1) | instskip(NEXT) | instid1(VALU_DEP_2)
	v_add_co_u32 v19, vcc_lo, s30, v19
	v_add_co_ci_u32_e32 v20, vcc_lo, s31, v20, vcc_lo
	global_load_b128 v[21:24], v[19:20], off
	v_lshlrev_b64 v[19:20], 3, v[13:14]
	s_delay_alu instid0(VALU_DEP_1) | instskip(NEXT) | instid1(VALU_DEP_2)
	v_add_co_u32 v19, vcc_lo, s28, v19
	v_add_co_ci_u32_e32 v20, vcc_lo, s29, v20, vcc_lo
	global_load_b64 v[25:26], v[19:20], off
	s_waitcnt vmcnt(1)
	v_mul_f64 v[19:20], v[23:24], -v[17:18]
	v_mul_f64 v[23:24], v[15:16], v[23:24]
	s_delay_alu instid0(VALU_DEP_2) | instskip(NEXT) | instid1(VALU_DEP_2)
	v_fma_f64 v[19:20], v[15:16], v[21:22], v[19:20]
	v_fma_f64 v[21:22], v[17:18], v[21:22], v[23:24]
	s_waitcnt vmcnt(0)
	v_sub_co_u32 v23, vcc_lo, v25, s13
	v_subrev_co_ci_u32_e32 v24, vcc_lo, 0, v26, vcc_lo
	s_delay_alu instid0(VALU_DEP_2) | instskip(NEXT) | instid1(VALU_DEP_1)
	v_mul_lo_u32 v25, 0x89, v23
	v_and_b32_e32 v32, 0xff, v25
	s_branch .LBB143_18
.LBB143_17:                             ;   in Loop: Header=BB143_18 Depth=3
	s_or_b32 exec_lo, exec_lo, s38
	s_xor_b32 s38, s39, -1
	s_delay_alu instid0(SALU_CYCLE_1) | instskip(NEXT) | instid1(SALU_CYCLE_1)
	s_and_b32 s38, exec_lo, s38
	s_or_b32 s37, s38, s37
	s_delay_alu instid0(SALU_CYCLE_1)
	s_and_not1_b32 exec_lo, exec_lo, s37
	s_cbranch_execz .LBB143_15
.LBB143_18:                             ;   Parent Loop BB143_13 Depth=1
                                        ;     Parent Loop BB143_16 Depth=2
                                        ; =>    This Loop Header: Depth=3
                                        ;         Child Loop BB143_24 Depth 4
                                        ;         Child Loop BB143_26 Depth 4
	;; [unrolled: 1-line block ×4, first 2 shown]
	s_delay_alu instid0(VALU_DEP_1)
	v_lshl_add_u32 v33, v32, 3, 0
	s_mov_b32 s38, exec_lo
                                        ; implicit-def: $sgpr39
	ds_load_b64 v[25:26], v33
	s_waitcnt lgkmcnt(0)
	v_cmpx_ne_u64_e64 v[25:26], v[23:24]
	s_xor_b32 s38, exec_lo, s38
	s_cbranch_execz .LBB143_30
; %bb.19:                               ;   in Loop: Header=BB143_18 Depth=3
	s_mov_b32 s40, exec_lo
                                        ; implicit-def: $sgpr39
	v_cmpx_ne_u64_e64 s[24:25], v[25:26]
	s_xor_b32 s40, exec_lo, s40
; %bb.20:                               ;   in Loop: Header=BB143_18 Depth=3
	v_add_nc_u32_e32 v25, 1, v32
	s_mov_b32 s39, -1
                                        ; implicit-def: $vgpr33
	s_delay_alu instid0(VALU_DEP_1)
	v_and_b32_e32 v32, 0xff, v25
; %bb.21:                               ;   in Loop: Header=BB143_18 Depth=3
	s_and_not1_saveexec_b32 s40, s40
	s_cbranch_execz .LBB143_29
; %bb.22:                               ;   in Loop: Header=BB143_18 Depth=3
	v_dual_mov_b32 v26, s25 :: v_dual_mov_b32 v25, s24
	s_mov_b32 s42, -1
	s_mov_b32 s41, exec_lo
	ds_cmpstore_rtn_b64 v[25:26], v33, v[23:24], v[25:26]
	s_waitcnt lgkmcnt(0)
	v_cmpx_eq_u64_e64 s[24:25], v[25:26]
	s_cbranch_execz .LBB143_28
; %bb.23:                               ;   in Loop: Header=BB143_18 Depth=3
	v_lshlrev_b32_e32 v25, 3, v32
	s_mov_b32 s42, 0
	s_delay_alu instid0(VALU_DEP_1)
	v_add_nc_u32_e32 v33, v33, v25
	ds_load_b64 v[25:26], v33 offset:2048
.LBB143_24:                             ;   Parent Loop BB143_13 Depth=1
                                        ;     Parent Loop BB143_16 Depth=2
                                        ;       Parent Loop BB143_18 Depth=3
                                        ; =>      This Inner Loop Header: Depth=4
	s_waitcnt lgkmcnt(0)
	v_add_f64 v[34:35], v[25:26], v[19:20]
	ds_cmpstore_rtn_b64 v[34:35], v33, v[34:35], v[25:26] offset:2048
	s_waitcnt lgkmcnt(0)
	v_cmp_eq_u64_e32 vcc_lo, v[34:35], v[25:26]
	v_dual_mov_b32 v25, v34 :: v_dual_mov_b32 v26, v35
	s_or_b32 s42, vcc_lo, s42
	s_delay_alu instid0(SALU_CYCLE_1)
	s_and_not1_b32 exec_lo, exec_lo, s42
	s_cbranch_execnz .LBB143_24
; %bb.25:                               ;   in Loop: Header=BB143_18 Depth=3
	s_or_b32 exec_lo, exec_lo, s42
	ds_load_b64 v[25:26], v33 offset:2056
	s_mov_b32 s42, 0
.LBB143_26:                             ;   Parent Loop BB143_13 Depth=1
                                        ;     Parent Loop BB143_16 Depth=2
                                        ;       Parent Loop BB143_18 Depth=3
                                        ; =>      This Inner Loop Header: Depth=4
	s_waitcnt lgkmcnt(0)
	v_add_f64 v[34:35], v[25:26], v[21:22]
	ds_cmpstore_rtn_b64 v[34:35], v33, v[34:35], v[25:26] offset:2056
	s_waitcnt lgkmcnt(0)
	v_cmp_eq_u64_e32 vcc_lo, v[34:35], v[25:26]
	v_dual_mov_b32 v25, v34 :: v_dual_mov_b32 v26, v35
	s_or_b32 s42, vcc_lo, s42
	s_delay_alu instid0(SALU_CYCLE_1)
	s_and_not1_b32 exec_lo, exec_lo, s42
	s_cbranch_execnz .LBB143_26
; %bb.27:                               ;   in Loop: Header=BB143_18 Depth=3
	s_or_b32 exec_lo, exec_lo, s42
	s_delay_alu instid0(SALU_CYCLE_1)
	s_xor_b32 s42, exec_lo, -1
.LBB143_28:                             ;   in Loop: Header=BB143_18 Depth=3
	s_or_b32 exec_lo, exec_lo, s41
	s_delay_alu instid0(SALU_CYCLE_1) | instskip(SKIP_1) | instid1(SALU_CYCLE_1)
	s_and_not1_b32 s39, s39, exec_lo
	s_and_b32 s41, s42, exec_lo
	s_or_b32 s39, s39, s41
.LBB143_29:                             ;   in Loop: Header=BB143_18 Depth=3
	s_or_b32 exec_lo, exec_lo, s40
	s_delay_alu instid0(SALU_CYCLE_1)
	s_and_b32 s39, s39, exec_lo
                                        ; implicit-def: $vgpr33
.LBB143_30:                             ;   in Loop: Header=BB143_18 Depth=3
	s_and_not1_saveexec_b32 s38, s38
	s_cbranch_execz .LBB143_17
; %bb.31:                               ;   in Loop: Header=BB143_18 Depth=3
	v_lshlrev_b32_e32 v25, 3, v32
	s_mov_b32 s40, 0
	s_delay_alu instid0(VALU_DEP_1)
	v_add_nc_u32_e32 v33, v33, v25
	ds_load_b64 v[25:26], v33 offset:2048
.LBB143_32:                             ;   Parent Loop BB143_13 Depth=1
                                        ;     Parent Loop BB143_16 Depth=2
                                        ;       Parent Loop BB143_18 Depth=3
                                        ; =>      This Inner Loop Header: Depth=4
	s_waitcnt lgkmcnt(0)
	v_add_f64 v[34:35], v[25:26], v[19:20]
	ds_cmpstore_rtn_b64 v[34:35], v33, v[34:35], v[25:26] offset:2048
	s_waitcnt lgkmcnt(0)
	v_cmp_eq_u64_e32 vcc_lo, v[34:35], v[25:26]
	v_dual_mov_b32 v25, v34 :: v_dual_mov_b32 v26, v35
	s_or_b32 s40, vcc_lo, s40
	s_delay_alu instid0(SALU_CYCLE_1)
	s_and_not1_b32 exec_lo, exec_lo, s40
	s_cbranch_execnz .LBB143_32
; %bb.33:                               ;   in Loop: Header=BB143_18 Depth=3
	s_or_b32 exec_lo, exec_lo, s40
	ds_load_b64 v[25:26], v33 offset:2056
	s_mov_b32 s40, 0
.LBB143_34:                             ;   Parent Loop BB143_13 Depth=1
                                        ;     Parent Loop BB143_16 Depth=2
                                        ;       Parent Loop BB143_18 Depth=3
                                        ; =>      This Inner Loop Header: Depth=4
	s_waitcnt lgkmcnt(0)
	v_add_f64 v[34:35], v[25:26], v[21:22]
	ds_cmpstore_rtn_b64 v[34:35], v33, v[34:35], v[25:26] offset:2056
	s_waitcnt lgkmcnt(0)
	v_cmp_eq_u64_e32 vcc_lo, v[34:35], v[25:26]
	v_dual_mov_b32 v25, v34 :: v_dual_mov_b32 v26, v35
	s_or_b32 s40, vcc_lo, s40
	s_delay_alu instid0(SALU_CYCLE_1)
	s_and_not1_b32 exec_lo, exec_lo, s40
	s_cbranch_execnz .LBB143_34
; %bb.35:                               ;   in Loop: Header=BB143_18 Depth=3
	s_or_b32 exec_lo, exec_lo, s40
	s_delay_alu instid0(SALU_CYCLE_1)
	s_and_not1_b32 s39, s39, exec_lo
	s_branch .LBB143_17
.LBB143_36:
	s_or_b32 exec_lo, exec_lo, s1
.LBB143_37:
	s_delay_alu instid0(SALU_CYCLE_1)
	s_and_not1_b32 vcc_lo, exec_lo, s33
	s_cbranch_vccnz .LBB143_62
; %bb.38:
	s_waitcnt lgkmcnt(0)
	s_lshl_b64 s[2:3], s[26:27], 3
	v_sub_co_u32 v5, s1, v0, s23
	s_add_u32 s2, s4, s2
	s_addc_u32 s3, s5, s3
	v_sub_co_ci_u32_e64 v6, null, 0, 0, s1
	s_load_b128 s[12:15], s[2:3], 0x0
	s_mov_b32 s1, 0
	s_mov_b32 s4, exec_lo
	s_waitcnt lgkmcnt(0)
	v_add_co_u32 v5, vcc_lo, s12, v5
	v_add_co_ci_u32_e32 v6, vcc_lo, s13, v6, vcc_lo
	s_sub_u32 s2, s14, s23
	s_subb_u32 s3, s15, 0
	s_delay_alu instid0(VALU_DEP_1) | instid1(SALU_CYCLE_1)
	v_cmpx_gt_i64_e64 s[2:3], v[5:6]
	s_cbranch_execz .LBB143_61
; %bb.39:
	s_mov_b32 s5, s23
	s_branch .LBB143_41
.LBB143_40:                             ;   in Loop: Header=BB143_41 Depth=1
	s_or_b32 exec_lo, exec_lo, s12
	v_add_co_u32 v5, vcc_lo, 0x80, v5
	v_add_co_ci_u32_e32 v6, vcc_lo, 0, v6, vcc_lo
	s_delay_alu instid0(VALU_DEP_1) | instskip(SKIP_1) | instid1(SALU_CYCLE_1)
	v_cmp_le_i64_e32 vcc_lo, s[2:3], v[5:6]
	s_or_b32 s1, vcc_lo, s1
	s_and_not1_b32 exec_lo, exec_lo, s1
	s_cbranch_execz .LBB143_61
.LBB143_41:                             ; =>This Loop Header: Depth=1
                                        ;     Child Loop BB143_43 Depth 2
                                        ;       Child Loop BB143_49 Depth 3
                                        ;       Child Loop BB143_51 Depth 3
	;; [unrolled: 1-line block ×4, first 2 shown]
	v_lshlrev_b64 v[7:8], 4, v[5:6]
	s_mov_b32 s12, 0
	s_delay_alu instid0(VALU_DEP_1) | instskip(NEXT) | instid1(VALU_DEP_2)
	v_add_co_u32 v7, vcc_lo, s8, v7
	v_add_co_ci_u32_e32 v8, vcc_lo, s9, v8, vcc_lo
	global_load_b128 v[9:12], v[7:8], off
	v_lshlrev_b64 v[7:8], 3, v[5:6]
	s_delay_alu instid0(VALU_DEP_1) | instskip(NEXT) | instid1(VALU_DEP_2)
	v_add_co_u32 v7, vcc_lo, s6, v7
	v_add_co_ci_u32_e32 v8, vcc_lo, s7, v8, vcc_lo
	global_load_b64 v[13:14], v[7:8], off
	s_waitcnt vmcnt(1)
	v_mul_f64 v[7:8], v[11:12], -v[1:2]
	v_mul_f64 v[11:12], v[3:4], v[11:12]
	s_delay_alu instid0(VALU_DEP_2) | instskip(NEXT) | instid1(VALU_DEP_2)
	v_fma_f64 v[7:8], v[3:4], v[9:10], v[7:8]
	v_fma_f64 v[9:10], v[1:2], v[9:10], v[11:12]
	s_waitcnt vmcnt(0)
	v_sub_co_u32 v11, vcc_lo, v13, s5
	v_subrev_co_ci_u32_e32 v12, vcc_lo, 0, v14, vcc_lo
	s_delay_alu instid0(VALU_DEP_2) | instskip(NEXT) | instid1(VALU_DEP_1)
	v_mul_lo_u32 v13, 0x89, v11
	v_and_b32_e32 v15, 0xff, v13
	s_branch .LBB143_43
.LBB143_42:                             ;   in Loop: Header=BB143_43 Depth=2
	s_or_b32 exec_lo, exec_lo, s13
	s_xor_b32 s13, s14, -1
	s_delay_alu instid0(SALU_CYCLE_1) | instskip(NEXT) | instid1(SALU_CYCLE_1)
	s_and_b32 s13, exec_lo, s13
	s_or_b32 s12, s13, s12
	s_delay_alu instid0(SALU_CYCLE_1)
	s_and_not1_b32 exec_lo, exec_lo, s12
	s_cbranch_execz .LBB143_40
.LBB143_43:                             ;   Parent Loop BB143_41 Depth=1
                                        ; =>  This Loop Header: Depth=2
                                        ;       Child Loop BB143_49 Depth 3
                                        ;       Child Loop BB143_51 Depth 3
	;; [unrolled: 1-line block ×4, first 2 shown]
	s_delay_alu instid0(VALU_DEP_1)
	v_lshl_add_u32 v16, v15, 3, 0
	s_mov_b32 s13, exec_lo
                                        ; implicit-def: $sgpr14
	ds_load_b64 v[13:14], v16
	s_waitcnt lgkmcnt(0)
	v_cmpx_ne_u64_e64 v[13:14], v[11:12]
	s_xor_b32 s13, exec_lo, s13
	s_cbranch_execz .LBB143_55
; %bb.44:                               ;   in Loop: Header=BB143_43 Depth=2
	s_mov_b32 s15, exec_lo
                                        ; implicit-def: $sgpr14
	v_cmpx_ne_u64_e64 s[24:25], v[13:14]
	s_xor_b32 s15, exec_lo, s15
; %bb.45:                               ;   in Loop: Header=BB143_43 Depth=2
	v_add_nc_u32_e32 v13, 1, v15
	s_mov_b32 s14, -1
                                        ; implicit-def: $vgpr16
	s_delay_alu instid0(VALU_DEP_1)
	v_and_b32_e32 v15, 0xff, v13
; %bb.46:                               ;   in Loop: Header=BB143_43 Depth=2
	s_and_not1_saveexec_b32 s15, s15
	s_cbranch_execz .LBB143_54
; %bb.47:                               ;   in Loop: Header=BB143_43 Depth=2
	v_dual_mov_b32 v13, s24 :: v_dual_mov_b32 v14, s25
	s_mov_b32 s17, -1
	s_mov_b32 s16, exec_lo
	ds_cmpstore_rtn_b64 v[13:14], v16, v[11:12], v[13:14]
	s_waitcnt lgkmcnt(0)
	v_cmpx_eq_u64_e64 s[24:25], v[13:14]
	s_cbranch_execz .LBB143_53
; %bb.48:                               ;   in Loop: Header=BB143_43 Depth=2
	v_lshlrev_b32_e32 v13, 3, v15
	s_mov_b32 s17, 0
	s_delay_alu instid0(VALU_DEP_1)
	v_add_nc_u32_e32 v16, v16, v13
	ds_load_b64 v[13:14], v16 offset:2048
.LBB143_49:                             ;   Parent Loop BB143_41 Depth=1
                                        ;     Parent Loop BB143_43 Depth=2
                                        ; =>    This Inner Loop Header: Depth=3
	s_waitcnt lgkmcnt(0)
	v_add_f64 v[17:18], v[13:14], v[7:8]
	ds_cmpstore_rtn_b64 v[17:18], v16, v[17:18], v[13:14] offset:2048
	s_waitcnt lgkmcnt(0)
	v_cmp_eq_u64_e32 vcc_lo, v[17:18], v[13:14]
	v_dual_mov_b32 v13, v17 :: v_dual_mov_b32 v14, v18
	s_or_b32 s17, vcc_lo, s17
	s_delay_alu instid0(SALU_CYCLE_1)
	s_and_not1_b32 exec_lo, exec_lo, s17
	s_cbranch_execnz .LBB143_49
; %bb.50:                               ;   in Loop: Header=BB143_43 Depth=2
	s_or_b32 exec_lo, exec_lo, s17
	ds_load_b64 v[13:14], v16 offset:2056
	s_mov_b32 s17, 0
.LBB143_51:                             ;   Parent Loop BB143_41 Depth=1
                                        ;     Parent Loop BB143_43 Depth=2
                                        ; =>    This Inner Loop Header: Depth=3
	s_waitcnt lgkmcnt(0)
	v_add_f64 v[17:18], v[13:14], v[9:10]
	ds_cmpstore_rtn_b64 v[17:18], v16, v[17:18], v[13:14] offset:2056
	s_waitcnt lgkmcnt(0)
	v_cmp_eq_u64_e32 vcc_lo, v[17:18], v[13:14]
	v_dual_mov_b32 v13, v17 :: v_dual_mov_b32 v14, v18
	s_or_b32 s17, vcc_lo, s17
	s_delay_alu instid0(SALU_CYCLE_1)
	s_and_not1_b32 exec_lo, exec_lo, s17
	s_cbranch_execnz .LBB143_51
; %bb.52:                               ;   in Loop: Header=BB143_43 Depth=2
	s_or_b32 exec_lo, exec_lo, s17
	s_delay_alu instid0(SALU_CYCLE_1)
	s_xor_b32 s17, exec_lo, -1
.LBB143_53:                             ;   in Loop: Header=BB143_43 Depth=2
	s_or_b32 exec_lo, exec_lo, s16
	s_delay_alu instid0(SALU_CYCLE_1) | instskip(SKIP_1) | instid1(SALU_CYCLE_1)
	s_and_not1_b32 s14, s14, exec_lo
	s_and_b32 s16, s17, exec_lo
	s_or_b32 s14, s14, s16
.LBB143_54:                             ;   in Loop: Header=BB143_43 Depth=2
	s_or_b32 exec_lo, exec_lo, s15
	s_delay_alu instid0(SALU_CYCLE_1)
	s_and_b32 s14, s14, exec_lo
                                        ; implicit-def: $vgpr16
.LBB143_55:                             ;   in Loop: Header=BB143_43 Depth=2
	s_and_not1_saveexec_b32 s13, s13
	s_cbranch_execz .LBB143_42
; %bb.56:                               ;   in Loop: Header=BB143_43 Depth=2
	v_lshlrev_b32_e32 v13, 3, v15
	s_mov_b32 s15, 0
	s_delay_alu instid0(VALU_DEP_1)
	v_add_nc_u32_e32 v16, v16, v13
	ds_load_b64 v[13:14], v16 offset:2048
.LBB143_57:                             ;   Parent Loop BB143_41 Depth=1
                                        ;     Parent Loop BB143_43 Depth=2
                                        ; =>    This Inner Loop Header: Depth=3
	s_waitcnt lgkmcnt(0)
	v_add_f64 v[17:18], v[13:14], v[7:8]
	ds_cmpstore_rtn_b64 v[17:18], v16, v[17:18], v[13:14] offset:2048
	s_waitcnt lgkmcnt(0)
	v_cmp_eq_u64_e32 vcc_lo, v[17:18], v[13:14]
	v_dual_mov_b32 v13, v17 :: v_dual_mov_b32 v14, v18
	s_or_b32 s15, vcc_lo, s15
	s_delay_alu instid0(SALU_CYCLE_1)
	s_and_not1_b32 exec_lo, exec_lo, s15
	s_cbranch_execnz .LBB143_57
; %bb.58:                               ;   in Loop: Header=BB143_43 Depth=2
	s_or_b32 exec_lo, exec_lo, s15
	ds_load_b64 v[13:14], v16 offset:2056
	s_mov_b32 s15, 0
.LBB143_59:                             ;   Parent Loop BB143_41 Depth=1
                                        ;     Parent Loop BB143_43 Depth=2
                                        ; =>    This Inner Loop Header: Depth=3
	s_waitcnt lgkmcnt(0)
	v_add_f64 v[17:18], v[13:14], v[9:10]
	ds_cmpstore_rtn_b64 v[17:18], v16, v[17:18], v[13:14] offset:2056
	s_waitcnt lgkmcnt(0)
	v_cmp_eq_u64_e32 vcc_lo, v[17:18], v[13:14]
	v_dual_mov_b32 v13, v17 :: v_dual_mov_b32 v14, v18
	s_or_b32 s15, vcc_lo, s15
	s_delay_alu instid0(SALU_CYCLE_1)
	s_and_not1_b32 exec_lo, exec_lo, s15
	s_cbranch_execnz .LBB143_59
; %bb.60:                               ;   in Loop: Header=BB143_43 Depth=2
	s_or_b32 exec_lo, exec_lo, s15
	s_delay_alu instid0(SALU_CYCLE_1)
	s_and_not1_b32 s14, s14, exec_lo
	s_branch .LBB143_42
.LBB143_61:
	s_or_b32 exec_lo, exec_lo, s4
.LBB143_62:
	s_waitcnt lgkmcnt(0)
	s_barrier
	buffer_gl0_inv
	s_and_saveexec_b32 s3, s0
	s_cbranch_execz .LBB143_71
; %bb.63:
	v_mbcnt_lo_u32_b32 v1, -1, 0
	v_lshrrev_b32_e32 v2, 3, v0
	v_cmp_lt_u32_e32 vcc_lo, 63, v0
	v_cmp_eq_u32_e64 s0, 0x7f, v0
	v_add3_u32 v10, v29, 0, 0x800
	v_xor_b32_e32 v1, 63, v1
	v_and_b32_e32 v3, 8, v2
	v_mov_b32_e32 v5, 0
	s_mov_b32 s4, 0
	s_delay_alu instid0(VALU_DEP_3) | instskip(NEXT) | instid1(VALU_DEP_3)
	v_lshrrev_b64 v[1:2], v1, -1
	v_dual_mov_b32 v2, 0 :: v_dual_add_nc_u32 v11, 0, v3
	v_mov_b32_e32 v3, 0
	s_branch .LBB143_65
.LBB143_64:                             ;   in Loop: Header=BB143_65 Depth=1
	s_or_b32 exec_lo, exec_lo, s1
	s_waitcnt lgkmcnt(0)
	s_barrier
	buffer_gl0_inv
	ds_load_b64 v[6:7], v5 offset:6152
	v_add_co_u32 v27, s1, 0x80, v27
	s_delay_alu instid0(VALU_DEP_1) | instskip(SKIP_4) | instid1(VALU_DEP_1)
	s_xor_b32 s2, s1, -1
	v_add_nc_u32_e32 v10, 0x800, v10
	v_add_nc_u32_e32 v28, 0x400, v28
	s_waitcnt lgkmcnt(0)
	v_add_co_u32 v2, s1, v6, v2
	v_add_co_ci_u32_e64 v3, s1, v7, v3, s1
	s_and_b32 s1, exec_lo, s2
	s_delay_alu instid0(SALU_CYCLE_1) | instskip(NEXT) | instid1(SALU_CYCLE_1)
	s_or_b32 s4, s1, s4
	s_and_not1_b32 exec_lo, exec_lo, s4
	s_cbranch_execz .LBB143_71
.LBB143_65:                             ; =>This Inner Loop Header: Depth=1
	ds_load_b64 v[6:7], v28
	ds_load_2addr_b64 v[12:15], v10 offset1:1
	s_waitcnt lgkmcnt(1)
	v_cmp_gt_i64_e64 s1, s[24:25], v[6:7]
	s_waitcnt lgkmcnt(0)
	scratch_store_b128 off, v[12:15], off
	s_waitcnt_vscnt null, 0x0
	s_barrier
	buffer_gl0_inv
	v_and_b32_e32 v8, s1, v1
	s_bcnt1_i32_b32 s2, s1
	s_delay_alu instid0(SALU_CYCLE_1) | instskip(NEXT) | instid1(VALU_DEP_2)
	v_mov_b32_e32 v4, s2
	v_bcnt_u32_b32 v8, v8, 0
	ds_store_b64 v11, v[4:5] offset:6144
	s_waitcnt lgkmcnt(0)
	s_barrier
	buffer_gl0_inv
	s_and_saveexec_b32 s5, vcc_lo
	s_cbranch_execnz .LBB143_68
; %bb.66:                               ;   in Loop: Header=BB143_65 Depth=1
	s_or_b32 exec_lo, exec_lo, s5
	s_and_saveexec_b32 s2, s1
	s_cbranch_execnz .LBB143_69
.LBB143_67:                             ;   in Loop: Header=BB143_65 Depth=1
	s_or_b32 exec_lo, exec_lo, s2
	s_and_saveexec_b32 s1, s0
	s_cbranch_execz .LBB143_64
	s_branch .LBB143_70
.LBB143_68:                             ;   in Loop: Header=BB143_65 Depth=1
	ds_load_b64 v[12:13], v5 offset:6144
	s_waitcnt lgkmcnt(0)
	v_add_co_u32 v8, s2, v12, v8
	s_or_b32 exec_lo, exec_lo, s5
	s_and_saveexec_b32 s2, s1
	s_cbranch_execz .LBB143_67
.LBB143_69:                             ;   in Loop: Header=BB143_65 Depth=1
	scratch_load_b128 v[12:15], off, off
	v_add3_u32 v4, v2, -1, v8
	s_delay_alu instid0(VALU_DEP_1) | instskip(SKIP_1) | instid1(VALU_DEP_2)
	v_lshlrev_b32_e32 v9, 4, v4
	v_lshl_add_u32 v4, v4, 3, 0
	v_add3_u32 v9, 0, v9, 0x800
	ds_store_b64 v4, v[6:7]
	s_waitcnt vmcnt(0)
	ds_store_2addr_b64 v9, v[12:13], v[14:15] offset1:1
	s_or_b32 exec_lo, exec_lo, s2
	s_and_saveexec_b32 s1, s0
	s_cbranch_execz .LBB143_64
.LBB143_70:                             ;   in Loop: Header=BB143_65 Depth=1
	v_ashrrev_i32_e32 v9, 31, v8
	ds_store_b64 v5, v[8:9] offset:6152
	s_branch .LBB143_64
.LBB143_71:
	s_or_b32 exec_lo, exec_lo, s3
	s_lshl_b64 s[0:1], s[26:27], 3
	v_mov_b32_e32 v1, 0
	s_add_u32 s0, s10, s0
	s_addc_u32 s1, s11, s1
	s_mov_b32 s6, exec_lo
	s_load_b128 s[0:3], s[0:1], 0x0
	s_waitcnt lgkmcnt(0)
	s_sub_u32 s4, s2, s0
	s_subb_u32 s5, s3, s1
	s_delay_alu instid0(SALU_CYCLE_1)
	v_cmpx_gt_i64_e64 s[4:5], v[0:1]
	s_cbranch_execz .LBB143_81
; %bb.72:
	s_sub_u32 s8, s0, s22
	s_subb_u32 s9, s1, 0
	s_and_b32 s6, s4, 7
	s_sub_u32 s0, s0, s2
	s_subb_u32 s1, s1, s3
	s_mov_b32 s7, 0
	v_cmp_lt_u64_e64 s12, s[0:1], -7
	s_and_b32 s2, s4, -8
	s_cmp_lg_u64 s[6:7], 0
	s_mov_b32 s3, s5
	s_cselect_b32 s13, -1, 0
	s_mov_b32 s14, s7
	s_branch .LBB143_74
.LBB143_73:                             ;   in Loop: Header=BB143_74 Depth=1
	s_waitcnt lgkmcnt(0)
	v_lshlrev_b32_e32 v2, 3, v0
	v_add_co_u32 v0, vcc_lo, 0x80, v0
	v_add_co_ci_u32_e32 v1, vcc_lo, 0, v1, vcc_lo
	s_delay_alu instid0(VALU_DEP_3) | instskip(NEXT) | instid1(VALU_DEP_2)
	v_add3_u32 v2, v6, v2, 0x800
	v_cmp_le_i64_e32 vcc_lo, s[4:5], v[0:1]
	ds_load_2addr_b64 v[6:9], v2 offset1:1
	v_lshlrev_b64 v[2:3], 4, v[4:5]
	s_or_b32 s14, vcc_lo, s14
	s_delay_alu instid0(VALU_DEP_1) | instskip(NEXT) | instid1(VALU_DEP_1)
	v_add_co_u32 v2, s0, s34, v2
	v_add_co_ci_u32_e64 v3, s0, s35, v3, s0
	s_waitcnt lgkmcnt(0)
	global_store_b128 v[2:3], v[6:9], off
	s_and_not1_b32 exec_lo, exec_lo, s14
	s_cbranch_execz .LBB143_81
.LBB143_74:                             ; =>This Loop Header: Depth=1
                                        ;     Child Loop BB143_76 Depth 2
                                        ;     Child Loop BB143_80 Depth 2
	v_lshl_add_u32 v6, v0, 3, 0
	v_dual_mov_b32 v4, s8 :: v_dual_mov_b32 v5, s9
	s_and_not1_b32 vcc_lo, exec_lo, s12
	s_mov_b64 s[0:1], 0
	ds_load_b64 v[2:3], v6
	s_cbranch_vccnz .LBB143_78
; %bb.75:                               ;   in Loop: Header=BB143_74 Depth=1
	v_dual_mov_b32 v4, s8 :: v_dual_mov_b32 v5, s9
	s_mov_b64 s[10:11], 0
	s_mov_b32 s1, 0
.LBB143_76:                             ;   Parent Loop BB143_74 Depth=1
                                        ; =>  This Inner Loop Header: Depth=2
	s_delay_alu instid0(SALU_CYCLE_1)
	v_mov_b32_e32 v19, s1
	s_add_u32 s10, s10, 8
	s_addc_u32 s11, s11, 0
	s_add_i32 s1, s1, 64
	s_cmp_eq_u64 s[2:3], s[10:11]
	ds_load_2addr_b64 v[7:10], v19 offset1:1
	ds_load_2addr_b64 v[11:14], v19 offset0:2 offset1:3
	ds_load_2addr_b64 v[15:18], v19 offset0:4 offset1:5
	;; [unrolled: 1-line block ×3, first 2 shown]
	s_waitcnt lgkmcnt(3)
	v_cmp_gt_i64_e32 vcc_lo, v[2:3], v[7:8]
	v_cndmask_b32_e64 v7, 0, 1, vcc_lo
	v_cmp_gt_i64_e32 vcc_lo, v[2:3], v[9:10]
	v_cndmask_b32_e64 v8, 0, 1, vcc_lo
	s_waitcnt lgkmcnt(2)
	v_cmp_gt_i64_e32 vcc_lo, v[2:3], v[11:12]
	v_cndmask_b32_e64 v9, 0, 1, vcc_lo
	v_cmp_gt_i64_e32 vcc_lo, v[2:3], v[13:14]
	v_cndmask_b32_e64 v10, 0, 1, vcc_lo
	s_waitcnt lgkmcnt(1)
	v_cmp_gt_i64_e32 vcc_lo, v[2:3], v[15:16]
	v_cndmask_b32_e64 v11, 0, 1, vcc_lo
	v_add_co_u32 v4, vcc_lo, v4, v7
	v_add_co_ci_u32_e32 v5, vcc_lo, 0, v5, vcc_lo
	v_cmp_gt_i64_e32 vcc_lo, v[2:3], v[17:18]
	s_delay_alu instid0(VALU_DEP_3) | instskip(NEXT) | instid1(VALU_DEP_1)
	v_add_co_u32 v4, s0, v4, v8
	v_add_co_ci_u32_e64 v5, s0, 0, v5, s0
	v_cndmask_b32_e64 v7, 0, 1, vcc_lo
	s_delay_alu instid0(VALU_DEP_3) | instskip(NEXT) | instid1(VALU_DEP_3)
	v_add_co_u32 v4, vcc_lo, v4, v9
	v_add_co_ci_u32_e32 v5, vcc_lo, 0, v5, vcc_lo
	s_waitcnt lgkmcnt(0)
	v_cmp_gt_i64_e32 vcc_lo, v[2:3], v[19:20]
	s_delay_alu instid0(VALU_DEP_3) | instskip(NEXT) | instid1(VALU_DEP_1)
	v_add_co_u32 v4, s0, v4, v10
	v_add_co_ci_u32_e64 v5, s0, 0, v5, s0
	v_cndmask_b32_e64 v8, 0, 1, vcc_lo
	s_delay_alu instid0(VALU_DEP_3) | instskip(NEXT) | instid1(VALU_DEP_3)
	v_add_co_u32 v4, vcc_lo, v4, v11
	v_add_co_ci_u32_e32 v5, vcc_lo, 0, v5, vcc_lo
	v_cmp_gt_i64_e32 vcc_lo, v[2:3], v[21:22]
	s_delay_alu instid0(VALU_DEP_3) | instskip(NEXT) | instid1(VALU_DEP_1)
	v_add_co_u32 v4, s0, v4, v7
	v_add_co_ci_u32_e64 v5, s0, 0, v5, s0
	v_cndmask_b32_e64 v7, 0, 1, vcc_lo
	s_delay_alu instid0(VALU_DEP_3) | instskip(NEXT) | instid1(VALU_DEP_3)
	v_add_co_u32 v4, vcc_lo, v4, v8
	v_add_co_ci_u32_e32 v5, vcc_lo, 0, v5, vcc_lo
	s_delay_alu instid0(VALU_DEP_2) | instskip(NEXT) | instid1(VALU_DEP_2)
	v_add_co_u32 v4, vcc_lo, v4, v7
	v_add_co_ci_u32_e32 v5, vcc_lo, 0, v5, vcc_lo
	s_cbranch_scc0 .LBB143_76
; %bb.77:                               ;   in Loop: Header=BB143_74 Depth=1
	s_mov_b64 s[0:1], s[2:3]
.LBB143_78:                             ;   in Loop: Header=BB143_74 Depth=1
	s_and_not1_b32 vcc_lo, exec_lo, s13
	s_cbranch_vccnz .LBB143_73
; %bb.79:                               ;   in Loop: Header=BB143_74 Depth=1
	s_lshl_b32 s0, s0, 3
	s_delay_alu instid0(SALU_CYCLE_1)
	s_add_i32 s10, s0, 0
	s_mov_b64 s[0:1], s[6:7]
.LBB143_80:                             ;   Parent Loop BB143_74 Depth=1
                                        ; =>  This Inner Loop Header: Depth=2
	v_mov_b32_e32 v7, s10
	s_add_i32 s10, s10, 8
	s_add_u32 s0, s0, -1
	s_addc_u32 s1, s1, -1
	s_delay_alu instid0(SALU_CYCLE_1) | instskip(SKIP_4) | instid1(VALU_DEP_1)
	s_cmp_lg_u64 s[0:1], 0
	ds_load_b64 v[7:8], v7
	s_waitcnt lgkmcnt(0)
	v_cmp_gt_i64_e32 vcc_lo, v[2:3], v[7:8]
	v_cndmask_b32_e64 v7, 0, 1, vcc_lo
	v_add_co_u32 v4, vcc_lo, v4, v7
	v_add_co_ci_u32_e32 v5, vcc_lo, 0, v5, vcc_lo
	s_cbranch_scc1 .LBB143_80
	s_branch .LBB143_73
.LBB143_81:
	s_nop 0
	s_sendmsg sendmsg(MSG_DEALLOC_VGPRS)
	s_endpgm
	.section	.rodata,"a",@progbits
	.p2align	6, 0x0
	.amdhsa_kernel _ZN9rocsparseL41csrgemm_numeric_fill_block_per_row_kernelILj128ELj16ELj256ELj137ELj64Ell21rocsparse_complex_numIdEEEvT5_PKS3_S5_NS_24const_host_device_scalarIT6_EEPKT4_S5_PKS7_SB_S5_SD_S8_SB_S5_SD_SB_S5_PS7_21rocsparse_index_base_SF_SF_SF_bbb
		.amdhsa_group_segment_fixed_size 0
		.amdhsa_private_segment_fixed_size 40
		.amdhsa_kernarg_size 172
		.amdhsa_user_sgpr_count 15
		.amdhsa_user_sgpr_dispatch_ptr 0
		.amdhsa_user_sgpr_queue_ptr 0
		.amdhsa_user_sgpr_kernarg_segment_ptr 1
		.amdhsa_user_sgpr_dispatch_id 0
		.amdhsa_user_sgpr_private_segment_size 0
		.amdhsa_wavefront_size32 1
		.amdhsa_uses_dynamic_stack 0
		.amdhsa_enable_private_segment 1
		.amdhsa_system_sgpr_workgroup_id_x 1
		.amdhsa_system_sgpr_workgroup_id_y 0
		.amdhsa_system_sgpr_workgroup_id_z 0
		.amdhsa_system_sgpr_workgroup_info 0
		.amdhsa_system_vgpr_workitem_id 0
		.amdhsa_next_free_vgpr 36
		.amdhsa_next_free_sgpr 44
		.amdhsa_reserve_vcc 1
		.amdhsa_float_round_mode_32 0
		.amdhsa_float_round_mode_16_64 0
		.amdhsa_float_denorm_mode_32 3
		.amdhsa_float_denorm_mode_16_64 3
		.amdhsa_dx10_clamp 1
		.amdhsa_ieee_mode 1
		.amdhsa_fp16_overflow 0
		.amdhsa_workgroup_processor_mode 1
		.amdhsa_memory_ordered 1
		.amdhsa_forward_progress 0
		.amdhsa_shared_vgpr_count 0
		.amdhsa_exception_fp_ieee_invalid_op 0
		.amdhsa_exception_fp_denorm_src 0
		.amdhsa_exception_fp_ieee_div_zero 0
		.amdhsa_exception_fp_ieee_overflow 0
		.amdhsa_exception_fp_ieee_underflow 0
		.amdhsa_exception_fp_ieee_inexact 0
		.amdhsa_exception_int_div_zero 0
	.end_amdhsa_kernel
	.section	.text._ZN9rocsparseL41csrgemm_numeric_fill_block_per_row_kernelILj128ELj16ELj256ELj137ELj64Ell21rocsparse_complex_numIdEEEvT5_PKS3_S5_NS_24const_host_device_scalarIT6_EEPKT4_S5_PKS7_SB_S5_SD_S8_SB_S5_SD_SB_S5_PS7_21rocsparse_index_base_SF_SF_SF_bbb,"axG",@progbits,_ZN9rocsparseL41csrgemm_numeric_fill_block_per_row_kernelILj128ELj16ELj256ELj137ELj64Ell21rocsparse_complex_numIdEEEvT5_PKS3_S5_NS_24const_host_device_scalarIT6_EEPKT4_S5_PKS7_SB_S5_SD_S8_SB_S5_SD_SB_S5_PS7_21rocsparse_index_base_SF_SF_SF_bbb,comdat
.Lfunc_end143:
	.size	_ZN9rocsparseL41csrgemm_numeric_fill_block_per_row_kernelILj128ELj16ELj256ELj137ELj64Ell21rocsparse_complex_numIdEEEvT5_PKS3_S5_NS_24const_host_device_scalarIT6_EEPKT4_S5_PKS7_SB_S5_SD_S8_SB_S5_SD_SB_S5_PS7_21rocsparse_index_base_SF_SF_SF_bbb, .Lfunc_end143-_ZN9rocsparseL41csrgemm_numeric_fill_block_per_row_kernelILj128ELj16ELj256ELj137ELj64Ell21rocsparse_complex_numIdEEEvT5_PKS3_S5_NS_24const_host_device_scalarIT6_EEPKT4_S5_PKS7_SB_S5_SD_S8_SB_S5_SD_SB_S5_PS7_21rocsparse_index_base_SF_SF_SF_bbb
                                        ; -- End function
	.section	.AMDGPU.csdata,"",@progbits
; Kernel info:
; codeLenInByte = 3720
; NumSgprs: 46
; NumVgprs: 36
; ScratchSize: 40
; MemoryBound: 0
; FloatMode: 240
; IeeeMode: 1
; LDSByteSize: 0 bytes/workgroup (compile time only)
; SGPRBlocks: 5
; VGPRBlocks: 4
; NumSGPRsForWavesPerEU: 46
; NumVGPRsForWavesPerEU: 36
; Occupancy: 16
; WaveLimiterHint : 1
; COMPUTE_PGM_RSRC2:SCRATCH_EN: 1
; COMPUTE_PGM_RSRC2:USER_SGPR: 15
; COMPUTE_PGM_RSRC2:TRAP_HANDLER: 0
; COMPUTE_PGM_RSRC2:TGID_X_EN: 1
; COMPUTE_PGM_RSRC2:TGID_Y_EN: 0
; COMPUTE_PGM_RSRC2:TGID_Z_EN: 0
; COMPUTE_PGM_RSRC2:TIDIG_COMP_CNT: 0
	.section	.text._ZN9rocsparseL41csrgemm_numeric_fill_block_per_row_kernelILj256ELj32ELj512ELj137ELj32Ell21rocsparse_complex_numIdEEEvT5_PKS3_S5_NS_24const_host_device_scalarIT6_EEPKT4_S5_PKS7_SB_S5_SD_S8_SB_S5_SD_SB_S5_PS7_21rocsparse_index_base_SF_SF_SF_bbb,"axG",@progbits,_ZN9rocsparseL41csrgemm_numeric_fill_block_per_row_kernelILj256ELj32ELj512ELj137ELj32Ell21rocsparse_complex_numIdEEEvT5_PKS3_S5_NS_24const_host_device_scalarIT6_EEPKT4_S5_PKS7_SB_S5_SD_S8_SB_S5_SD_SB_S5_PS7_21rocsparse_index_base_SF_SF_SF_bbb,comdat
	.globl	_ZN9rocsparseL41csrgemm_numeric_fill_block_per_row_kernelILj256ELj32ELj512ELj137ELj32Ell21rocsparse_complex_numIdEEEvT5_PKS3_S5_NS_24const_host_device_scalarIT6_EEPKT4_S5_PKS7_SB_S5_SD_S8_SB_S5_SD_SB_S5_PS7_21rocsparse_index_base_SF_SF_SF_bbb ; -- Begin function _ZN9rocsparseL41csrgemm_numeric_fill_block_per_row_kernelILj256ELj32ELj512ELj137ELj32Ell21rocsparse_complex_numIdEEEvT5_PKS3_S5_NS_24const_host_device_scalarIT6_EEPKT4_S5_PKS7_SB_S5_SD_S8_SB_S5_SD_SB_S5_PS7_21rocsparse_index_base_SF_SF_SF_bbb
	.p2align	8
	.type	_ZN9rocsparseL41csrgemm_numeric_fill_block_per_row_kernelILj256ELj32ELj512ELj137ELj32Ell21rocsparse_complex_numIdEEEvT5_PKS3_S5_NS_24const_host_device_scalarIT6_EEPKT4_S5_PKS7_SB_S5_SD_S8_SB_S5_SD_SB_S5_PS7_21rocsparse_index_base_SF_SF_SF_bbb,@function
_ZN9rocsparseL41csrgemm_numeric_fill_block_per_row_kernelILj256ELj32ELj512ELj137ELj32Ell21rocsparse_complex_numIdEEEvT5_PKS3_S5_NS_24const_host_device_scalarIT6_EEPKT4_S5_PKS7_SB_S5_SD_S8_SB_S5_SD_SB_S5_PS7_21rocsparse_index_base_SF_SF_SF_bbb: ; @_ZN9rocsparseL41csrgemm_numeric_fill_block_per_row_kernelILj256ELj32ELj512ELj137ELj32Ell21rocsparse_complex_numIdEEEvT5_PKS3_S5_NS_24const_host_device_scalarIT6_EEPKT4_S5_PKS7_SB_S5_SD_S8_SB_S5_SD_SB_S5_PS7_21rocsparse_index_base_SF_SF_SF_bbb
; %bb.0:
	s_clause 0x2
	s_load_b32 s12, s[0:1], 0xa8
	s_load_b128 s[8:11], s[0:1], 0x18
	s_load_b128 s[4:7], s[0:1], 0x58
	v_mov_b32_e32 v1, 0
	v_mov_b32_e32 v2, 0
	s_mov_b32 s36, s15
	s_waitcnt lgkmcnt(0)
	s_bitcmp1_b32 s12, 0
	v_mov_b32_e32 v3, s8
	s_cselect_b32 s40, -1, 0
	s_bitcmp1_b32 s12, 16
	v_dual_mov_b32 v6, v2 :: v_dual_mov_b32 v5, v1
	s_cselect_b32 s2, -1, 0
	v_mov_b32_e32 v4, s9
	s_xor_b32 s3, s2, -1
	v_dual_mov_b32 v10, s5 :: v_dual_mov_b32 v9, s4
	v_cndmask_b32_e64 v7, 0, 1, s3
	s_bitcmp0_b32 s12, 0
	s_clause 0x1
	scratch_store_b64 off, v[3:4], off offset:16
	scratch_store_b64 off, v[9:10], off offset:24
	v_cmp_ne_u32_e32 vcc_lo, 1, v7
	v_dual_mov_b32 v8, v2 :: v_dual_mov_b32 v7, v1
	s_cbranch_scc1 .LBB144_3
; %bb.1:
	s_mov_b64 s[14:15], src_private_base
	s_and_b32 s13, s2, exec_lo
	s_cselect_b32 s13, s15, s9
	s_delay_alu instid0(SALU_CYCLE_1) | instskip(SKIP_2) | instid1(VALU_DEP_2)
	v_dual_mov_b32 v3, 16 :: v_dual_mov_b32 v4, s13
	v_dual_mov_b32 v7, s10 :: v_dual_mov_b32 v8, s11
	s_and_b32 vcc_lo, exec_lo, vcc_lo
	v_cndmask_b32_e64 v3, s8, v3, s2
	flat_load_b64 v[5:6], v[3:4]
	s_cbranch_vccnz .LBB144_3
; %bb.2:
	v_dual_mov_b32 v3, s8 :: v_dual_mov_b32 v4, s9
	flat_load_b64 v[7:8], v[3:4] offset:8
.LBB144_3:
	s_load_b128 s[20:23], s[0:1], 0x98
	s_bitcmp1_b32 s12, 8
	v_dual_mov_b32 v4, v2 :: v_dual_mov_b32 v3, v1
	s_cselect_b32 s33, -1, 0
	s_bfe_u32 s8, s12, 0x10008
	s_delay_alu instid0(SALU_CYCLE_1)
	s_cmp_eq_u32 s8, 0
	s_cbranch_scc1 .LBB144_6
; %bb.4:
	s_mov_b64 s[8:9], src_private_base
	s_and_b32 s8, s2, exec_lo
	s_cselect_b32 s8, s9, s5
	s_delay_alu instid0(SALU_CYCLE_1) | instskip(SKIP_1) | instid1(VALU_DEP_1)
	v_dual_mov_b32 v1, 24 :: v_dual_mov_b32 v2, s8
	s_and_not1_b32 vcc_lo, exec_lo, s3
	v_cndmask_b32_e64 v1, s4, v1, s2
	flat_load_b64 v[3:4], v[1:2]
	v_dual_mov_b32 v1, s6 :: v_dual_mov_b32 v2, s7
	s_cbranch_vccnz .LBB144_6
; %bb.5:
	v_dual_mov_b32 v1, s4 :: v_dual_mov_b32 v2, s5
	flat_load_b64 v[1:2], v[1:2] offset:8
.LBB144_6:
	s_clause 0x5
	s_load_b64 s[34:35], s[0:1], 0x90
	s_load_b256 s[4:11], s[0:1], 0x68
	s_load_b128 s[28:31], s[0:1], 0x48
	s_load_b128 s[24:27], s[0:1], 0x0
	s_load_b64 s[2:3], s[0:1], 0x10
	s_load_b256 s[12:19], s[0:1], 0x28
	v_cmp_gt_u32_e64 s0, 0x200, v0
	v_lshlrev_b32_e32 v29, 4, v0
	v_or_b32_e32 v27, 0xffffff00, v0
	v_lshl_add_u32 v28, v0, 3, 0
	s_delay_alu instid0(VALU_DEP_4)
	s_and_saveexec_b32 s1, s0
	s_cbranch_execz .LBB144_9
; %bb.7:
	s_mov_b32 s38, 0
	v_add3_u32 v15, v29, 0, 0x1000
	s_mov_b32 s39, s38
	s_mov_b32 s42, s38
	;; [unrolled: 1-line block ×3, first 2 shown]
	v_or_b32_e32 v16, 0xffffff00, v0
	v_lshl_add_u32 v17, v0, 3, 0
	s_waitcnt lgkmcnt(0)
	v_dual_mov_b32 v9, s24 :: v_dual_mov_b32 v10, s25
	v_dual_mov_b32 v11, s38 :: v_dual_mov_b32 v12, s39
	;; [unrolled: 1-line block ×3, first 2 shown]
.LBB144_8:                              ; =>This Inner Loop Header: Depth=1
	v_add_co_u32 v16, s37, 0x100, v16
	s_delay_alu instid0(VALU_DEP_1)
	s_xor_b32 s37, s37, -1
	ds_store_b64 v17, v[9:10]
	ds_store_2addr_b64 v15, v[11:12], v[13:14] offset1:1
	v_add_nc_u32_e32 v15, 0x1000, v15
	v_add_nc_u32_e32 v17, 0x800, v17
	s_and_b32 s37, exec_lo, s37
	s_delay_alu instid0(SALU_CYCLE_1) | instskip(NEXT) | instid1(SALU_CYCLE_1)
	s_or_b32 s38, s37, s38
	s_and_not1_b32 exec_lo, exec_lo, s38
	s_cbranch_execnz .LBB144_8
.LBB144_9:
	s_or_b32 exec_lo, exec_lo, s1
	s_waitcnt vmcnt(0) lgkmcnt(0)
	s_waitcnt_vscnt null, 0x0
	s_barrier
	buffer_gl0_inv
	s_load_b64 s[26:27], s[26:27], 0x0
	s_mov_b32 s37, 0
	v_lshrrev_b32_e32 v30, 5, v0
	s_waitcnt lgkmcnt(0)
	s_lshl_b64 s[26:27], s[26:27], 3
	s_delay_alu instid0(SALU_CYCLE_1) | instskip(SKIP_2) | instid1(SALU_CYCLE_1)
	s_add_u32 s1, s2, s26
	s_addc_u32 s26, s3, s27
	s_lshl_b64 s[2:3], s[36:37], 3
	s_add_u32 s2, s1, s2
	s_addc_u32 s3, s26, s3
	s_and_b32 vcc_lo, exec_lo, s40
	s_load_b64 s[26:27], s[2:3], 0x0
	s_cbranch_vccz .LBB144_37
; %bb.10:
	s_waitcnt lgkmcnt(0)
	s_lshl_b64 s[2:3], s[26:27], 3
	v_sub_co_u32 v9, s1, v30, s20
	s_add_u32 s2, s12, s2
	s_addc_u32 s3, s13, s3
	v_sub_co_ci_u32_e64 v10, null, 0, 0, s1
	s_load_b128 s[36:39], s[2:3], 0x0
	s_mov_b32 s1, exec_lo
	s_waitcnt lgkmcnt(0)
	v_add_co_u32 v9, vcc_lo, s36, v9
	v_add_co_ci_u32_e32 v10, vcc_lo, s37, v10, vcc_lo
	s_sub_u32 s2, s38, s20
	s_subb_u32 s3, s39, 0
	s_delay_alu instid0(VALU_DEP_1) | instid1(SALU_CYCLE_1)
	v_cmpx_gt_i64_e64 s[2:3], v[9:10]
	s_cbranch_execz .LBB144_36
; %bb.11:
	v_and_b32_e32 v11, 31, v0
	s_mov_b32 s13, s21
	s_delay_alu instid0(VALU_DEP_1) | instskip(NEXT) | instid1(VALU_DEP_1)
	v_sub_co_u32 v31, s12, v11, s21
	v_sub_co_ci_u32_e64 v32, null, 0, 0, s12
	s_mov_b32 s12, 0
	s_branch .LBB144_13
.LBB144_12:                             ;   in Loop: Header=BB144_13 Depth=1
	s_or_b32 exec_lo, exec_lo, s21
	v_add_co_u32 v9, vcc_lo, v9, 8
	v_add_co_ci_u32_e32 v10, vcc_lo, 0, v10, vcc_lo
	s_delay_alu instid0(VALU_DEP_1) | instskip(SKIP_1) | instid1(SALU_CYCLE_1)
	v_cmp_le_i64_e32 vcc_lo, s[2:3], v[9:10]
	s_or_b32 s12, vcc_lo, s12
	s_and_not1_b32 exec_lo, exec_lo, s12
	s_cbranch_execz .LBB144_36
.LBB144_13:                             ; =>This Loop Header: Depth=1
                                        ;     Child Loop BB144_16 Depth 2
                                        ;       Child Loop BB144_18 Depth 3
                                        ;         Child Loop BB144_24 Depth 4
                                        ;         Child Loop BB144_26 Depth 4
	;; [unrolled: 1-line block ×4, first 2 shown]
	v_lshlrev_b64 v[11:12], 3, v[9:10]
	s_mov_b32 s21, exec_lo
	s_delay_alu instid0(VALU_DEP_1) | instskip(NEXT) | instid1(VALU_DEP_2)
	v_add_co_u32 v11, vcc_lo, s14, v11
	v_add_co_ci_u32_e32 v12, vcc_lo, s15, v12, vcc_lo
	global_load_b64 v[11:12], v[11:12], off
	s_waitcnt vmcnt(0)
	v_sub_co_u32 v11, vcc_lo, v11, s20
	v_subrev_co_ci_u32_e32 v12, vcc_lo, 0, v12, vcc_lo
	s_delay_alu instid0(VALU_DEP_1) | instskip(NEXT) | instid1(VALU_DEP_1)
	v_lshlrev_b64 v[11:12], 3, v[11:12]
	v_add_co_u32 v11, vcc_lo, s18, v11
	s_delay_alu instid0(VALU_DEP_2)
	v_add_co_ci_u32_e32 v12, vcc_lo, s19, v12, vcc_lo
	global_load_b128 v[13:16], v[11:12], off
	s_waitcnt vmcnt(0)
	v_sub_co_u32 v11, vcc_lo, v15, s13
	v_subrev_co_ci_u32_e32 v12, vcc_lo, 0, v16, vcc_lo
	v_add_co_u32 v13, vcc_lo, v13, v31
	v_add_co_ci_u32_e32 v14, vcc_lo, v14, v32, vcc_lo
	s_delay_alu instid0(VALU_DEP_1)
	v_cmpx_lt_i64_e64 v[13:14], v[11:12]
	s_cbranch_execz .LBB144_12
; %bb.14:                               ;   in Loop: Header=BB144_13 Depth=1
	v_lshlrev_b64 v[15:16], 4, v[9:10]
	s_mov_b32 s36, 0
	s_delay_alu instid0(VALU_DEP_1) | instskip(NEXT) | instid1(VALU_DEP_2)
	v_add_co_u32 v15, vcc_lo, s16, v15
	v_add_co_ci_u32_e32 v16, vcc_lo, s17, v16, vcc_lo
	global_load_b128 v[17:20], v[15:16], off
	s_waitcnt vmcnt(0)
	v_mul_f64 v[15:16], v[19:20], -v[7:8]
	v_mul_f64 v[19:20], v[5:6], v[19:20]
	s_delay_alu instid0(VALU_DEP_2) | instskip(NEXT) | instid1(VALU_DEP_2)
	v_fma_f64 v[15:16], v[5:6], v[17:18], v[15:16]
	v_fma_f64 v[17:18], v[7:8], v[17:18], v[19:20]
	s_branch .LBB144_16
.LBB144_15:                             ;   in Loop: Header=BB144_16 Depth=2
	s_or_b32 exec_lo, exec_lo, s37
	v_add_co_u32 v13, vcc_lo, v13, 32
	v_add_co_ci_u32_e32 v14, vcc_lo, 0, v14, vcc_lo
	s_delay_alu instid0(VALU_DEP_1) | instskip(SKIP_1) | instid1(SALU_CYCLE_1)
	v_cmp_ge_i64_e32 vcc_lo, v[13:14], v[11:12]
	s_or_b32 s36, vcc_lo, s36
	s_and_not1_b32 exec_lo, exec_lo, s36
	s_cbranch_execz .LBB144_12
.LBB144_16:                             ;   Parent Loop BB144_13 Depth=1
                                        ; =>  This Loop Header: Depth=2
                                        ;       Child Loop BB144_18 Depth 3
                                        ;         Child Loop BB144_24 Depth 4
                                        ;         Child Loop BB144_26 Depth 4
                                        ;         Child Loop BB144_32 Depth 4
                                        ;         Child Loop BB144_34 Depth 4
	v_lshlrev_b64 v[19:20], 4, v[13:14]
	s_mov_b32 s37, 0
	s_delay_alu instid0(VALU_DEP_1) | instskip(NEXT) | instid1(VALU_DEP_2)
	v_add_co_u32 v19, vcc_lo, s30, v19
	v_add_co_ci_u32_e32 v20, vcc_lo, s31, v20, vcc_lo
	global_load_b128 v[21:24], v[19:20], off
	v_lshlrev_b64 v[19:20], 3, v[13:14]
	s_delay_alu instid0(VALU_DEP_1) | instskip(NEXT) | instid1(VALU_DEP_2)
	v_add_co_u32 v19, vcc_lo, s28, v19
	v_add_co_ci_u32_e32 v20, vcc_lo, s29, v20, vcc_lo
	global_load_b64 v[25:26], v[19:20], off
	s_waitcnt vmcnt(1)
	v_mul_f64 v[19:20], v[23:24], -v[17:18]
	v_mul_f64 v[23:24], v[15:16], v[23:24]
	s_delay_alu instid0(VALU_DEP_2) | instskip(NEXT) | instid1(VALU_DEP_2)
	v_fma_f64 v[19:20], v[15:16], v[21:22], v[19:20]
	v_fma_f64 v[21:22], v[17:18], v[21:22], v[23:24]
	s_waitcnt vmcnt(0)
	v_sub_co_u32 v23, vcc_lo, v25, s13
	v_subrev_co_ci_u32_e32 v24, vcc_lo, 0, v26, vcc_lo
	s_delay_alu instid0(VALU_DEP_2) | instskip(NEXT) | instid1(VALU_DEP_1)
	v_mul_lo_u32 v25, 0x89, v23
	v_and_b32_e32 v33, 0x1ff, v25
	s_branch .LBB144_18
.LBB144_17:                             ;   in Loop: Header=BB144_18 Depth=3
	s_or_b32 exec_lo, exec_lo, s38
	s_xor_b32 s38, s39, -1
	s_delay_alu instid0(SALU_CYCLE_1) | instskip(NEXT) | instid1(SALU_CYCLE_1)
	s_and_b32 s38, exec_lo, s38
	s_or_b32 s37, s38, s37
	s_delay_alu instid0(SALU_CYCLE_1)
	s_and_not1_b32 exec_lo, exec_lo, s37
	s_cbranch_execz .LBB144_15
.LBB144_18:                             ;   Parent Loop BB144_13 Depth=1
                                        ;     Parent Loop BB144_16 Depth=2
                                        ; =>    This Loop Header: Depth=3
                                        ;         Child Loop BB144_24 Depth 4
                                        ;         Child Loop BB144_26 Depth 4
	;; [unrolled: 1-line block ×4, first 2 shown]
	s_delay_alu instid0(VALU_DEP_1)
	v_lshl_add_u32 v34, v33, 3, 0
	s_mov_b32 s38, exec_lo
                                        ; implicit-def: $sgpr39
	ds_load_b64 v[25:26], v34
	s_waitcnt lgkmcnt(0)
	v_cmpx_ne_u64_e64 v[25:26], v[23:24]
	s_xor_b32 s38, exec_lo, s38
	s_cbranch_execz .LBB144_30
; %bb.19:                               ;   in Loop: Header=BB144_18 Depth=3
	s_mov_b32 s40, exec_lo
                                        ; implicit-def: $sgpr39
	v_cmpx_ne_u64_e64 s[24:25], v[25:26]
	s_xor_b32 s40, exec_lo, s40
; %bb.20:                               ;   in Loop: Header=BB144_18 Depth=3
	v_add_nc_u32_e32 v25, 1, v33
	s_mov_b32 s39, -1
                                        ; implicit-def: $vgpr34
	s_delay_alu instid0(VALU_DEP_1)
	v_and_b32_e32 v33, 0x1ff, v25
; %bb.21:                               ;   in Loop: Header=BB144_18 Depth=3
	s_and_not1_saveexec_b32 s40, s40
	s_cbranch_execz .LBB144_29
; %bb.22:                               ;   in Loop: Header=BB144_18 Depth=3
	v_dual_mov_b32 v26, s25 :: v_dual_mov_b32 v25, s24
	s_mov_b32 s42, -1
	s_mov_b32 s41, exec_lo
	ds_cmpstore_rtn_b64 v[25:26], v34, v[23:24], v[25:26]
	s_waitcnt lgkmcnt(0)
	v_cmpx_eq_u64_e64 s[24:25], v[25:26]
	s_cbranch_execz .LBB144_28
; %bb.23:                               ;   in Loop: Header=BB144_18 Depth=3
	v_lshlrev_b32_e32 v25, 3, v33
	s_mov_b32 s42, 0
	s_delay_alu instid0(VALU_DEP_1)
	v_add_nc_u32_e32 v34, v34, v25
	ds_load_b64 v[25:26], v34 offset:4096
.LBB144_24:                             ;   Parent Loop BB144_13 Depth=1
                                        ;     Parent Loop BB144_16 Depth=2
                                        ;       Parent Loop BB144_18 Depth=3
                                        ; =>      This Inner Loop Header: Depth=4
	s_waitcnt lgkmcnt(0)
	v_add_f64 v[35:36], v[25:26], v[19:20]
	ds_cmpstore_rtn_b64 v[35:36], v34, v[35:36], v[25:26] offset:4096
	s_waitcnt lgkmcnt(0)
	v_cmp_eq_u64_e32 vcc_lo, v[35:36], v[25:26]
	v_dual_mov_b32 v25, v35 :: v_dual_mov_b32 v26, v36
	s_or_b32 s42, vcc_lo, s42
	s_delay_alu instid0(SALU_CYCLE_1)
	s_and_not1_b32 exec_lo, exec_lo, s42
	s_cbranch_execnz .LBB144_24
; %bb.25:                               ;   in Loop: Header=BB144_18 Depth=3
	s_or_b32 exec_lo, exec_lo, s42
	ds_load_b64 v[25:26], v34 offset:4104
	s_mov_b32 s42, 0
.LBB144_26:                             ;   Parent Loop BB144_13 Depth=1
                                        ;     Parent Loop BB144_16 Depth=2
                                        ;       Parent Loop BB144_18 Depth=3
                                        ; =>      This Inner Loop Header: Depth=4
	s_waitcnt lgkmcnt(0)
	v_add_f64 v[35:36], v[25:26], v[21:22]
	ds_cmpstore_rtn_b64 v[35:36], v34, v[35:36], v[25:26] offset:4104
	s_waitcnt lgkmcnt(0)
	v_cmp_eq_u64_e32 vcc_lo, v[35:36], v[25:26]
	v_dual_mov_b32 v25, v35 :: v_dual_mov_b32 v26, v36
	s_or_b32 s42, vcc_lo, s42
	s_delay_alu instid0(SALU_CYCLE_1)
	s_and_not1_b32 exec_lo, exec_lo, s42
	s_cbranch_execnz .LBB144_26
; %bb.27:                               ;   in Loop: Header=BB144_18 Depth=3
	s_or_b32 exec_lo, exec_lo, s42
	s_delay_alu instid0(SALU_CYCLE_1)
	s_xor_b32 s42, exec_lo, -1
.LBB144_28:                             ;   in Loop: Header=BB144_18 Depth=3
	s_or_b32 exec_lo, exec_lo, s41
	s_delay_alu instid0(SALU_CYCLE_1) | instskip(SKIP_1) | instid1(SALU_CYCLE_1)
	s_and_not1_b32 s39, s39, exec_lo
	s_and_b32 s41, s42, exec_lo
	s_or_b32 s39, s39, s41
.LBB144_29:                             ;   in Loop: Header=BB144_18 Depth=3
	s_or_b32 exec_lo, exec_lo, s40
	s_delay_alu instid0(SALU_CYCLE_1)
	s_and_b32 s39, s39, exec_lo
                                        ; implicit-def: $vgpr34
.LBB144_30:                             ;   in Loop: Header=BB144_18 Depth=3
	s_and_not1_saveexec_b32 s38, s38
	s_cbranch_execz .LBB144_17
; %bb.31:                               ;   in Loop: Header=BB144_18 Depth=3
	v_lshlrev_b32_e32 v25, 3, v33
	s_mov_b32 s40, 0
	s_delay_alu instid0(VALU_DEP_1)
	v_add_nc_u32_e32 v34, v34, v25
	ds_load_b64 v[25:26], v34 offset:4096
.LBB144_32:                             ;   Parent Loop BB144_13 Depth=1
                                        ;     Parent Loop BB144_16 Depth=2
                                        ;       Parent Loop BB144_18 Depth=3
                                        ; =>      This Inner Loop Header: Depth=4
	s_waitcnt lgkmcnt(0)
	v_add_f64 v[35:36], v[25:26], v[19:20]
	ds_cmpstore_rtn_b64 v[35:36], v34, v[35:36], v[25:26] offset:4096
	s_waitcnt lgkmcnt(0)
	v_cmp_eq_u64_e32 vcc_lo, v[35:36], v[25:26]
	v_dual_mov_b32 v25, v35 :: v_dual_mov_b32 v26, v36
	s_or_b32 s40, vcc_lo, s40
	s_delay_alu instid0(SALU_CYCLE_1)
	s_and_not1_b32 exec_lo, exec_lo, s40
	s_cbranch_execnz .LBB144_32
; %bb.33:                               ;   in Loop: Header=BB144_18 Depth=3
	s_or_b32 exec_lo, exec_lo, s40
	ds_load_b64 v[25:26], v34 offset:4104
	s_mov_b32 s40, 0
.LBB144_34:                             ;   Parent Loop BB144_13 Depth=1
                                        ;     Parent Loop BB144_16 Depth=2
                                        ;       Parent Loop BB144_18 Depth=3
                                        ; =>      This Inner Loop Header: Depth=4
	s_waitcnt lgkmcnt(0)
	v_add_f64 v[35:36], v[25:26], v[21:22]
	ds_cmpstore_rtn_b64 v[35:36], v34, v[35:36], v[25:26] offset:4104
	s_waitcnt lgkmcnt(0)
	v_cmp_eq_u64_e32 vcc_lo, v[35:36], v[25:26]
	v_dual_mov_b32 v25, v35 :: v_dual_mov_b32 v26, v36
	s_or_b32 s40, vcc_lo, s40
	s_delay_alu instid0(SALU_CYCLE_1)
	s_and_not1_b32 exec_lo, exec_lo, s40
	s_cbranch_execnz .LBB144_34
; %bb.35:                               ;   in Loop: Header=BB144_18 Depth=3
	s_or_b32 exec_lo, exec_lo, s40
	s_delay_alu instid0(SALU_CYCLE_1)
	s_and_not1_b32 s39, s39, exec_lo
	s_branch .LBB144_17
.LBB144_36:
	s_or_b32 exec_lo, exec_lo, s1
.LBB144_37:
	s_delay_alu instid0(SALU_CYCLE_1)
	s_and_not1_b32 vcc_lo, exec_lo, s33
	s_cbranch_vccnz .LBB144_62
; %bb.38:
	s_waitcnt lgkmcnt(0)
	s_lshl_b64 s[2:3], s[26:27], 3
	v_sub_co_u32 v5, s1, v0, s23
	s_add_u32 s2, s4, s2
	s_addc_u32 s3, s5, s3
	v_sub_co_ci_u32_e64 v6, null, 0, 0, s1
	s_load_b128 s[12:15], s[2:3], 0x0
	s_mov_b32 s1, 0
	s_mov_b32 s4, exec_lo
	s_waitcnt lgkmcnt(0)
	v_add_co_u32 v5, vcc_lo, s12, v5
	v_add_co_ci_u32_e32 v6, vcc_lo, s13, v6, vcc_lo
	s_sub_u32 s2, s14, s23
	s_subb_u32 s3, s15, 0
	s_delay_alu instid0(VALU_DEP_1) | instid1(SALU_CYCLE_1)
	v_cmpx_gt_i64_e64 s[2:3], v[5:6]
	s_cbranch_execz .LBB144_61
; %bb.39:
	s_mov_b32 s5, s23
	s_branch .LBB144_41
.LBB144_40:                             ;   in Loop: Header=BB144_41 Depth=1
	s_or_b32 exec_lo, exec_lo, s12
	v_add_co_u32 v5, vcc_lo, 0x100, v5
	v_add_co_ci_u32_e32 v6, vcc_lo, 0, v6, vcc_lo
	s_delay_alu instid0(VALU_DEP_1) | instskip(SKIP_1) | instid1(SALU_CYCLE_1)
	v_cmp_le_i64_e32 vcc_lo, s[2:3], v[5:6]
	s_or_b32 s1, vcc_lo, s1
	s_and_not1_b32 exec_lo, exec_lo, s1
	s_cbranch_execz .LBB144_61
.LBB144_41:                             ; =>This Loop Header: Depth=1
                                        ;     Child Loop BB144_43 Depth 2
                                        ;       Child Loop BB144_49 Depth 3
                                        ;       Child Loop BB144_51 Depth 3
	;; [unrolled: 1-line block ×4, first 2 shown]
	v_lshlrev_b64 v[7:8], 4, v[5:6]
	s_mov_b32 s12, 0
	s_delay_alu instid0(VALU_DEP_1) | instskip(NEXT) | instid1(VALU_DEP_2)
	v_add_co_u32 v7, vcc_lo, s8, v7
	v_add_co_ci_u32_e32 v8, vcc_lo, s9, v8, vcc_lo
	global_load_b128 v[9:12], v[7:8], off
	v_lshlrev_b64 v[7:8], 3, v[5:6]
	s_delay_alu instid0(VALU_DEP_1) | instskip(NEXT) | instid1(VALU_DEP_2)
	v_add_co_u32 v7, vcc_lo, s6, v7
	v_add_co_ci_u32_e32 v8, vcc_lo, s7, v8, vcc_lo
	global_load_b64 v[13:14], v[7:8], off
	s_waitcnt vmcnt(1)
	v_mul_f64 v[7:8], v[11:12], -v[1:2]
	v_mul_f64 v[11:12], v[3:4], v[11:12]
	s_delay_alu instid0(VALU_DEP_2) | instskip(NEXT) | instid1(VALU_DEP_2)
	v_fma_f64 v[7:8], v[3:4], v[9:10], v[7:8]
	v_fma_f64 v[9:10], v[1:2], v[9:10], v[11:12]
	s_waitcnt vmcnt(0)
	v_sub_co_u32 v11, vcc_lo, v13, s5
	v_subrev_co_ci_u32_e32 v12, vcc_lo, 0, v14, vcc_lo
	s_delay_alu instid0(VALU_DEP_2) | instskip(NEXT) | instid1(VALU_DEP_1)
	v_mul_lo_u32 v13, 0x89, v11
	v_and_b32_e32 v15, 0x1ff, v13
	s_branch .LBB144_43
.LBB144_42:                             ;   in Loop: Header=BB144_43 Depth=2
	s_or_b32 exec_lo, exec_lo, s13
	s_xor_b32 s13, s14, -1
	s_delay_alu instid0(SALU_CYCLE_1) | instskip(NEXT) | instid1(SALU_CYCLE_1)
	s_and_b32 s13, exec_lo, s13
	s_or_b32 s12, s13, s12
	s_delay_alu instid0(SALU_CYCLE_1)
	s_and_not1_b32 exec_lo, exec_lo, s12
	s_cbranch_execz .LBB144_40
.LBB144_43:                             ;   Parent Loop BB144_41 Depth=1
                                        ; =>  This Loop Header: Depth=2
                                        ;       Child Loop BB144_49 Depth 3
                                        ;       Child Loop BB144_51 Depth 3
	;; [unrolled: 1-line block ×4, first 2 shown]
	s_delay_alu instid0(VALU_DEP_1)
	v_lshl_add_u32 v16, v15, 3, 0
	s_mov_b32 s13, exec_lo
                                        ; implicit-def: $sgpr14
	ds_load_b64 v[13:14], v16
	s_waitcnt lgkmcnt(0)
	v_cmpx_ne_u64_e64 v[13:14], v[11:12]
	s_xor_b32 s13, exec_lo, s13
	s_cbranch_execz .LBB144_55
; %bb.44:                               ;   in Loop: Header=BB144_43 Depth=2
	s_mov_b32 s15, exec_lo
                                        ; implicit-def: $sgpr14
	v_cmpx_ne_u64_e64 s[24:25], v[13:14]
	s_xor_b32 s15, exec_lo, s15
; %bb.45:                               ;   in Loop: Header=BB144_43 Depth=2
	v_add_nc_u32_e32 v13, 1, v15
	s_mov_b32 s14, -1
                                        ; implicit-def: $vgpr16
	s_delay_alu instid0(VALU_DEP_1)
	v_and_b32_e32 v15, 0x1ff, v13
; %bb.46:                               ;   in Loop: Header=BB144_43 Depth=2
	s_and_not1_saveexec_b32 s15, s15
	s_cbranch_execz .LBB144_54
; %bb.47:                               ;   in Loop: Header=BB144_43 Depth=2
	v_dual_mov_b32 v13, s24 :: v_dual_mov_b32 v14, s25
	s_mov_b32 s17, -1
	s_mov_b32 s16, exec_lo
	ds_cmpstore_rtn_b64 v[13:14], v16, v[11:12], v[13:14]
	s_waitcnt lgkmcnt(0)
	v_cmpx_eq_u64_e64 s[24:25], v[13:14]
	s_cbranch_execz .LBB144_53
; %bb.48:                               ;   in Loop: Header=BB144_43 Depth=2
	v_lshlrev_b32_e32 v13, 3, v15
	s_mov_b32 s17, 0
	s_delay_alu instid0(VALU_DEP_1)
	v_add_nc_u32_e32 v16, v16, v13
	ds_load_b64 v[13:14], v16 offset:4096
.LBB144_49:                             ;   Parent Loop BB144_41 Depth=1
                                        ;     Parent Loop BB144_43 Depth=2
                                        ; =>    This Inner Loop Header: Depth=3
	s_waitcnt lgkmcnt(0)
	v_add_f64 v[17:18], v[13:14], v[7:8]
	ds_cmpstore_rtn_b64 v[17:18], v16, v[17:18], v[13:14] offset:4096
	s_waitcnt lgkmcnt(0)
	v_cmp_eq_u64_e32 vcc_lo, v[17:18], v[13:14]
	v_dual_mov_b32 v13, v17 :: v_dual_mov_b32 v14, v18
	s_or_b32 s17, vcc_lo, s17
	s_delay_alu instid0(SALU_CYCLE_1)
	s_and_not1_b32 exec_lo, exec_lo, s17
	s_cbranch_execnz .LBB144_49
; %bb.50:                               ;   in Loop: Header=BB144_43 Depth=2
	s_or_b32 exec_lo, exec_lo, s17
	ds_load_b64 v[13:14], v16 offset:4104
	s_mov_b32 s17, 0
.LBB144_51:                             ;   Parent Loop BB144_41 Depth=1
                                        ;     Parent Loop BB144_43 Depth=2
                                        ; =>    This Inner Loop Header: Depth=3
	s_waitcnt lgkmcnt(0)
	v_add_f64 v[17:18], v[13:14], v[9:10]
	ds_cmpstore_rtn_b64 v[17:18], v16, v[17:18], v[13:14] offset:4104
	s_waitcnt lgkmcnt(0)
	v_cmp_eq_u64_e32 vcc_lo, v[17:18], v[13:14]
	v_dual_mov_b32 v13, v17 :: v_dual_mov_b32 v14, v18
	s_or_b32 s17, vcc_lo, s17
	s_delay_alu instid0(SALU_CYCLE_1)
	s_and_not1_b32 exec_lo, exec_lo, s17
	s_cbranch_execnz .LBB144_51
; %bb.52:                               ;   in Loop: Header=BB144_43 Depth=2
	s_or_b32 exec_lo, exec_lo, s17
	s_delay_alu instid0(SALU_CYCLE_1)
	s_xor_b32 s17, exec_lo, -1
.LBB144_53:                             ;   in Loop: Header=BB144_43 Depth=2
	s_or_b32 exec_lo, exec_lo, s16
	s_delay_alu instid0(SALU_CYCLE_1) | instskip(SKIP_1) | instid1(SALU_CYCLE_1)
	s_and_not1_b32 s14, s14, exec_lo
	s_and_b32 s16, s17, exec_lo
	s_or_b32 s14, s14, s16
.LBB144_54:                             ;   in Loop: Header=BB144_43 Depth=2
	s_or_b32 exec_lo, exec_lo, s15
	s_delay_alu instid0(SALU_CYCLE_1)
	s_and_b32 s14, s14, exec_lo
                                        ; implicit-def: $vgpr16
.LBB144_55:                             ;   in Loop: Header=BB144_43 Depth=2
	s_and_not1_saveexec_b32 s13, s13
	s_cbranch_execz .LBB144_42
; %bb.56:                               ;   in Loop: Header=BB144_43 Depth=2
	v_lshlrev_b32_e32 v13, 3, v15
	s_mov_b32 s15, 0
	s_delay_alu instid0(VALU_DEP_1)
	v_add_nc_u32_e32 v16, v16, v13
	ds_load_b64 v[13:14], v16 offset:4096
.LBB144_57:                             ;   Parent Loop BB144_41 Depth=1
                                        ;     Parent Loop BB144_43 Depth=2
                                        ; =>    This Inner Loop Header: Depth=3
	s_waitcnt lgkmcnt(0)
	v_add_f64 v[17:18], v[13:14], v[7:8]
	ds_cmpstore_rtn_b64 v[17:18], v16, v[17:18], v[13:14] offset:4096
	s_waitcnt lgkmcnt(0)
	v_cmp_eq_u64_e32 vcc_lo, v[17:18], v[13:14]
	v_dual_mov_b32 v13, v17 :: v_dual_mov_b32 v14, v18
	s_or_b32 s15, vcc_lo, s15
	s_delay_alu instid0(SALU_CYCLE_1)
	s_and_not1_b32 exec_lo, exec_lo, s15
	s_cbranch_execnz .LBB144_57
; %bb.58:                               ;   in Loop: Header=BB144_43 Depth=2
	s_or_b32 exec_lo, exec_lo, s15
	ds_load_b64 v[13:14], v16 offset:4104
	s_mov_b32 s15, 0
.LBB144_59:                             ;   Parent Loop BB144_41 Depth=1
                                        ;     Parent Loop BB144_43 Depth=2
                                        ; =>    This Inner Loop Header: Depth=3
	s_waitcnt lgkmcnt(0)
	v_add_f64 v[17:18], v[13:14], v[9:10]
	ds_cmpstore_rtn_b64 v[17:18], v16, v[17:18], v[13:14] offset:4104
	s_waitcnt lgkmcnt(0)
	v_cmp_eq_u64_e32 vcc_lo, v[17:18], v[13:14]
	v_dual_mov_b32 v13, v17 :: v_dual_mov_b32 v14, v18
	s_or_b32 s15, vcc_lo, s15
	s_delay_alu instid0(SALU_CYCLE_1)
	s_and_not1_b32 exec_lo, exec_lo, s15
	s_cbranch_execnz .LBB144_59
; %bb.60:                               ;   in Loop: Header=BB144_43 Depth=2
	s_or_b32 exec_lo, exec_lo, s15
	s_delay_alu instid0(SALU_CYCLE_1)
	s_and_not1_b32 s14, s14, exec_lo
	s_branch .LBB144_42
.LBB144_61:
	s_or_b32 exec_lo, exec_lo, s4
.LBB144_62:
	s_waitcnt lgkmcnt(0)
	s_barrier
	buffer_gl0_inv
	s_and_saveexec_b32 s8, s0
	s_cbranch_execz .LBB144_83
; %bb.63:
	v_mbcnt_lo_u32_b32 v1, -1, 0
	v_lshl_add_u32 v10, v30, 3, 0
	v_cmp_eq_u32_e32 vcc_lo, 0xff, v0
	v_cmp_lt_u32_e64 s0, 31, v0
	v_cmp_lt_u32_e64 s1, 63, v0
	v_xor_b32_e32 v1, 63, v1
	v_cmp_lt_u32_e64 s2, 0x5f, v0
	v_cmp_lt_u32_e64 s3, 0x7f, v0
	;; [unrolled: 1-line block ×4, first 2 shown]
	v_lshrrev_b64 v[1:2], v1, -1
	v_dual_mov_b32 v2, 0 :: v_dual_mov_b32 v5, 0
	v_cmp_lt_u32_e64 s6, 0xdf, v0
	v_add3_u32 v11, v29, 0, 0x1000
	v_mov_b32_e32 v3, 0
	s_mov_b32 s9, 0
	s_branch .LBB144_65
.LBB144_64:                             ;   in Loop: Header=BB144_65 Depth=1
	s_or_b32 exec_lo, exec_lo, s7
	s_waitcnt lgkmcnt(0)
	s_barrier
	buffer_gl0_inv
	ds_load_b64 v[6:7], v5 offset:12344
	v_add_co_u32 v27, s7, 0x100, v27
	s_delay_alu instid0(VALU_DEP_1) | instskip(SKIP_4) | instid1(VALU_DEP_1)
	s_xor_b32 s12, s7, -1
	v_add_nc_u32_e32 v11, 0x1000, v11
	v_add_nc_u32_e32 v28, 0x800, v28
	s_waitcnt lgkmcnt(0)
	v_add_co_u32 v2, s7, v6, v2
	v_add_co_ci_u32_e64 v3, s7, v7, v3, s7
	s_and_b32 s7, exec_lo, s12
	s_delay_alu instid0(SALU_CYCLE_1) | instskip(NEXT) | instid1(SALU_CYCLE_1)
	s_or_b32 s9, s7, s9
	s_and_not1_b32 exec_lo, exec_lo, s9
	s_cbranch_execz .LBB144_83
.LBB144_65:                             ; =>This Inner Loop Header: Depth=1
	ds_load_b64 v[6:7], v28
	ds_load_2addr_b64 v[12:15], v11 offset1:1
	s_waitcnt lgkmcnt(1)
	v_cmp_gt_i64_e64 s7, s[24:25], v[6:7]
	s_waitcnt lgkmcnt(0)
	scratch_store_b128 off, v[12:15], off
	s_waitcnt_vscnt null, 0x0
	s_barrier
	buffer_gl0_inv
	v_and_b32_e32 v8, s7, v1
	s_bcnt1_i32_b32 s12, s7
	s_delay_alu instid0(SALU_CYCLE_1) | instskip(NEXT) | instid1(VALU_DEP_2)
	v_mov_b32_e32 v4, s12
	v_bcnt_u32_b32 v8, v8, 0
	ds_store_b64 v10, v[4:5] offset:12288
	s_waitcnt lgkmcnt(0)
	s_barrier
	buffer_gl0_inv
	s_and_saveexec_b32 s12, s0
	s_cbranch_execnz .LBB144_74
; %bb.66:                               ;   in Loop: Header=BB144_65 Depth=1
	s_or_b32 exec_lo, exec_lo, s12
	s_and_saveexec_b32 s12, s1
	s_cbranch_execnz .LBB144_75
.LBB144_67:                             ;   in Loop: Header=BB144_65 Depth=1
	s_or_b32 exec_lo, exec_lo, s12
	s_and_saveexec_b32 s12, s2
	s_cbranch_execnz .LBB144_76
.LBB144_68:                             ;   in Loop: Header=BB144_65 Depth=1
	s_or_b32 exec_lo, exec_lo, s12
	s_and_saveexec_b32 s12, s3
	s_cbranch_execnz .LBB144_77
.LBB144_69:                             ;   in Loop: Header=BB144_65 Depth=1
	s_or_b32 exec_lo, exec_lo, s12
	s_and_saveexec_b32 s12, s4
	s_cbranch_execnz .LBB144_78
.LBB144_70:                             ;   in Loop: Header=BB144_65 Depth=1
	s_or_b32 exec_lo, exec_lo, s12
	s_and_saveexec_b32 s12, s5
	s_cbranch_execnz .LBB144_79
.LBB144_71:                             ;   in Loop: Header=BB144_65 Depth=1
	s_or_b32 exec_lo, exec_lo, s12
	s_and_saveexec_b32 s12, s6
	s_cbranch_execnz .LBB144_80
.LBB144_72:                             ;   in Loop: Header=BB144_65 Depth=1
	s_or_b32 exec_lo, exec_lo, s12
	v_ashrrev_i32_e32 v9, 31, v8
	s_and_saveexec_b32 s12, s7
	s_cbranch_execnz .LBB144_81
.LBB144_73:                             ;   in Loop: Header=BB144_65 Depth=1
	s_or_b32 exec_lo, exec_lo, s12
	s_and_saveexec_b32 s7, vcc_lo
	s_cbranch_execz .LBB144_64
	s_branch .LBB144_82
.LBB144_74:                             ;   in Loop: Header=BB144_65 Depth=1
	ds_load_b32 v4, v5 offset:12288
	s_waitcnt lgkmcnt(0)
	v_add_nc_u32_e32 v8, v4, v8
	s_or_b32 exec_lo, exec_lo, s12
	s_and_saveexec_b32 s12, s1
	s_cbranch_execz .LBB144_67
.LBB144_75:                             ;   in Loop: Header=BB144_65 Depth=1
	ds_load_b32 v4, v5 offset:12296
	s_waitcnt lgkmcnt(0)
	v_add_nc_u32_e32 v8, v8, v4
	s_or_b32 exec_lo, exec_lo, s12
	s_and_saveexec_b32 s12, s2
	s_cbranch_execz .LBB144_68
.LBB144_76:                             ;   in Loop: Header=BB144_65 Depth=1
	ds_load_b32 v4, v5 offset:12304
	s_waitcnt lgkmcnt(0)
	v_add_nc_u32_e32 v8, v8, v4
	s_or_b32 exec_lo, exec_lo, s12
	s_and_saveexec_b32 s12, s3
	s_cbranch_execz .LBB144_69
.LBB144_77:                             ;   in Loop: Header=BB144_65 Depth=1
	ds_load_b32 v4, v5 offset:12312
	s_waitcnt lgkmcnt(0)
	v_add_nc_u32_e32 v8, v8, v4
	s_or_b32 exec_lo, exec_lo, s12
	s_and_saveexec_b32 s12, s4
	s_cbranch_execz .LBB144_70
.LBB144_78:                             ;   in Loop: Header=BB144_65 Depth=1
	ds_load_b32 v4, v5 offset:12320
	s_waitcnt lgkmcnt(0)
	v_add_nc_u32_e32 v8, v8, v4
	s_or_b32 exec_lo, exec_lo, s12
	s_and_saveexec_b32 s12, s5
	s_cbranch_execz .LBB144_71
.LBB144_79:                             ;   in Loop: Header=BB144_65 Depth=1
	ds_load_b32 v4, v5 offset:12328
	s_waitcnt lgkmcnt(0)
	v_add_nc_u32_e32 v8, v8, v4
	s_or_b32 exec_lo, exec_lo, s12
	s_and_saveexec_b32 s12, s6
	s_cbranch_execz .LBB144_72
.LBB144_80:                             ;   in Loop: Header=BB144_65 Depth=1
	ds_load_b32 v4, v5 offset:12336
	s_waitcnt lgkmcnt(0)
	v_add_nc_u32_e32 v8, v8, v4
	s_or_b32 exec_lo, exec_lo, s12
	s_delay_alu instid0(VALU_DEP_1)
	v_ashrrev_i32_e32 v9, 31, v8
	s_and_saveexec_b32 s12, s7
	s_cbranch_execz .LBB144_73
.LBB144_81:                             ;   in Loop: Header=BB144_65 Depth=1
	scratch_load_b128 v[12:15], off, off
	v_add3_u32 v4, v2, -1, v8
	s_delay_alu instid0(VALU_DEP_1) | instskip(SKIP_1) | instid1(VALU_DEP_2)
	v_lshlrev_b32_e32 v16, 4, v4
	v_lshl_add_u32 v4, v4, 3, 0
	v_add3_u32 v16, 0, v16, 0x1000
	ds_store_b64 v4, v[6:7]
	s_waitcnt vmcnt(0)
	ds_store_2addr_b64 v16, v[12:13], v[14:15] offset1:1
	s_or_b32 exec_lo, exec_lo, s12
	s_and_saveexec_b32 s7, vcc_lo
	s_cbranch_execz .LBB144_64
.LBB144_82:                             ;   in Loop: Header=BB144_65 Depth=1
	ds_store_b64 v5, v[8:9] offset:12344
	s_branch .LBB144_64
.LBB144_83:
	s_or_b32 exec_lo, exec_lo, s8
	s_lshl_b64 s[0:1], s[26:27], 3
	v_mov_b32_e32 v1, 0
	s_add_u32 s0, s10, s0
	s_addc_u32 s1, s11, s1
	s_mov_b32 s6, exec_lo
	s_load_b128 s[0:3], s[0:1], 0x0
	s_waitcnt lgkmcnt(0)
	s_sub_u32 s4, s2, s0
	s_subb_u32 s5, s3, s1
	s_delay_alu instid0(SALU_CYCLE_1)
	v_cmpx_gt_i64_e64 s[4:5], v[0:1]
	s_cbranch_execz .LBB144_93
; %bb.84:
	s_sub_u32 s8, s0, s22
	s_subb_u32 s9, s1, 0
	s_and_b32 s6, s4, 7
	s_sub_u32 s0, s0, s2
	s_subb_u32 s1, s1, s3
	s_mov_b32 s7, 0
	v_cmp_lt_u64_e64 s12, s[0:1], -7
	s_and_b32 s2, s4, -8
	s_cmp_lg_u64 s[6:7], 0
	s_mov_b32 s3, s5
	s_cselect_b32 s13, -1, 0
	s_mov_b32 s14, s7
	s_branch .LBB144_86
.LBB144_85:                             ;   in Loop: Header=BB144_86 Depth=1
	s_waitcnt lgkmcnt(0)
	v_lshlrev_b32_e32 v2, 3, v0
	v_add_co_u32 v0, vcc_lo, 0x100, v0
	v_add_co_ci_u32_e32 v1, vcc_lo, 0, v1, vcc_lo
	s_delay_alu instid0(VALU_DEP_3) | instskip(NEXT) | instid1(VALU_DEP_2)
	v_add3_u32 v2, v6, v2, 0x1000
	v_cmp_le_i64_e32 vcc_lo, s[4:5], v[0:1]
	ds_load_2addr_b64 v[6:9], v2 offset1:1
	v_lshlrev_b64 v[2:3], 4, v[4:5]
	s_or_b32 s14, vcc_lo, s14
	s_delay_alu instid0(VALU_DEP_1) | instskip(NEXT) | instid1(VALU_DEP_1)
	v_add_co_u32 v2, s0, s34, v2
	v_add_co_ci_u32_e64 v3, s0, s35, v3, s0
	s_waitcnt lgkmcnt(0)
	global_store_b128 v[2:3], v[6:9], off
	s_and_not1_b32 exec_lo, exec_lo, s14
	s_cbranch_execz .LBB144_93
.LBB144_86:                             ; =>This Loop Header: Depth=1
                                        ;     Child Loop BB144_88 Depth 2
                                        ;     Child Loop BB144_92 Depth 2
	v_lshl_add_u32 v6, v0, 3, 0
	v_dual_mov_b32 v4, s8 :: v_dual_mov_b32 v5, s9
	s_and_not1_b32 vcc_lo, exec_lo, s12
	s_mov_b64 s[0:1], 0
	ds_load_b64 v[2:3], v6
	s_cbranch_vccnz .LBB144_90
; %bb.87:                               ;   in Loop: Header=BB144_86 Depth=1
	v_dual_mov_b32 v4, s8 :: v_dual_mov_b32 v5, s9
	s_mov_b64 s[10:11], 0
	s_mov_b32 s1, 0
.LBB144_88:                             ;   Parent Loop BB144_86 Depth=1
                                        ; =>  This Inner Loop Header: Depth=2
	s_delay_alu instid0(SALU_CYCLE_1)
	v_mov_b32_e32 v19, s1
	s_add_u32 s10, s10, 8
	s_addc_u32 s11, s11, 0
	s_add_i32 s1, s1, 64
	s_cmp_eq_u64 s[2:3], s[10:11]
	ds_load_2addr_b64 v[7:10], v19 offset1:1
	ds_load_2addr_b64 v[11:14], v19 offset0:2 offset1:3
	ds_load_2addr_b64 v[15:18], v19 offset0:4 offset1:5
	;; [unrolled: 1-line block ×3, first 2 shown]
	s_waitcnt lgkmcnt(3)
	v_cmp_gt_i64_e32 vcc_lo, v[2:3], v[7:8]
	v_cndmask_b32_e64 v7, 0, 1, vcc_lo
	v_cmp_gt_i64_e32 vcc_lo, v[2:3], v[9:10]
	v_cndmask_b32_e64 v8, 0, 1, vcc_lo
	s_waitcnt lgkmcnt(2)
	v_cmp_gt_i64_e32 vcc_lo, v[2:3], v[11:12]
	v_cndmask_b32_e64 v9, 0, 1, vcc_lo
	v_cmp_gt_i64_e32 vcc_lo, v[2:3], v[13:14]
	v_cndmask_b32_e64 v10, 0, 1, vcc_lo
	s_waitcnt lgkmcnt(1)
	v_cmp_gt_i64_e32 vcc_lo, v[2:3], v[15:16]
	v_cndmask_b32_e64 v11, 0, 1, vcc_lo
	v_add_co_u32 v4, vcc_lo, v4, v7
	v_add_co_ci_u32_e32 v5, vcc_lo, 0, v5, vcc_lo
	v_cmp_gt_i64_e32 vcc_lo, v[2:3], v[17:18]
	s_delay_alu instid0(VALU_DEP_3) | instskip(NEXT) | instid1(VALU_DEP_1)
	v_add_co_u32 v4, s0, v4, v8
	v_add_co_ci_u32_e64 v5, s0, 0, v5, s0
	v_cndmask_b32_e64 v7, 0, 1, vcc_lo
	s_delay_alu instid0(VALU_DEP_3) | instskip(NEXT) | instid1(VALU_DEP_3)
	v_add_co_u32 v4, vcc_lo, v4, v9
	v_add_co_ci_u32_e32 v5, vcc_lo, 0, v5, vcc_lo
	s_waitcnt lgkmcnt(0)
	v_cmp_gt_i64_e32 vcc_lo, v[2:3], v[19:20]
	s_delay_alu instid0(VALU_DEP_3) | instskip(NEXT) | instid1(VALU_DEP_1)
	v_add_co_u32 v4, s0, v4, v10
	v_add_co_ci_u32_e64 v5, s0, 0, v5, s0
	v_cndmask_b32_e64 v8, 0, 1, vcc_lo
	s_delay_alu instid0(VALU_DEP_3) | instskip(NEXT) | instid1(VALU_DEP_3)
	v_add_co_u32 v4, vcc_lo, v4, v11
	v_add_co_ci_u32_e32 v5, vcc_lo, 0, v5, vcc_lo
	v_cmp_gt_i64_e32 vcc_lo, v[2:3], v[21:22]
	s_delay_alu instid0(VALU_DEP_3) | instskip(NEXT) | instid1(VALU_DEP_1)
	v_add_co_u32 v4, s0, v4, v7
	v_add_co_ci_u32_e64 v5, s0, 0, v5, s0
	v_cndmask_b32_e64 v7, 0, 1, vcc_lo
	s_delay_alu instid0(VALU_DEP_3) | instskip(NEXT) | instid1(VALU_DEP_3)
	v_add_co_u32 v4, vcc_lo, v4, v8
	v_add_co_ci_u32_e32 v5, vcc_lo, 0, v5, vcc_lo
	s_delay_alu instid0(VALU_DEP_2) | instskip(NEXT) | instid1(VALU_DEP_2)
	v_add_co_u32 v4, vcc_lo, v4, v7
	v_add_co_ci_u32_e32 v5, vcc_lo, 0, v5, vcc_lo
	s_cbranch_scc0 .LBB144_88
; %bb.89:                               ;   in Loop: Header=BB144_86 Depth=1
	s_mov_b64 s[0:1], s[2:3]
.LBB144_90:                             ;   in Loop: Header=BB144_86 Depth=1
	s_and_not1_b32 vcc_lo, exec_lo, s13
	s_cbranch_vccnz .LBB144_85
; %bb.91:                               ;   in Loop: Header=BB144_86 Depth=1
	s_lshl_b32 s0, s0, 3
	s_delay_alu instid0(SALU_CYCLE_1)
	s_add_i32 s10, s0, 0
	s_mov_b64 s[0:1], s[6:7]
.LBB144_92:                             ;   Parent Loop BB144_86 Depth=1
                                        ; =>  This Inner Loop Header: Depth=2
	v_mov_b32_e32 v7, s10
	s_add_i32 s10, s10, 8
	s_add_u32 s0, s0, -1
	s_addc_u32 s1, s1, -1
	s_delay_alu instid0(SALU_CYCLE_1) | instskip(SKIP_4) | instid1(VALU_DEP_1)
	s_cmp_lg_u64 s[0:1], 0
	ds_load_b64 v[7:8], v7
	s_waitcnt lgkmcnt(0)
	v_cmp_gt_i64_e32 vcc_lo, v[2:3], v[7:8]
	v_cndmask_b32_e64 v7, 0, 1, vcc_lo
	v_add_co_u32 v4, vcc_lo, v4, v7
	v_add_co_ci_u32_e32 v5, vcc_lo, 0, v5, vcc_lo
	s_cbranch_scc1 .LBB144_92
	s_branch .LBB144_85
.LBB144_93:
	s_nop 0
	s_sendmsg sendmsg(MSG_DEALLOC_VGPRS)
	s_endpgm
	.section	.rodata,"a",@progbits
	.p2align	6, 0x0
	.amdhsa_kernel _ZN9rocsparseL41csrgemm_numeric_fill_block_per_row_kernelILj256ELj32ELj512ELj137ELj32Ell21rocsparse_complex_numIdEEEvT5_PKS3_S5_NS_24const_host_device_scalarIT6_EEPKT4_S5_PKS7_SB_S5_SD_S8_SB_S5_SD_SB_S5_PS7_21rocsparse_index_base_SF_SF_SF_bbb
		.amdhsa_group_segment_fixed_size 0
		.amdhsa_private_segment_fixed_size 40
		.amdhsa_kernarg_size 172
		.amdhsa_user_sgpr_count 15
		.amdhsa_user_sgpr_dispatch_ptr 0
		.amdhsa_user_sgpr_queue_ptr 0
		.amdhsa_user_sgpr_kernarg_segment_ptr 1
		.amdhsa_user_sgpr_dispatch_id 0
		.amdhsa_user_sgpr_private_segment_size 0
		.amdhsa_wavefront_size32 1
		.amdhsa_uses_dynamic_stack 0
		.amdhsa_enable_private_segment 1
		.amdhsa_system_sgpr_workgroup_id_x 1
		.amdhsa_system_sgpr_workgroup_id_y 0
		.amdhsa_system_sgpr_workgroup_id_z 0
		.amdhsa_system_sgpr_workgroup_info 0
		.amdhsa_system_vgpr_workitem_id 0
		.amdhsa_next_free_vgpr 37
		.amdhsa_next_free_sgpr 44
		.amdhsa_reserve_vcc 1
		.amdhsa_float_round_mode_32 0
		.amdhsa_float_round_mode_16_64 0
		.amdhsa_float_denorm_mode_32 3
		.amdhsa_float_denorm_mode_16_64 3
		.amdhsa_dx10_clamp 1
		.amdhsa_ieee_mode 1
		.amdhsa_fp16_overflow 0
		.amdhsa_workgroup_processor_mode 1
		.amdhsa_memory_ordered 1
		.amdhsa_forward_progress 0
		.amdhsa_shared_vgpr_count 0
		.amdhsa_exception_fp_ieee_invalid_op 0
		.amdhsa_exception_fp_denorm_src 0
		.amdhsa_exception_fp_ieee_div_zero 0
		.amdhsa_exception_fp_ieee_overflow 0
		.amdhsa_exception_fp_ieee_underflow 0
		.amdhsa_exception_fp_ieee_inexact 0
		.amdhsa_exception_int_div_zero 0
	.end_amdhsa_kernel
	.section	.text._ZN9rocsparseL41csrgemm_numeric_fill_block_per_row_kernelILj256ELj32ELj512ELj137ELj32Ell21rocsparse_complex_numIdEEEvT5_PKS3_S5_NS_24const_host_device_scalarIT6_EEPKT4_S5_PKS7_SB_S5_SD_S8_SB_S5_SD_SB_S5_PS7_21rocsparse_index_base_SF_SF_SF_bbb,"axG",@progbits,_ZN9rocsparseL41csrgemm_numeric_fill_block_per_row_kernelILj256ELj32ELj512ELj137ELj32Ell21rocsparse_complex_numIdEEEvT5_PKS3_S5_NS_24const_host_device_scalarIT6_EEPKT4_S5_PKS7_SB_S5_SD_S8_SB_S5_SD_SB_S5_PS7_21rocsparse_index_base_SF_SF_SF_bbb,comdat
.Lfunc_end144:
	.size	_ZN9rocsparseL41csrgemm_numeric_fill_block_per_row_kernelILj256ELj32ELj512ELj137ELj32Ell21rocsparse_complex_numIdEEEvT5_PKS3_S5_NS_24const_host_device_scalarIT6_EEPKT4_S5_PKS7_SB_S5_SD_S8_SB_S5_SD_SB_S5_PS7_21rocsparse_index_base_SF_SF_SF_bbb, .Lfunc_end144-_ZN9rocsparseL41csrgemm_numeric_fill_block_per_row_kernelILj256ELj32ELj512ELj137ELj32Ell21rocsparse_complex_numIdEEEvT5_PKS3_S5_NS_24const_host_device_scalarIT6_EEPKT4_S5_PKS7_SB_S5_SD_S8_SB_S5_SD_SB_S5_PS7_21rocsparse_index_base_SF_SF_SF_bbb
                                        ; -- End function
	.section	.AMDGPU.csdata,"",@progbits
; Kernel info:
; codeLenInByte = 4016
; NumSgprs: 46
; NumVgprs: 37
; ScratchSize: 40
; MemoryBound: 0
; FloatMode: 240
; IeeeMode: 1
; LDSByteSize: 0 bytes/workgroup (compile time only)
; SGPRBlocks: 5
; VGPRBlocks: 4
; NumSGPRsForWavesPerEU: 46
; NumVGPRsForWavesPerEU: 37
; Occupancy: 16
; WaveLimiterHint : 1
; COMPUTE_PGM_RSRC2:SCRATCH_EN: 1
; COMPUTE_PGM_RSRC2:USER_SGPR: 15
; COMPUTE_PGM_RSRC2:TRAP_HANDLER: 0
; COMPUTE_PGM_RSRC2:TGID_X_EN: 1
; COMPUTE_PGM_RSRC2:TGID_Y_EN: 0
; COMPUTE_PGM_RSRC2:TGID_Z_EN: 0
; COMPUTE_PGM_RSRC2:TIDIG_COMP_CNT: 0
	.section	.text._ZN9rocsparseL41csrgemm_numeric_fill_block_per_row_kernelILj256ELj32ELj512ELj137ELj64Ell21rocsparse_complex_numIdEEEvT5_PKS3_S5_NS_24const_host_device_scalarIT6_EEPKT4_S5_PKS7_SB_S5_SD_S8_SB_S5_SD_SB_S5_PS7_21rocsparse_index_base_SF_SF_SF_bbb,"axG",@progbits,_ZN9rocsparseL41csrgemm_numeric_fill_block_per_row_kernelILj256ELj32ELj512ELj137ELj64Ell21rocsparse_complex_numIdEEEvT5_PKS3_S5_NS_24const_host_device_scalarIT6_EEPKT4_S5_PKS7_SB_S5_SD_S8_SB_S5_SD_SB_S5_PS7_21rocsparse_index_base_SF_SF_SF_bbb,comdat
	.globl	_ZN9rocsparseL41csrgemm_numeric_fill_block_per_row_kernelILj256ELj32ELj512ELj137ELj64Ell21rocsparse_complex_numIdEEEvT5_PKS3_S5_NS_24const_host_device_scalarIT6_EEPKT4_S5_PKS7_SB_S5_SD_S8_SB_S5_SD_SB_S5_PS7_21rocsparse_index_base_SF_SF_SF_bbb ; -- Begin function _ZN9rocsparseL41csrgemm_numeric_fill_block_per_row_kernelILj256ELj32ELj512ELj137ELj64Ell21rocsparse_complex_numIdEEEvT5_PKS3_S5_NS_24const_host_device_scalarIT6_EEPKT4_S5_PKS7_SB_S5_SD_S8_SB_S5_SD_SB_S5_PS7_21rocsparse_index_base_SF_SF_SF_bbb
	.p2align	8
	.type	_ZN9rocsparseL41csrgemm_numeric_fill_block_per_row_kernelILj256ELj32ELj512ELj137ELj64Ell21rocsparse_complex_numIdEEEvT5_PKS3_S5_NS_24const_host_device_scalarIT6_EEPKT4_S5_PKS7_SB_S5_SD_S8_SB_S5_SD_SB_S5_PS7_21rocsparse_index_base_SF_SF_SF_bbb,@function
_ZN9rocsparseL41csrgemm_numeric_fill_block_per_row_kernelILj256ELj32ELj512ELj137ELj64Ell21rocsparse_complex_numIdEEEvT5_PKS3_S5_NS_24const_host_device_scalarIT6_EEPKT4_S5_PKS7_SB_S5_SD_S8_SB_S5_SD_SB_S5_PS7_21rocsparse_index_base_SF_SF_SF_bbb: ; @_ZN9rocsparseL41csrgemm_numeric_fill_block_per_row_kernelILj256ELj32ELj512ELj137ELj64Ell21rocsparse_complex_numIdEEEvT5_PKS3_S5_NS_24const_host_device_scalarIT6_EEPKT4_S5_PKS7_SB_S5_SD_S8_SB_S5_SD_SB_S5_PS7_21rocsparse_index_base_SF_SF_SF_bbb
; %bb.0:
	s_clause 0x2
	s_load_b32 s12, s[0:1], 0xa8
	s_load_b128 s[8:11], s[0:1], 0x18
	s_load_b128 s[4:7], s[0:1], 0x58
	v_mov_b32_e32 v1, 0
	v_mov_b32_e32 v2, 0
	s_mov_b32 s36, s15
	s_waitcnt lgkmcnt(0)
	s_bitcmp1_b32 s12, 0
	v_mov_b32_e32 v3, s8
	s_cselect_b32 s40, -1, 0
	s_bitcmp1_b32 s12, 16
	v_dual_mov_b32 v6, v2 :: v_dual_mov_b32 v5, v1
	s_cselect_b32 s2, -1, 0
	v_mov_b32_e32 v4, s9
	s_xor_b32 s3, s2, -1
	v_dual_mov_b32 v10, s5 :: v_dual_mov_b32 v9, s4
	v_cndmask_b32_e64 v7, 0, 1, s3
	s_bitcmp0_b32 s12, 0
	s_clause 0x1
	scratch_store_b64 off, v[3:4], off offset:16
	scratch_store_b64 off, v[9:10], off offset:24
	v_cmp_ne_u32_e32 vcc_lo, 1, v7
	v_dual_mov_b32 v8, v2 :: v_dual_mov_b32 v7, v1
	s_cbranch_scc1 .LBB145_3
; %bb.1:
	s_mov_b64 s[14:15], src_private_base
	s_and_b32 s13, s2, exec_lo
	s_cselect_b32 s13, s15, s9
	s_delay_alu instid0(SALU_CYCLE_1) | instskip(SKIP_2) | instid1(VALU_DEP_2)
	v_dual_mov_b32 v3, 16 :: v_dual_mov_b32 v4, s13
	v_dual_mov_b32 v7, s10 :: v_dual_mov_b32 v8, s11
	s_and_b32 vcc_lo, exec_lo, vcc_lo
	v_cndmask_b32_e64 v3, s8, v3, s2
	flat_load_b64 v[5:6], v[3:4]
	s_cbranch_vccnz .LBB145_3
; %bb.2:
	v_dual_mov_b32 v3, s8 :: v_dual_mov_b32 v4, s9
	flat_load_b64 v[7:8], v[3:4] offset:8
.LBB145_3:
	s_load_b128 s[20:23], s[0:1], 0x98
	s_bitcmp1_b32 s12, 8
	v_dual_mov_b32 v4, v2 :: v_dual_mov_b32 v3, v1
	s_cselect_b32 s33, -1, 0
	s_bfe_u32 s8, s12, 0x10008
	s_delay_alu instid0(SALU_CYCLE_1)
	s_cmp_eq_u32 s8, 0
	s_cbranch_scc1 .LBB145_6
; %bb.4:
	s_mov_b64 s[8:9], src_private_base
	s_and_b32 s8, s2, exec_lo
	s_cselect_b32 s8, s9, s5
	s_delay_alu instid0(SALU_CYCLE_1) | instskip(SKIP_1) | instid1(VALU_DEP_1)
	v_dual_mov_b32 v1, 24 :: v_dual_mov_b32 v2, s8
	s_and_not1_b32 vcc_lo, exec_lo, s3
	v_cndmask_b32_e64 v1, s4, v1, s2
	flat_load_b64 v[3:4], v[1:2]
	v_dual_mov_b32 v1, s6 :: v_dual_mov_b32 v2, s7
	s_cbranch_vccnz .LBB145_6
; %bb.5:
	v_dual_mov_b32 v1, s4 :: v_dual_mov_b32 v2, s5
	flat_load_b64 v[1:2], v[1:2] offset:8
.LBB145_6:
	s_clause 0x5
	s_load_b64 s[34:35], s[0:1], 0x90
	s_load_b256 s[4:11], s[0:1], 0x68
	s_load_b128 s[28:31], s[0:1], 0x48
	s_load_b128 s[24:27], s[0:1], 0x0
	s_load_b64 s[2:3], s[0:1], 0x10
	s_load_b256 s[12:19], s[0:1], 0x28
	v_cmp_gt_u32_e64 s0, 0x200, v0
	v_lshlrev_b32_e32 v29, 4, v0
	v_or_b32_e32 v27, 0xffffff00, v0
	v_lshl_add_u32 v28, v0, 3, 0
	s_delay_alu instid0(VALU_DEP_4)
	s_and_saveexec_b32 s1, s0
	s_cbranch_execz .LBB145_9
; %bb.7:
	s_mov_b32 s38, 0
	v_add3_u32 v15, v29, 0, 0x1000
	s_mov_b32 s39, s38
	s_mov_b32 s42, s38
	;; [unrolled: 1-line block ×3, first 2 shown]
	v_or_b32_e32 v16, 0xffffff00, v0
	v_lshl_add_u32 v17, v0, 3, 0
	s_waitcnt lgkmcnt(0)
	v_dual_mov_b32 v9, s24 :: v_dual_mov_b32 v10, s25
	v_dual_mov_b32 v11, s38 :: v_dual_mov_b32 v12, s39
	;; [unrolled: 1-line block ×3, first 2 shown]
.LBB145_8:                              ; =>This Inner Loop Header: Depth=1
	v_add_co_u32 v16, s37, 0x100, v16
	s_delay_alu instid0(VALU_DEP_1)
	s_xor_b32 s37, s37, -1
	ds_store_b64 v17, v[9:10]
	ds_store_2addr_b64 v15, v[11:12], v[13:14] offset1:1
	v_add_nc_u32_e32 v15, 0x1000, v15
	v_add_nc_u32_e32 v17, 0x800, v17
	s_and_b32 s37, exec_lo, s37
	s_delay_alu instid0(SALU_CYCLE_1) | instskip(NEXT) | instid1(SALU_CYCLE_1)
	s_or_b32 s38, s37, s38
	s_and_not1_b32 exec_lo, exec_lo, s38
	s_cbranch_execnz .LBB145_8
.LBB145_9:
	s_or_b32 exec_lo, exec_lo, s1
	s_waitcnt vmcnt(0) lgkmcnt(0)
	s_waitcnt_vscnt null, 0x0
	s_barrier
	buffer_gl0_inv
	s_load_b64 s[26:27], s[26:27], 0x0
	s_mov_b32 s37, 0
	s_waitcnt lgkmcnt(0)
	s_lshl_b64 s[26:27], s[26:27], 3
	s_delay_alu instid0(SALU_CYCLE_1) | instskip(SKIP_2) | instid1(SALU_CYCLE_1)
	s_add_u32 s1, s2, s26
	s_addc_u32 s26, s3, s27
	s_lshl_b64 s[2:3], s[36:37], 3
	s_add_u32 s2, s1, s2
	s_addc_u32 s3, s26, s3
	s_and_b32 vcc_lo, exec_lo, s40
	s_load_b64 s[26:27], s[2:3], 0x0
	s_cbranch_vccz .LBB145_37
; %bb.10:
	s_waitcnt lgkmcnt(0)
	s_lshl_b64 s[2:3], s[26:27], 3
	v_lshrrev_b32_e32 v9, 5, v0
	s_add_u32 s2, s12, s2
	s_addc_u32 s3, s13, s3
	s_load_b128 s[36:39], s[2:3], 0x0
	s_delay_alu instid0(VALU_DEP_1) | instskip(NEXT) | instid1(VALU_DEP_1)
	v_sub_co_u32 v9, s1, v9, s20
	v_sub_co_ci_u32_e64 v10, null, 0, 0, s1
	s_mov_b32 s1, exec_lo
	s_waitcnt lgkmcnt(0)
	s_delay_alu instid0(VALU_DEP_2) | instskip(NEXT) | instid1(VALU_DEP_2)
	v_add_co_u32 v9, vcc_lo, s36, v9
	v_add_co_ci_u32_e32 v10, vcc_lo, s37, v10, vcc_lo
	s_sub_u32 s2, s38, s20
	s_subb_u32 s3, s39, 0
	s_delay_alu instid0(VALU_DEP_1) | instid1(SALU_CYCLE_1)
	v_cmpx_gt_i64_e64 s[2:3], v[9:10]
	s_cbranch_execz .LBB145_36
; %bb.11:
	v_and_b32_e32 v11, 31, v0
	s_mov_b32 s13, s21
	s_delay_alu instid0(VALU_DEP_1) | instskip(NEXT) | instid1(VALU_DEP_1)
	v_sub_co_u32 v30, s12, v11, s21
	v_sub_co_ci_u32_e64 v31, null, 0, 0, s12
	s_mov_b32 s12, 0
	s_branch .LBB145_13
.LBB145_12:                             ;   in Loop: Header=BB145_13 Depth=1
	s_or_b32 exec_lo, exec_lo, s21
	v_add_co_u32 v9, vcc_lo, v9, 8
	v_add_co_ci_u32_e32 v10, vcc_lo, 0, v10, vcc_lo
	s_delay_alu instid0(VALU_DEP_1) | instskip(SKIP_1) | instid1(SALU_CYCLE_1)
	v_cmp_le_i64_e32 vcc_lo, s[2:3], v[9:10]
	s_or_b32 s12, vcc_lo, s12
	s_and_not1_b32 exec_lo, exec_lo, s12
	s_cbranch_execz .LBB145_36
.LBB145_13:                             ; =>This Loop Header: Depth=1
                                        ;     Child Loop BB145_16 Depth 2
                                        ;       Child Loop BB145_18 Depth 3
                                        ;         Child Loop BB145_24 Depth 4
                                        ;         Child Loop BB145_26 Depth 4
	;; [unrolled: 1-line block ×4, first 2 shown]
	v_lshlrev_b64 v[11:12], 3, v[9:10]
	s_mov_b32 s21, exec_lo
	s_delay_alu instid0(VALU_DEP_1) | instskip(NEXT) | instid1(VALU_DEP_2)
	v_add_co_u32 v11, vcc_lo, s14, v11
	v_add_co_ci_u32_e32 v12, vcc_lo, s15, v12, vcc_lo
	global_load_b64 v[11:12], v[11:12], off
	s_waitcnt vmcnt(0)
	v_sub_co_u32 v11, vcc_lo, v11, s20
	v_subrev_co_ci_u32_e32 v12, vcc_lo, 0, v12, vcc_lo
	s_delay_alu instid0(VALU_DEP_1) | instskip(NEXT) | instid1(VALU_DEP_1)
	v_lshlrev_b64 v[11:12], 3, v[11:12]
	v_add_co_u32 v11, vcc_lo, s18, v11
	s_delay_alu instid0(VALU_DEP_2)
	v_add_co_ci_u32_e32 v12, vcc_lo, s19, v12, vcc_lo
	global_load_b128 v[13:16], v[11:12], off
	s_waitcnt vmcnt(0)
	v_sub_co_u32 v11, vcc_lo, v15, s13
	v_subrev_co_ci_u32_e32 v12, vcc_lo, 0, v16, vcc_lo
	v_add_co_u32 v13, vcc_lo, v13, v30
	v_add_co_ci_u32_e32 v14, vcc_lo, v14, v31, vcc_lo
	s_delay_alu instid0(VALU_DEP_1)
	v_cmpx_lt_i64_e64 v[13:14], v[11:12]
	s_cbranch_execz .LBB145_12
; %bb.14:                               ;   in Loop: Header=BB145_13 Depth=1
	v_lshlrev_b64 v[15:16], 4, v[9:10]
	s_mov_b32 s36, 0
	s_delay_alu instid0(VALU_DEP_1) | instskip(NEXT) | instid1(VALU_DEP_2)
	v_add_co_u32 v15, vcc_lo, s16, v15
	v_add_co_ci_u32_e32 v16, vcc_lo, s17, v16, vcc_lo
	global_load_b128 v[17:20], v[15:16], off
	s_waitcnt vmcnt(0)
	v_mul_f64 v[15:16], v[19:20], -v[7:8]
	v_mul_f64 v[19:20], v[5:6], v[19:20]
	s_delay_alu instid0(VALU_DEP_2) | instskip(NEXT) | instid1(VALU_DEP_2)
	v_fma_f64 v[15:16], v[5:6], v[17:18], v[15:16]
	v_fma_f64 v[17:18], v[7:8], v[17:18], v[19:20]
	s_branch .LBB145_16
.LBB145_15:                             ;   in Loop: Header=BB145_16 Depth=2
	s_or_b32 exec_lo, exec_lo, s37
	v_add_co_u32 v13, vcc_lo, v13, 32
	v_add_co_ci_u32_e32 v14, vcc_lo, 0, v14, vcc_lo
	s_delay_alu instid0(VALU_DEP_1) | instskip(SKIP_1) | instid1(SALU_CYCLE_1)
	v_cmp_ge_i64_e32 vcc_lo, v[13:14], v[11:12]
	s_or_b32 s36, vcc_lo, s36
	s_and_not1_b32 exec_lo, exec_lo, s36
	s_cbranch_execz .LBB145_12
.LBB145_16:                             ;   Parent Loop BB145_13 Depth=1
                                        ; =>  This Loop Header: Depth=2
                                        ;       Child Loop BB145_18 Depth 3
                                        ;         Child Loop BB145_24 Depth 4
                                        ;         Child Loop BB145_26 Depth 4
	;; [unrolled: 1-line block ×4, first 2 shown]
	v_lshlrev_b64 v[19:20], 4, v[13:14]
	s_mov_b32 s37, 0
	s_delay_alu instid0(VALU_DEP_1) | instskip(NEXT) | instid1(VALU_DEP_2)
	v_add_co_u32 v19, vcc_lo, s30, v19
	v_add_co_ci_u32_e32 v20, vcc_lo, s31, v20, vcc_lo
	global_load_b128 v[21:24], v[19:20], off
	v_lshlrev_b64 v[19:20], 3, v[13:14]
	s_delay_alu instid0(VALU_DEP_1) | instskip(NEXT) | instid1(VALU_DEP_2)
	v_add_co_u32 v19, vcc_lo, s28, v19
	v_add_co_ci_u32_e32 v20, vcc_lo, s29, v20, vcc_lo
	global_load_b64 v[25:26], v[19:20], off
	s_waitcnt vmcnt(1)
	v_mul_f64 v[19:20], v[23:24], -v[17:18]
	v_mul_f64 v[23:24], v[15:16], v[23:24]
	s_delay_alu instid0(VALU_DEP_2) | instskip(NEXT) | instid1(VALU_DEP_2)
	v_fma_f64 v[19:20], v[15:16], v[21:22], v[19:20]
	v_fma_f64 v[21:22], v[17:18], v[21:22], v[23:24]
	s_waitcnt vmcnt(0)
	v_sub_co_u32 v23, vcc_lo, v25, s13
	v_subrev_co_ci_u32_e32 v24, vcc_lo, 0, v26, vcc_lo
	s_delay_alu instid0(VALU_DEP_2) | instskip(NEXT) | instid1(VALU_DEP_1)
	v_mul_lo_u32 v25, 0x89, v23
	v_and_b32_e32 v32, 0x1ff, v25
	s_branch .LBB145_18
.LBB145_17:                             ;   in Loop: Header=BB145_18 Depth=3
	s_or_b32 exec_lo, exec_lo, s38
	s_xor_b32 s38, s39, -1
	s_delay_alu instid0(SALU_CYCLE_1) | instskip(NEXT) | instid1(SALU_CYCLE_1)
	s_and_b32 s38, exec_lo, s38
	s_or_b32 s37, s38, s37
	s_delay_alu instid0(SALU_CYCLE_1)
	s_and_not1_b32 exec_lo, exec_lo, s37
	s_cbranch_execz .LBB145_15
.LBB145_18:                             ;   Parent Loop BB145_13 Depth=1
                                        ;     Parent Loop BB145_16 Depth=2
                                        ; =>    This Loop Header: Depth=3
                                        ;         Child Loop BB145_24 Depth 4
                                        ;         Child Loop BB145_26 Depth 4
	;; [unrolled: 1-line block ×4, first 2 shown]
	s_delay_alu instid0(VALU_DEP_1)
	v_lshl_add_u32 v33, v32, 3, 0
	s_mov_b32 s38, exec_lo
                                        ; implicit-def: $sgpr39
	ds_load_b64 v[25:26], v33
	s_waitcnt lgkmcnt(0)
	v_cmpx_ne_u64_e64 v[25:26], v[23:24]
	s_xor_b32 s38, exec_lo, s38
	s_cbranch_execz .LBB145_30
; %bb.19:                               ;   in Loop: Header=BB145_18 Depth=3
	s_mov_b32 s40, exec_lo
                                        ; implicit-def: $sgpr39
	v_cmpx_ne_u64_e64 s[24:25], v[25:26]
	s_xor_b32 s40, exec_lo, s40
; %bb.20:                               ;   in Loop: Header=BB145_18 Depth=3
	v_add_nc_u32_e32 v25, 1, v32
	s_mov_b32 s39, -1
                                        ; implicit-def: $vgpr33
	s_delay_alu instid0(VALU_DEP_1)
	v_and_b32_e32 v32, 0x1ff, v25
; %bb.21:                               ;   in Loop: Header=BB145_18 Depth=3
	s_and_not1_saveexec_b32 s40, s40
	s_cbranch_execz .LBB145_29
; %bb.22:                               ;   in Loop: Header=BB145_18 Depth=3
	v_dual_mov_b32 v26, s25 :: v_dual_mov_b32 v25, s24
	s_mov_b32 s42, -1
	s_mov_b32 s41, exec_lo
	ds_cmpstore_rtn_b64 v[25:26], v33, v[23:24], v[25:26]
	s_waitcnt lgkmcnt(0)
	v_cmpx_eq_u64_e64 s[24:25], v[25:26]
	s_cbranch_execz .LBB145_28
; %bb.23:                               ;   in Loop: Header=BB145_18 Depth=3
	v_lshlrev_b32_e32 v25, 3, v32
	s_mov_b32 s42, 0
	s_delay_alu instid0(VALU_DEP_1)
	v_add_nc_u32_e32 v33, v33, v25
	ds_load_b64 v[25:26], v33 offset:4096
.LBB145_24:                             ;   Parent Loop BB145_13 Depth=1
                                        ;     Parent Loop BB145_16 Depth=2
                                        ;       Parent Loop BB145_18 Depth=3
                                        ; =>      This Inner Loop Header: Depth=4
	s_waitcnt lgkmcnt(0)
	v_add_f64 v[34:35], v[25:26], v[19:20]
	ds_cmpstore_rtn_b64 v[34:35], v33, v[34:35], v[25:26] offset:4096
	s_waitcnt lgkmcnt(0)
	v_cmp_eq_u64_e32 vcc_lo, v[34:35], v[25:26]
	v_dual_mov_b32 v25, v34 :: v_dual_mov_b32 v26, v35
	s_or_b32 s42, vcc_lo, s42
	s_delay_alu instid0(SALU_CYCLE_1)
	s_and_not1_b32 exec_lo, exec_lo, s42
	s_cbranch_execnz .LBB145_24
; %bb.25:                               ;   in Loop: Header=BB145_18 Depth=3
	s_or_b32 exec_lo, exec_lo, s42
	ds_load_b64 v[25:26], v33 offset:4104
	s_mov_b32 s42, 0
.LBB145_26:                             ;   Parent Loop BB145_13 Depth=1
                                        ;     Parent Loop BB145_16 Depth=2
                                        ;       Parent Loop BB145_18 Depth=3
                                        ; =>      This Inner Loop Header: Depth=4
	s_waitcnt lgkmcnt(0)
	v_add_f64 v[34:35], v[25:26], v[21:22]
	ds_cmpstore_rtn_b64 v[34:35], v33, v[34:35], v[25:26] offset:4104
	s_waitcnt lgkmcnt(0)
	v_cmp_eq_u64_e32 vcc_lo, v[34:35], v[25:26]
	v_dual_mov_b32 v25, v34 :: v_dual_mov_b32 v26, v35
	s_or_b32 s42, vcc_lo, s42
	s_delay_alu instid0(SALU_CYCLE_1)
	s_and_not1_b32 exec_lo, exec_lo, s42
	s_cbranch_execnz .LBB145_26
; %bb.27:                               ;   in Loop: Header=BB145_18 Depth=3
	s_or_b32 exec_lo, exec_lo, s42
	s_delay_alu instid0(SALU_CYCLE_1)
	s_xor_b32 s42, exec_lo, -1
.LBB145_28:                             ;   in Loop: Header=BB145_18 Depth=3
	s_or_b32 exec_lo, exec_lo, s41
	s_delay_alu instid0(SALU_CYCLE_1) | instskip(SKIP_1) | instid1(SALU_CYCLE_1)
	s_and_not1_b32 s39, s39, exec_lo
	s_and_b32 s41, s42, exec_lo
	s_or_b32 s39, s39, s41
.LBB145_29:                             ;   in Loop: Header=BB145_18 Depth=3
	s_or_b32 exec_lo, exec_lo, s40
	s_delay_alu instid0(SALU_CYCLE_1)
	s_and_b32 s39, s39, exec_lo
                                        ; implicit-def: $vgpr33
.LBB145_30:                             ;   in Loop: Header=BB145_18 Depth=3
	s_and_not1_saveexec_b32 s38, s38
	s_cbranch_execz .LBB145_17
; %bb.31:                               ;   in Loop: Header=BB145_18 Depth=3
	v_lshlrev_b32_e32 v25, 3, v32
	s_mov_b32 s40, 0
	s_delay_alu instid0(VALU_DEP_1)
	v_add_nc_u32_e32 v33, v33, v25
	ds_load_b64 v[25:26], v33 offset:4096
.LBB145_32:                             ;   Parent Loop BB145_13 Depth=1
                                        ;     Parent Loop BB145_16 Depth=2
                                        ;       Parent Loop BB145_18 Depth=3
                                        ; =>      This Inner Loop Header: Depth=4
	s_waitcnt lgkmcnt(0)
	v_add_f64 v[34:35], v[25:26], v[19:20]
	ds_cmpstore_rtn_b64 v[34:35], v33, v[34:35], v[25:26] offset:4096
	s_waitcnt lgkmcnt(0)
	v_cmp_eq_u64_e32 vcc_lo, v[34:35], v[25:26]
	v_dual_mov_b32 v25, v34 :: v_dual_mov_b32 v26, v35
	s_or_b32 s40, vcc_lo, s40
	s_delay_alu instid0(SALU_CYCLE_1)
	s_and_not1_b32 exec_lo, exec_lo, s40
	s_cbranch_execnz .LBB145_32
; %bb.33:                               ;   in Loop: Header=BB145_18 Depth=3
	s_or_b32 exec_lo, exec_lo, s40
	ds_load_b64 v[25:26], v33 offset:4104
	s_mov_b32 s40, 0
.LBB145_34:                             ;   Parent Loop BB145_13 Depth=1
                                        ;     Parent Loop BB145_16 Depth=2
                                        ;       Parent Loop BB145_18 Depth=3
                                        ; =>      This Inner Loop Header: Depth=4
	s_waitcnt lgkmcnt(0)
	v_add_f64 v[34:35], v[25:26], v[21:22]
	ds_cmpstore_rtn_b64 v[34:35], v33, v[34:35], v[25:26] offset:4104
	s_waitcnt lgkmcnt(0)
	v_cmp_eq_u64_e32 vcc_lo, v[34:35], v[25:26]
	v_dual_mov_b32 v25, v34 :: v_dual_mov_b32 v26, v35
	s_or_b32 s40, vcc_lo, s40
	s_delay_alu instid0(SALU_CYCLE_1)
	s_and_not1_b32 exec_lo, exec_lo, s40
	s_cbranch_execnz .LBB145_34
; %bb.35:                               ;   in Loop: Header=BB145_18 Depth=3
	s_or_b32 exec_lo, exec_lo, s40
	s_delay_alu instid0(SALU_CYCLE_1)
	s_and_not1_b32 s39, s39, exec_lo
	s_branch .LBB145_17
.LBB145_36:
	s_or_b32 exec_lo, exec_lo, s1
.LBB145_37:
	s_delay_alu instid0(SALU_CYCLE_1)
	s_and_not1_b32 vcc_lo, exec_lo, s33
	s_cbranch_vccnz .LBB145_62
; %bb.38:
	s_waitcnt lgkmcnt(0)
	s_lshl_b64 s[2:3], s[26:27], 3
	v_sub_co_u32 v5, s1, v0, s23
	s_add_u32 s2, s4, s2
	s_addc_u32 s3, s5, s3
	v_sub_co_ci_u32_e64 v6, null, 0, 0, s1
	s_load_b128 s[12:15], s[2:3], 0x0
	s_mov_b32 s1, 0
	s_mov_b32 s4, exec_lo
	s_waitcnt lgkmcnt(0)
	v_add_co_u32 v5, vcc_lo, s12, v5
	v_add_co_ci_u32_e32 v6, vcc_lo, s13, v6, vcc_lo
	s_sub_u32 s2, s14, s23
	s_subb_u32 s3, s15, 0
	s_delay_alu instid0(VALU_DEP_1) | instid1(SALU_CYCLE_1)
	v_cmpx_gt_i64_e64 s[2:3], v[5:6]
	s_cbranch_execz .LBB145_61
; %bb.39:
	s_mov_b32 s5, s23
	s_branch .LBB145_41
.LBB145_40:                             ;   in Loop: Header=BB145_41 Depth=1
	s_or_b32 exec_lo, exec_lo, s12
	v_add_co_u32 v5, vcc_lo, 0x100, v5
	v_add_co_ci_u32_e32 v6, vcc_lo, 0, v6, vcc_lo
	s_delay_alu instid0(VALU_DEP_1) | instskip(SKIP_1) | instid1(SALU_CYCLE_1)
	v_cmp_le_i64_e32 vcc_lo, s[2:3], v[5:6]
	s_or_b32 s1, vcc_lo, s1
	s_and_not1_b32 exec_lo, exec_lo, s1
	s_cbranch_execz .LBB145_61
.LBB145_41:                             ; =>This Loop Header: Depth=1
                                        ;     Child Loop BB145_43 Depth 2
                                        ;       Child Loop BB145_49 Depth 3
                                        ;       Child Loop BB145_51 Depth 3
	;; [unrolled: 1-line block ×4, first 2 shown]
	v_lshlrev_b64 v[7:8], 4, v[5:6]
	s_mov_b32 s12, 0
	s_delay_alu instid0(VALU_DEP_1) | instskip(NEXT) | instid1(VALU_DEP_2)
	v_add_co_u32 v7, vcc_lo, s8, v7
	v_add_co_ci_u32_e32 v8, vcc_lo, s9, v8, vcc_lo
	global_load_b128 v[9:12], v[7:8], off
	v_lshlrev_b64 v[7:8], 3, v[5:6]
	s_delay_alu instid0(VALU_DEP_1) | instskip(NEXT) | instid1(VALU_DEP_2)
	v_add_co_u32 v7, vcc_lo, s6, v7
	v_add_co_ci_u32_e32 v8, vcc_lo, s7, v8, vcc_lo
	global_load_b64 v[13:14], v[7:8], off
	s_waitcnt vmcnt(1)
	v_mul_f64 v[7:8], v[11:12], -v[1:2]
	v_mul_f64 v[11:12], v[3:4], v[11:12]
	s_delay_alu instid0(VALU_DEP_2) | instskip(NEXT) | instid1(VALU_DEP_2)
	v_fma_f64 v[7:8], v[3:4], v[9:10], v[7:8]
	v_fma_f64 v[9:10], v[1:2], v[9:10], v[11:12]
	s_waitcnt vmcnt(0)
	v_sub_co_u32 v11, vcc_lo, v13, s5
	v_subrev_co_ci_u32_e32 v12, vcc_lo, 0, v14, vcc_lo
	s_delay_alu instid0(VALU_DEP_2) | instskip(NEXT) | instid1(VALU_DEP_1)
	v_mul_lo_u32 v13, 0x89, v11
	v_and_b32_e32 v15, 0x1ff, v13
	s_branch .LBB145_43
.LBB145_42:                             ;   in Loop: Header=BB145_43 Depth=2
	s_or_b32 exec_lo, exec_lo, s13
	s_xor_b32 s13, s14, -1
	s_delay_alu instid0(SALU_CYCLE_1) | instskip(NEXT) | instid1(SALU_CYCLE_1)
	s_and_b32 s13, exec_lo, s13
	s_or_b32 s12, s13, s12
	s_delay_alu instid0(SALU_CYCLE_1)
	s_and_not1_b32 exec_lo, exec_lo, s12
	s_cbranch_execz .LBB145_40
.LBB145_43:                             ;   Parent Loop BB145_41 Depth=1
                                        ; =>  This Loop Header: Depth=2
                                        ;       Child Loop BB145_49 Depth 3
                                        ;       Child Loop BB145_51 Depth 3
	;; [unrolled: 1-line block ×4, first 2 shown]
	s_delay_alu instid0(VALU_DEP_1)
	v_lshl_add_u32 v16, v15, 3, 0
	s_mov_b32 s13, exec_lo
                                        ; implicit-def: $sgpr14
	ds_load_b64 v[13:14], v16
	s_waitcnt lgkmcnt(0)
	v_cmpx_ne_u64_e64 v[13:14], v[11:12]
	s_xor_b32 s13, exec_lo, s13
	s_cbranch_execz .LBB145_55
; %bb.44:                               ;   in Loop: Header=BB145_43 Depth=2
	s_mov_b32 s15, exec_lo
                                        ; implicit-def: $sgpr14
	v_cmpx_ne_u64_e64 s[24:25], v[13:14]
	s_xor_b32 s15, exec_lo, s15
; %bb.45:                               ;   in Loop: Header=BB145_43 Depth=2
	v_add_nc_u32_e32 v13, 1, v15
	s_mov_b32 s14, -1
                                        ; implicit-def: $vgpr16
	s_delay_alu instid0(VALU_DEP_1)
	v_and_b32_e32 v15, 0x1ff, v13
; %bb.46:                               ;   in Loop: Header=BB145_43 Depth=2
	s_and_not1_saveexec_b32 s15, s15
	s_cbranch_execz .LBB145_54
; %bb.47:                               ;   in Loop: Header=BB145_43 Depth=2
	v_dual_mov_b32 v13, s24 :: v_dual_mov_b32 v14, s25
	s_mov_b32 s17, -1
	s_mov_b32 s16, exec_lo
	ds_cmpstore_rtn_b64 v[13:14], v16, v[11:12], v[13:14]
	s_waitcnt lgkmcnt(0)
	v_cmpx_eq_u64_e64 s[24:25], v[13:14]
	s_cbranch_execz .LBB145_53
; %bb.48:                               ;   in Loop: Header=BB145_43 Depth=2
	v_lshlrev_b32_e32 v13, 3, v15
	s_mov_b32 s17, 0
	s_delay_alu instid0(VALU_DEP_1)
	v_add_nc_u32_e32 v16, v16, v13
	ds_load_b64 v[13:14], v16 offset:4096
.LBB145_49:                             ;   Parent Loop BB145_41 Depth=1
                                        ;     Parent Loop BB145_43 Depth=2
                                        ; =>    This Inner Loop Header: Depth=3
	s_waitcnt lgkmcnt(0)
	v_add_f64 v[17:18], v[13:14], v[7:8]
	ds_cmpstore_rtn_b64 v[17:18], v16, v[17:18], v[13:14] offset:4096
	s_waitcnt lgkmcnt(0)
	v_cmp_eq_u64_e32 vcc_lo, v[17:18], v[13:14]
	v_dual_mov_b32 v13, v17 :: v_dual_mov_b32 v14, v18
	s_or_b32 s17, vcc_lo, s17
	s_delay_alu instid0(SALU_CYCLE_1)
	s_and_not1_b32 exec_lo, exec_lo, s17
	s_cbranch_execnz .LBB145_49
; %bb.50:                               ;   in Loop: Header=BB145_43 Depth=2
	s_or_b32 exec_lo, exec_lo, s17
	ds_load_b64 v[13:14], v16 offset:4104
	s_mov_b32 s17, 0
.LBB145_51:                             ;   Parent Loop BB145_41 Depth=1
                                        ;     Parent Loop BB145_43 Depth=2
                                        ; =>    This Inner Loop Header: Depth=3
	s_waitcnt lgkmcnt(0)
	v_add_f64 v[17:18], v[13:14], v[9:10]
	ds_cmpstore_rtn_b64 v[17:18], v16, v[17:18], v[13:14] offset:4104
	s_waitcnt lgkmcnt(0)
	v_cmp_eq_u64_e32 vcc_lo, v[17:18], v[13:14]
	v_dual_mov_b32 v13, v17 :: v_dual_mov_b32 v14, v18
	s_or_b32 s17, vcc_lo, s17
	s_delay_alu instid0(SALU_CYCLE_1)
	s_and_not1_b32 exec_lo, exec_lo, s17
	s_cbranch_execnz .LBB145_51
; %bb.52:                               ;   in Loop: Header=BB145_43 Depth=2
	s_or_b32 exec_lo, exec_lo, s17
	s_delay_alu instid0(SALU_CYCLE_1)
	s_xor_b32 s17, exec_lo, -1
.LBB145_53:                             ;   in Loop: Header=BB145_43 Depth=2
	s_or_b32 exec_lo, exec_lo, s16
	s_delay_alu instid0(SALU_CYCLE_1) | instskip(SKIP_1) | instid1(SALU_CYCLE_1)
	s_and_not1_b32 s14, s14, exec_lo
	s_and_b32 s16, s17, exec_lo
	s_or_b32 s14, s14, s16
.LBB145_54:                             ;   in Loop: Header=BB145_43 Depth=2
	s_or_b32 exec_lo, exec_lo, s15
	s_delay_alu instid0(SALU_CYCLE_1)
	s_and_b32 s14, s14, exec_lo
                                        ; implicit-def: $vgpr16
.LBB145_55:                             ;   in Loop: Header=BB145_43 Depth=2
	s_and_not1_saveexec_b32 s13, s13
	s_cbranch_execz .LBB145_42
; %bb.56:                               ;   in Loop: Header=BB145_43 Depth=2
	v_lshlrev_b32_e32 v13, 3, v15
	s_mov_b32 s15, 0
	s_delay_alu instid0(VALU_DEP_1)
	v_add_nc_u32_e32 v16, v16, v13
	ds_load_b64 v[13:14], v16 offset:4096
.LBB145_57:                             ;   Parent Loop BB145_41 Depth=1
                                        ;     Parent Loop BB145_43 Depth=2
                                        ; =>    This Inner Loop Header: Depth=3
	s_waitcnt lgkmcnt(0)
	v_add_f64 v[17:18], v[13:14], v[7:8]
	ds_cmpstore_rtn_b64 v[17:18], v16, v[17:18], v[13:14] offset:4096
	s_waitcnt lgkmcnt(0)
	v_cmp_eq_u64_e32 vcc_lo, v[17:18], v[13:14]
	v_dual_mov_b32 v13, v17 :: v_dual_mov_b32 v14, v18
	s_or_b32 s15, vcc_lo, s15
	s_delay_alu instid0(SALU_CYCLE_1)
	s_and_not1_b32 exec_lo, exec_lo, s15
	s_cbranch_execnz .LBB145_57
; %bb.58:                               ;   in Loop: Header=BB145_43 Depth=2
	s_or_b32 exec_lo, exec_lo, s15
	ds_load_b64 v[13:14], v16 offset:4104
	s_mov_b32 s15, 0
.LBB145_59:                             ;   Parent Loop BB145_41 Depth=1
                                        ;     Parent Loop BB145_43 Depth=2
                                        ; =>    This Inner Loop Header: Depth=3
	s_waitcnt lgkmcnt(0)
	v_add_f64 v[17:18], v[13:14], v[9:10]
	ds_cmpstore_rtn_b64 v[17:18], v16, v[17:18], v[13:14] offset:4104
	s_waitcnt lgkmcnt(0)
	v_cmp_eq_u64_e32 vcc_lo, v[17:18], v[13:14]
	v_dual_mov_b32 v13, v17 :: v_dual_mov_b32 v14, v18
	s_or_b32 s15, vcc_lo, s15
	s_delay_alu instid0(SALU_CYCLE_1)
	s_and_not1_b32 exec_lo, exec_lo, s15
	s_cbranch_execnz .LBB145_59
; %bb.60:                               ;   in Loop: Header=BB145_43 Depth=2
	s_or_b32 exec_lo, exec_lo, s15
	s_delay_alu instid0(SALU_CYCLE_1)
	s_and_not1_b32 s14, s14, exec_lo
	s_branch .LBB145_42
.LBB145_61:
	s_or_b32 exec_lo, exec_lo, s4
.LBB145_62:
	s_waitcnt lgkmcnt(0)
	s_barrier
	buffer_gl0_inv
	s_and_saveexec_b32 s4, s0
	s_cbranch_execz .LBB145_75
; %bb.63:
	v_mbcnt_lo_u32_b32 v1, -1, 0
	v_lshrrev_b32_e32 v2, 3, v0
	v_cmp_eq_u32_e32 vcc_lo, 0xff, v0
	v_cmp_lt_u32_e64 s0, 63, v0
	v_cmp_lt_u32_e64 s1, 0x7f, v0
	v_xor_b32_e32 v1, 63, v1
	v_and_b32_e32 v3, 24, v2
	v_cmp_lt_u32_e64 s2, 0xbf, v0
	v_add3_u32 v10, v29, 0, 0x1000
	v_mov_b32_e32 v5, 0
	v_lshrrev_b64 v[1:2], v1, -1
	v_dual_mov_b32 v2, 0 :: v_dual_add_nc_u32 v11, 0, v3
	v_mov_b32_e32 v3, 0
	s_mov_b32 s5, 0
	s_branch .LBB145_65
.LBB145_64:                             ;   in Loop: Header=BB145_65 Depth=1
	s_or_b32 exec_lo, exec_lo, s3
	s_waitcnt lgkmcnt(0)
	s_barrier
	buffer_gl0_inv
	ds_load_b64 v[6:7], v5 offset:12312
	v_add_co_u32 v27, s3, 0x100, v27
	s_delay_alu instid0(VALU_DEP_1) | instskip(SKIP_4) | instid1(VALU_DEP_1)
	s_xor_b32 s6, s3, -1
	v_add_nc_u32_e32 v10, 0x1000, v10
	v_add_nc_u32_e32 v28, 0x800, v28
	s_waitcnt lgkmcnt(0)
	v_add_co_u32 v2, s3, v6, v2
	v_add_co_ci_u32_e64 v3, s3, v7, v3, s3
	s_and_b32 s3, exec_lo, s6
	s_delay_alu instid0(SALU_CYCLE_1) | instskip(NEXT) | instid1(SALU_CYCLE_1)
	s_or_b32 s5, s3, s5
	s_and_not1_b32 exec_lo, exec_lo, s5
	s_cbranch_execz .LBB145_75
.LBB145_65:                             ; =>This Inner Loop Header: Depth=1
	ds_load_b64 v[6:7], v28
	ds_load_2addr_b64 v[12:15], v10 offset1:1
	s_waitcnt lgkmcnt(1)
	v_cmp_gt_i64_e64 s3, s[24:25], v[6:7]
	s_waitcnt lgkmcnt(0)
	scratch_store_b128 off, v[12:15], off
	s_waitcnt_vscnt null, 0x0
	s_barrier
	buffer_gl0_inv
	v_and_b32_e32 v8, s3, v1
	s_bcnt1_i32_b32 s6, s3
	s_delay_alu instid0(SALU_CYCLE_1) | instskip(NEXT) | instid1(VALU_DEP_2)
	v_mov_b32_e32 v4, s6
	v_bcnt_u32_b32 v8, v8, 0
	ds_store_b64 v11, v[4:5] offset:12288
	s_waitcnt lgkmcnt(0)
	s_barrier
	buffer_gl0_inv
	s_and_saveexec_b32 s6, s0
	s_cbranch_execnz .LBB145_70
; %bb.66:                               ;   in Loop: Header=BB145_65 Depth=1
	s_or_b32 exec_lo, exec_lo, s6
	s_and_saveexec_b32 s6, s1
	s_cbranch_execnz .LBB145_71
.LBB145_67:                             ;   in Loop: Header=BB145_65 Depth=1
	s_or_b32 exec_lo, exec_lo, s6
	s_and_saveexec_b32 s6, s2
	s_cbranch_execnz .LBB145_72
.LBB145_68:                             ;   in Loop: Header=BB145_65 Depth=1
	s_or_b32 exec_lo, exec_lo, s6
	v_ashrrev_i32_e32 v9, 31, v8
	s_and_saveexec_b32 s6, s3
	s_cbranch_execnz .LBB145_73
.LBB145_69:                             ;   in Loop: Header=BB145_65 Depth=1
	s_or_b32 exec_lo, exec_lo, s6
	s_and_saveexec_b32 s3, vcc_lo
	s_cbranch_execz .LBB145_64
	s_branch .LBB145_74
.LBB145_70:                             ;   in Loop: Header=BB145_65 Depth=1
	ds_load_b32 v4, v5 offset:12288
	s_waitcnt lgkmcnt(0)
	v_add_nc_u32_e32 v8, v4, v8
	s_or_b32 exec_lo, exec_lo, s6
	s_and_saveexec_b32 s6, s1
	s_cbranch_execz .LBB145_67
.LBB145_71:                             ;   in Loop: Header=BB145_65 Depth=1
	ds_load_b32 v4, v5 offset:12296
	s_waitcnt lgkmcnt(0)
	v_add_nc_u32_e32 v8, v8, v4
	s_or_b32 exec_lo, exec_lo, s6
	s_and_saveexec_b32 s6, s2
	s_cbranch_execz .LBB145_68
.LBB145_72:                             ;   in Loop: Header=BB145_65 Depth=1
	ds_load_b32 v4, v5 offset:12304
	s_waitcnt lgkmcnt(0)
	v_add_nc_u32_e32 v8, v8, v4
	s_or_b32 exec_lo, exec_lo, s6
	s_delay_alu instid0(VALU_DEP_1)
	v_ashrrev_i32_e32 v9, 31, v8
	s_and_saveexec_b32 s6, s3
	s_cbranch_execz .LBB145_69
.LBB145_73:                             ;   in Loop: Header=BB145_65 Depth=1
	scratch_load_b128 v[12:15], off, off
	v_add3_u32 v4, v2, -1, v8
	s_delay_alu instid0(VALU_DEP_1) | instskip(SKIP_1) | instid1(VALU_DEP_2)
	v_lshlrev_b32_e32 v16, 4, v4
	v_lshl_add_u32 v4, v4, 3, 0
	v_add3_u32 v16, 0, v16, 0x1000
	ds_store_b64 v4, v[6:7]
	s_waitcnt vmcnt(0)
	ds_store_2addr_b64 v16, v[12:13], v[14:15] offset1:1
	s_or_b32 exec_lo, exec_lo, s6
	s_and_saveexec_b32 s3, vcc_lo
	s_cbranch_execz .LBB145_64
.LBB145_74:                             ;   in Loop: Header=BB145_65 Depth=1
	ds_store_b64 v5, v[8:9] offset:12312
	s_branch .LBB145_64
.LBB145_75:
	s_or_b32 exec_lo, exec_lo, s4
	s_lshl_b64 s[0:1], s[26:27], 3
	v_mov_b32_e32 v1, 0
	s_add_u32 s0, s10, s0
	s_addc_u32 s1, s11, s1
	s_mov_b32 s6, exec_lo
	s_load_b128 s[0:3], s[0:1], 0x0
	s_waitcnt lgkmcnt(0)
	s_sub_u32 s4, s2, s0
	s_subb_u32 s5, s3, s1
	s_delay_alu instid0(SALU_CYCLE_1)
	v_cmpx_gt_i64_e64 s[4:5], v[0:1]
	s_cbranch_execz .LBB145_85
; %bb.76:
	s_sub_u32 s8, s0, s22
	s_subb_u32 s9, s1, 0
	s_and_b32 s6, s4, 7
	s_sub_u32 s0, s0, s2
	s_subb_u32 s1, s1, s3
	s_mov_b32 s7, 0
	v_cmp_lt_u64_e64 s12, s[0:1], -7
	s_and_b32 s2, s4, -8
	s_cmp_lg_u64 s[6:7], 0
	s_mov_b32 s3, s5
	s_cselect_b32 s13, -1, 0
	s_mov_b32 s14, s7
	s_branch .LBB145_78
.LBB145_77:                             ;   in Loop: Header=BB145_78 Depth=1
	s_waitcnt lgkmcnt(0)
	v_lshlrev_b32_e32 v2, 3, v0
	v_add_co_u32 v0, vcc_lo, 0x100, v0
	v_add_co_ci_u32_e32 v1, vcc_lo, 0, v1, vcc_lo
	s_delay_alu instid0(VALU_DEP_3) | instskip(NEXT) | instid1(VALU_DEP_2)
	v_add3_u32 v2, v6, v2, 0x1000
	v_cmp_le_i64_e32 vcc_lo, s[4:5], v[0:1]
	ds_load_2addr_b64 v[6:9], v2 offset1:1
	v_lshlrev_b64 v[2:3], 4, v[4:5]
	s_or_b32 s14, vcc_lo, s14
	s_delay_alu instid0(VALU_DEP_1) | instskip(NEXT) | instid1(VALU_DEP_1)
	v_add_co_u32 v2, s0, s34, v2
	v_add_co_ci_u32_e64 v3, s0, s35, v3, s0
	s_waitcnt lgkmcnt(0)
	global_store_b128 v[2:3], v[6:9], off
	s_and_not1_b32 exec_lo, exec_lo, s14
	s_cbranch_execz .LBB145_85
.LBB145_78:                             ; =>This Loop Header: Depth=1
                                        ;     Child Loop BB145_80 Depth 2
                                        ;     Child Loop BB145_84 Depth 2
	v_lshl_add_u32 v6, v0, 3, 0
	v_dual_mov_b32 v4, s8 :: v_dual_mov_b32 v5, s9
	s_and_not1_b32 vcc_lo, exec_lo, s12
	s_mov_b64 s[0:1], 0
	ds_load_b64 v[2:3], v6
	s_cbranch_vccnz .LBB145_82
; %bb.79:                               ;   in Loop: Header=BB145_78 Depth=1
	v_dual_mov_b32 v4, s8 :: v_dual_mov_b32 v5, s9
	s_mov_b64 s[10:11], 0
	s_mov_b32 s1, 0
.LBB145_80:                             ;   Parent Loop BB145_78 Depth=1
                                        ; =>  This Inner Loop Header: Depth=2
	s_delay_alu instid0(SALU_CYCLE_1)
	v_mov_b32_e32 v19, s1
	s_add_u32 s10, s10, 8
	s_addc_u32 s11, s11, 0
	s_add_i32 s1, s1, 64
	s_cmp_eq_u64 s[2:3], s[10:11]
	ds_load_2addr_b64 v[7:10], v19 offset1:1
	ds_load_2addr_b64 v[11:14], v19 offset0:2 offset1:3
	ds_load_2addr_b64 v[15:18], v19 offset0:4 offset1:5
	ds_load_2addr_b64 v[19:22], v19 offset0:6 offset1:7
	s_waitcnt lgkmcnt(3)
	v_cmp_gt_i64_e32 vcc_lo, v[2:3], v[7:8]
	v_cndmask_b32_e64 v7, 0, 1, vcc_lo
	v_cmp_gt_i64_e32 vcc_lo, v[2:3], v[9:10]
	v_cndmask_b32_e64 v8, 0, 1, vcc_lo
	s_waitcnt lgkmcnt(2)
	v_cmp_gt_i64_e32 vcc_lo, v[2:3], v[11:12]
	v_cndmask_b32_e64 v9, 0, 1, vcc_lo
	v_cmp_gt_i64_e32 vcc_lo, v[2:3], v[13:14]
	v_cndmask_b32_e64 v10, 0, 1, vcc_lo
	s_waitcnt lgkmcnt(1)
	v_cmp_gt_i64_e32 vcc_lo, v[2:3], v[15:16]
	v_cndmask_b32_e64 v11, 0, 1, vcc_lo
	v_add_co_u32 v4, vcc_lo, v4, v7
	v_add_co_ci_u32_e32 v5, vcc_lo, 0, v5, vcc_lo
	v_cmp_gt_i64_e32 vcc_lo, v[2:3], v[17:18]
	s_delay_alu instid0(VALU_DEP_3) | instskip(NEXT) | instid1(VALU_DEP_1)
	v_add_co_u32 v4, s0, v4, v8
	v_add_co_ci_u32_e64 v5, s0, 0, v5, s0
	v_cndmask_b32_e64 v7, 0, 1, vcc_lo
	s_delay_alu instid0(VALU_DEP_3) | instskip(NEXT) | instid1(VALU_DEP_3)
	v_add_co_u32 v4, vcc_lo, v4, v9
	v_add_co_ci_u32_e32 v5, vcc_lo, 0, v5, vcc_lo
	s_waitcnt lgkmcnt(0)
	v_cmp_gt_i64_e32 vcc_lo, v[2:3], v[19:20]
	s_delay_alu instid0(VALU_DEP_3) | instskip(NEXT) | instid1(VALU_DEP_1)
	v_add_co_u32 v4, s0, v4, v10
	v_add_co_ci_u32_e64 v5, s0, 0, v5, s0
	v_cndmask_b32_e64 v8, 0, 1, vcc_lo
	s_delay_alu instid0(VALU_DEP_3) | instskip(NEXT) | instid1(VALU_DEP_3)
	v_add_co_u32 v4, vcc_lo, v4, v11
	v_add_co_ci_u32_e32 v5, vcc_lo, 0, v5, vcc_lo
	v_cmp_gt_i64_e32 vcc_lo, v[2:3], v[21:22]
	s_delay_alu instid0(VALU_DEP_3) | instskip(NEXT) | instid1(VALU_DEP_1)
	v_add_co_u32 v4, s0, v4, v7
	v_add_co_ci_u32_e64 v5, s0, 0, v5, s0
	v_cndmask_b32_e64 v7, 0, 1, vcc_lo
	s_delay_alu instid0(VALU_DEP_3) | instskip(NEXT) | instid1(VALU_DEP_3)
	v_add_co_u32 v4, vcc_lo, v4, v8
	v_add_co_ci_u32_e32 v5, vcc_lo, 0, v5, vcc_lo
	s_delay_alu instid0(VALU_DEP_2) | instskip(NEXT) | instid1(VALU_DEP_2)
	v_add_co_u32 v4, vcc_lo, v4, v7
	v_add_co_ci_u32_e32 v5, vcc_lo, 0, v5, vcc_lo
	s_cbranch_scc0 .LBB145_80
; %bb.81:                               ;   in Loop: Header=BB145_78 Depth=1
	s_mov_b64 s[0:1], s[2:3]
.LBB145_82:                             ;   in Loop: Header=BB145_78 Depth=1
	s_and_not1_b32 vcc_lo, exec_lo, s13
	s_cbranch_vccnz .LBB145_77
; %bb.83:                               ;   in Loop: Header=BB145_78 Depth=1
	s_lshl_b32 s0, s0, 3
	s_delay_alu instid0(SALU_CYCLE_1)
	s_add_i32 s10, s0, 0
	s_mov_b64 s[0:1], s[6:7]
.LBB145_84:                             ;   Parent Loop BB145_78 Depth=1
                                        ; =>  This Inner Loop Header: Depth=2
	v_mov_b32_e32 v7, s10
	s_add_i32 s10, s10, 8
	s_add_u32 s0, s0, -1
	s_addc_u32 s1, s1, -1
	s_delay_alu instid0(SALU_CYCLE_1) | instskip(SKIP_4) | instid1(VALU_DEP_1)
	s_cmp_lg_u64 s[0:1], 0
	ds_load_b64 v[7:8], v7
	s_waitcnt lgkmcnt(0)
	v_cmp_gt_i64_e32 vcc_lo, v[2:3], v[7:8]
	v_cndmask_b32_e64 v7, 0, 1, vcc_lo
	v_add_co_u32 v4, vcc_lo, v4, v7
	v_add_co_ci_u32_e32 v5, vcc_lo, 0, v5, vcc_lo
	s_cbranch_scc1 .LBB145_84
	s_branch .LBB145_77
.LBB145_85:
	s_nop 0
	s_sendmsg sendmsg(MSG_DEALLOC_VGPRS)
	s_endpgm
	.section	.rodata,"a",@progbits
	.p2align	6, 0x0
	.amdhsa_kernel _ZN9rocsparseL41csrgemm_numeric_fill_block_per_row_kernelILj256ELj32ELj512ELj137ELj64Ell21rocsparse_complex_numIdEEEvT5_PKS3_S5_NS_24const_host_device_scalarIT6_EEPKT4_S5_PKS7_SB_S5_SD_S8_SB_S5_SD_SB_S5_PS7_21rocsparse_index_base_SF_SF_SF_bbb
		.amdhsa_group_segment_fixed_size 0
		.amdhsa_private_segment_fixed_size 40
		.amdhsa_kernarg_size 172
		.amdhsa_user_sgpr_count 15
		.amdhsa_user_sgpr_dispatch_ptr 0
		.amdhsa_user_sgpr_queue_ptr 0
		.amdhsa_user_sgpr_kernarg_segment_ptr 1
		.amdhsa_user_sgpr_dispatch_id 0
		.amdhsa_user_sgpr_private_segment_size 0
		.amdhsa_wavefront_size32 1
		.amdhsa_uses_dynamic_stack 0
		.amdhsa_enable_private_segment 1
		.amdhsa_system_sgpr_workgroup_id_x 1
		.amdhsa_system_sgpr_workgroup_id_y 0
		.amdhsa_system_sgpr_workgroup_id_z 0
		.amdhsa_system_sgpr_workgroup_info 0
		.amdhsa_system_vgpr_workitem_id 0
		.amdhsa_next_free_vgpr 36
		.amdhsa_next_free_sgpr 44
		.amdhsa_reserve_vcc 1
		.amdhsa_float_round_mode_32 0
		.amdhsa_float_round_mode_16_64 0
		.amdhsa_float_denorm_mode_32 3
		.amdhsa_float_denorm_mode_16_64 3
		.amdhsa_dx10_clamp 1
		.amdhsa_ieee_mode 1
		.amdhsa_fp16_overflow 0
		.amdhsa_workgroup_processor_mode 1
		.amdhsa_memory_ordered 1
		.amdhsa_forward_progress 0
		.amdhsa_shared_vgpr_count 0
		.amdhsa_exception_fp_ieee_invalid_op 0
		.amdhsa_exception_fp_denorm_src 0
		.amdhsa_exception_fp_ieee_div_zero 0
		.amdhsa_exception_fp_ieee_overflow 0
		.amdhsa_exception_fp_ieee_underflow 0
		.amdhsa_exception_fp_ieee_inexact 0
		.amdhsa_exception_int_div_zero 0
	.end_amdhsa_kernel
	.section	.text._ZN9rocsparseL41csrgemm_numeric_fill_block_per_row_kernelILj256ELj32ELj512ELj137ELj64Ell21rocsparse_complex_numIdEEEvT5_PKS3_S5_NS_24const_host_device_scalarIT6_EEPKT4_S5_PKS7_SB_S5_SD_S8_SB_S5_SD_SB_S5_PS7_21rocsparse_index_base_SF_SF_SF_bbb,"axG",@progbits,_ZN9rocsparseL41csrgemm_numeric_fill_block_per_row_kernelILj256ELj32ELj512ELj137ELj64Ell21rocsparse_complex_numIdEEEvT5_PKS3_S5_NS_24const_host_device_scalarIT6_EEPKT4_S5_PKS7_SB_S5_SD_S8_SB_S5_SD_SB_S5_PS7_21rocsparse_index_base_SF_SF_SF_bbb,comdat
.Lfunc_end145:
	.size	_ZN9rocsparseL41csrgemm_numeric_fill_block_per_row_kernelILj256ELj32ELj512ELj137ELj64Ell21rocsparse_complex_numIdEEEvT5_PKS3_S5_NS_24const_host_device_scalarIT6_EEPKT4_S5_PKS7_SB_S5_SD_S8_SB_S5_SD_SB_S5_PS7_21rocsparse_index_base_SF_SF_SF_bbb, .Lfunc_end145-_ZN9rocsparseL41csrgemm_numeric_fill_block_per_row_kernelILj256ELj32ELj512ELj137ELj64Ell21rocsparse_complex_numIdEEEvT5_PKS3_S5_NS_24const_host_device_scalarIT6_EEPKT4_S5_PKS7_SB_S5_SD_S8_SB_S5_SD_SB_S5_PS7_21rocsparse_index_base_SF_SF_SF_bbb
                                        ; -- End function
	.section	.AMDGPU.csdata,"",@progbits
; Kernel info:
; codeLenInByte = 3824
; NumSgprs: 46
; NumVgprs: 36
; ScratchSize: 40
; MemoryBound: 0
; FloatMode: 240
; IeeeMode: 1
; LDSByteSize: 0 bytes/workgroup (compile time only)
; SGPRBlocks: 5
; VGPRBlocks: 4
; NumSGPRsForWavesPerEU: 46
; NumVGPRsForWavesPerEU: 36
; Occupancy: 16
; WaveLimiterHint : 1
; COMPUTE_PGM_RSRC2:SCRATCH_EN: 1
; COMPUTE_PGM_RSRC2:USER_SGPR: 15
; COMPUTE_PGM_RSRC2:TRAP_HANDLER: 0
; COMPUTE_PGM_RSRC2:TGID_X_EN: 1
; COMPUTE_PGM_RSRC2:TGID_Y_EN: 0
; COMPUTE_PGM_RSRC2:TGID_Z_EN: 0
; COMPUTE_PGM_RSRC2:TIDIG_COMP_CNT: 0
	.section	.text._ZN9rocsparseL41csrgemm_numeric_fill_block_per_row_kernelILj512ELj32ELj1024ELj137ELj32Ell21rocsparse_complex_numIdEEEvT5_PKS3_S5_NS_24const_host_device_scalarIT6_EEPKT4_S5_PKS7_SB_S5_SD_S8_SB_S5_SD_SB_S5_PS7_21rocsparse_index_base_SF_SF_SF_bbb,"axG",@progbits,_ZN9rocsparseL41csrgemm_numeric_fill_block_per_row_kernelILj512ELj32ELj1024ELj137ELj32Ell21rocsparse_complex_numIdEEEvT5_PKS3_S5_NS_24const_host_device_scalarIT6_EEPKT4_S5_PKS7_SB_S5_SD_S8_SB_S5_SD_SB_S5_PS7_21rocsparse_index_base_SF_SF_SF_bbb,comdat
	.globl	_ZN9rocsparseL41csrgemm_numeric_fill_block_per_row_kernelILj512ELj32ELj1024ELj137ELj32Ell21rocsparse_complex_numIdEEEvT5_PKS3_S5_NS_24const_host_device_scalarIT6_EEPKT4_S5_PKS7_SB_S5_SD_S8_SB_S5_SD_SB_S5_PS7_21rocsparse_index_base_SF_SF_SF_bbb ; -- Begin function _ZN9rocsparseL41csrgemm_numeric_fill_block_per_row_kernelILj512ELj32ELj1024ELj137ELj32Ell21rocsparse_complex_numIdEEEvT5_PKS3_S5_NS_24const_host_device_scalarIT6_EEPKT4_S5_PKS7_SB_S5_SD_S8_SB_S5_SD_SB_S5_PS7_21rocsparse_index_base_SF_SF_SF_bbb
	.p2align	8
	.type	_ZN9rocsparseL41csrgemm_numeric_fill_block_per_row_kernelILj512ELj32ELj1024ELj137ELj32Ell21rocsparse_complex_numIdEEEvT5_PKS3_S5_NS_24const_host_device_scalarIT6_EEPKT4_S5_PKS7_SB_S5_SD_S8_SB_S5_SD_SB_S5_PS7_21rocsparse_index_base_SF_SF_SF_bbb,@function
_ZN9rocsparseL41csrgemm_numeric_fill_block_per_row_kernelILj512ELj32ELj1024ELj137ELj32Ell21rocsparse_complex_numIdEEEvT5_PKS3_S5_NS_24const_host_device_scalarIT6_EEPKT4_S5_PKS7_SB_S5_SD_S8_SB_S5_SD_SB_S5_PS7_21rocsparse_index_base_SF_SF_SF_bbb: ; @_ZN9rocsparseL41csrgemm_numeric_fill_block_per_row_kernelILj512ELj32ELj1024ELj137ELj32Ell21rocsparse_complex_numIdEEEvT5_PKS3_S5_NS_24const_host_device_scalarIT6_EEPKT4_S5_PKS7_SB_S5_SD_S8_SB_S5_SD_SB_S5_PS7_21rocsparse_index_base_SF_SF_SF_bbb
; %bb.0:
	s_clause 0x3
	s_load_b32 s42, s[0:1], 0xa8
	s_load_b128 s[4:7], s[0:1], 0x18
	s_load_b128 s[28:31], s[0:1], 0x58
	;; [unrolled: 1-line block ×3, first 2 shown]
	v_mov_b32_e32 v1, 0
	v_mov_b32_e32 v2, 0
	s_mov_b32 s40, s15
	s_waitcnt lgkmcnt(0)
	s_bitcmp1_b32 s42, 0
	v_mov_b32_e32 v3, s4
	s_cselect_b32 s33, -1, 0
	s_bitcmp1_b32 s42, 16
	v_dual_mov_b32 v6, v2 :: v_dual_mov_b32 v5, v1
	s_cselect_b32 s2, -1, 0
	v_mov_b32_e32 v4, s5
	s_xor_b32 s41, s2, -1
	v_dual_mov_b32 v9, s28 :: v_dual_mov_b32 v10, s29
	v_cndmask_b32_e64 v7, 0, 1, s41
	s_bitcmp0_b32 s42, 0
	s_clause 0x1
	scratch_store_b64 off, v[3:4], off offset:16
	scratch_store_b64 off, v[9:10], off offset:24
	v_cmp_ne_u32_e32 vcc_lo, 1, v7
	v_dual_mov_b32 v8, v2 :: v_dual_mov_b32 v7, v1
	s_cbranch_scc1 .LBB146_3
; %bb.1:
	s_mov_b64 s[8:9], src_private_base
	s_and_b32 s3, s2, exec_lo
	s_cselect_b32 s3, s9, s5
	s_delay_alu instid0(SALU_CYCLE_1) | instskip(SKIP_2) | instid1(VALU_DEP_2)
	v_dual_mov_b32 v3, 16 :: v_dual_mov_b32 v4, s3
	v_dual_mov_b32 v8, s7 :: v_dual_mov_b32 v7, s6
	s_and_b32 vcc_lo, exec_lo, vcc_lo
	v_cndmask_b32_e64 v3, s4, v3, s2
	flat_load_b64 v[5:6], v[3:4]
	s_cbranch_vccnz .LBB146_3
; %bb.2:
	v_dual_mov_b32 v3, s4 :: v_dual_mov_b32 v4, s5
	flat_load_b64 v[7:8], v[3:4] offset:8
.LBB146_3:
	s_clause 0x4
	s_load_b64 s[34:35], s[0:1], 0x90
	s_load_b256 s[12:19], s[0:1], 0x68
	s_load_b128 s[24:27], s[0:1], 0x48
	s_load_b128 s[36:39], s[0:1], 0x8
	s_load_b256 s[4:11], s[0:1], 0x28
	s_bitcmp1_b32 s42, 8
	v_dual_mov_b32 v4, v2 :: v_dual_mov_b32 v3, v1
	s_cselect_b32 s3, -1, 0
	s_bfe_u32 s42, s42, 0x10008
	s_delay_alu instid0(SALU_CYCLE_1)
	s_cmp_eq_u32 s42, 0
	s_cbranch_scc1 .LBB146_6
; %bb.4:
	s_mov_b64 s[42:43], src_private_base
	s_and_b32 s42, s2, exec_lo
	s_cselect_b32 s42, s43, s29
	s_delay_alu instid0(SALU_CYCLE_1) | instskip(SKIP_1) | instid1(VALU_DEP_1)
	v_dual_mov_b32 v1, 24 :: v_dual_mov_b32 v2, s42
	s_and_not1_b32 vcc_lo, exec_lo, s41
	v_cndmask_b32_e64 v1, s28, v1, s2
	flat_load_b64 v[3:4], v[1:2]
	v_dual_mov_b32 v1, s30 :: v_dual_mov_b32 v2, s31
	s_cbranch_vccnz .LBB146_6
; %bb.5:
	v_dual_mov_b32 v1, s28 :: v_dual_mov_b32 v2, s29
	flat_load_b64 v[1:2], v[1:2] offset:8
.LBB146_6:
	s_load_b64 s[28:29], s[0:1], 0x0
	s_mov_b32 s0, 0
	v_or_b32_e32 v27, 0xfffffe00, v0
	s_mov_b32 s1, s0
	s_delay_alu instid0(SALU_CYCLE_1) | instskip(SKIP_3) | instid1(VALU_DEP_2)
	v_dual_mov_b32 v10, s1 :: v_dual_lshlrev_b32 v11, 4, v0
	v_lshl_add_u32 v28, v0, 3, 0
	s_mov_b32 s30, s0
	s_mov_b32 s31, s0
	v_add3_u32 v29, v11, 0, 0x2000
	v_dual_mov_b32 v11, s30 :: v_dual_mov_b32 v16, v27
	v_dual_mov_b32 v9, s0 :: v_dual_mov_b32 v12, s31
	v_mov_b32_e32 v15, v28
	s_delay_alu instid0(VALU_DEP_4)
	v_mov_b32_e32 v17, v29
	s_waitcnt lgkmcnt(0)
	v_dual_mov_b32 v13, s28 :: v_dual_mov_b32 v14, s29
.LBB146_7:                              ; =>This Inner Loop Header: Depth=1
	v_add_co_u32 v16, s1, 0x200, v16
	s_delay_alu instid0(VALU_DEP_1)
	s_xor_b32 s1, s1, -1
	ds_store_b64 v15, v[13:14]
	ds_store_2addr_b64 v17, v[9:10], v[11:12] offset1:1
	v_add_nc_u32_e32 v17, 0x2000, v17
	v_add_nc_u32_e32 v15, 0x1000, v15
	s_and_b32 s1, exec_lo, s1
	s_delay_alu instid0(SALU_CYCLE_1) | instskip(NEXT) | instid1(SALU_CYCLE_1)
	s_or_b32 s0, s1, s0
	s_and_not1_b32 exec_lo, exec_lo, s0
	s_cbranch_execnz .LBB146_7
; %bb.8:
	s_or_b32 exec_lo, exec_lo, s0
	s_waitcnt vmcnt(0) lgkmcnt(0)
	s_waitcnt_vscnt null, 0x0
	s_barrier
	buffer_gl0_inv
	s_load_b64 s[0:1], s[36:37], 0x0
	s_mov_b32 s41, 0
	v_lshrrev_b32_e32 v30, 5, v0
	s_waitcnt lgkmcnt(0)
	s_lshl_b64 s[0:1], s[0:1], 3
	s_delay_alu instid0(SALU_CYCLE_1) | instskip(SKIP_2) | instid1(SALU_CYCLE_1)
	s_add_u32 s2, s38, s0
	s_addc_u32 s30, s39, s1
	s_lshl_b64 s[0:1], s[40:41], 3
	s_add_u32 s0, s2, s0
	s_addc_u32 s1, s30, s1
	s_and_b32 vcc_lo, exec_lo, s33
	s_load_b64 s[30:31], s[0:1], 0x0
	s_cbranch_vccz .LBB146_36
; %bb.9:
	s_waitcnt lgkmcnt(0)
	s_lshl_b64 s[0:1], s[30:31], 3
	s_mov_b32 s2, exec_lo
	s_add_u32 s0, s4, s0
	s_addc_u32 s1, s5, s1
	s_load_b128 s[36:39], s[0:1], 0x0
	v_sub_co_u32 v9, s0, v30, s20
	s_delay_alu instid0(VALU_DEP_1) | instskip(SKIP_1) | instid1(VALU_DEP_2)
	v_sub_co_ci_u32_e64 v10, null, 0, 0, s0
	s_waitcnt lgkmcnt(0)
	v_add_co_u32 v9, vcc_lo, s36, v9
	s_delay_alu instid0(VALU_DEP_2)
	v_add_co_ci_u32_e32 v10, vcc_lo, s37, v10, vcc_lo
	s_sub_u32 s0, s38, s20
	s_subb_u32 s1, s39, 0
	s_delay_alu instid0(VALU_DEP_1) | instid1(SALU_CYCLE_1)
	v_cmpx_gt_i64_e64 s[0:1], v[9:10]
	s_cbranch_execz .LBB146_35
; %bb.10:
	v_and_b32_e32 v11, 31, v0
	s_mov_b32 s5, s21
	s_delay_alu instid0(VALU_DEP_1) | instskip(NEXT) | instid1(VALU_DEP_1)
	v_sub_co_u32 v31, s4, v11, s21
	v_sub_co_ci_u32_e64 v32, null, 0, 0, s4
	s_mov_b32 s4, 0
	s_branch .LBB146_12
.LBB146_11:                             ;   in Loop: Header=BB146_12 Depth=1
	s_or_b32 exec_lo, exec_lo, s21
	v_add_co_u32 v9, vcc_lo, v9, 16
	v_add_co_ci_u32_e32 v10, vcc_lo, 0, v10, vcc_lo
	s_delay_alu instid0(VALU_DEP_1) | instskip(SKIP_1) | instid1(SALU_CYCLE_1)
	v_cmp_le_i64_e32 vcc_lo, s[0:1], v[9:10]
	s_or_b32 s4, vcc_lo, s4
	s_and_not1_b32 exec_lo, exec_lo, s4
	s_cbranch_execz .LBB146_35
.LBB146_12:                             ; =>This Loop Header: Depth=1
                                        ;     Child Loop BB146_15 Depth 2
                                        ;       Child Loop BB146_17 Depth 3
                                        ;         Child Loop BB146_23 Depth 4
                                        ;         Child Loop BB146_25 Depth 4
                                        ;         Child Loop BB146_31 Depth 4
                                        ;         Child Loop BB146_33 Depth 4
	v_lshlrev_b64 v[11:12], 3, v[9:10]
	s_mov_b32 s21, exec_lo
	s_delay_alu instid0(VALU_DEP_1) | instskip(NEXT) | instid1(VALU_DEP_2)
	v_add_co_u32 v11, vcc_lo, s6, v11
	v_add_co_ci_u32_e32 v12, vcc_lo, s7, v12, vcc_lo
	global_load_b64 v[11:12], v[11:12], off
	s_waitcnt vmcnt(0)
	v_sub_co_u32 v11, vcc_lo, v11, s20
	v_subrev_co_ci_u32_e32 v12, vcc_lo, 0, v12, vcc_lo
	s_delay_alu instid0(VALU_DEP_1) | instskip(NEXT) | instid1(VALU_DEP_1)
	v_lshlrev_b64 v[11:12], 3, v[11:12]
	v_add_co_u32 v11, vcc_lo, s10, v11
	s_delay_alu instid0(VALU_DEP_2)
	v_add_co_ci_u32_e32 v12, vcc_lo, s11, v12, vcc_lo
	global_load_b128 v[13:16], v[11:12], off
	s_waitcnt vmcnt(0)
	v_sub_co_u32 v11, vcc_lo, v15, s5
	v_subrev_co_ci_u32_e32 v12, vcc_lo, 0, v16, vcc_lo
	v_add_co_u32 v13, vcc_lo, v13, v31
	v_add_co_ci_u32_e32 v14, vcc_lo, v14, v32, vcc_lo
	s_delay_alu instid0(VALU_DEP_1)
	v_cmpx_lt_i64_e64 v[13:14], v[11:12]
	s_cbranch_execz .LBB146_11
; %bb.13:                               ;   in Loop: Header=BB146_12 Depth=1
	v_lshlrev_b64 v[15:16], 4, v[9:10]
	s_mov_b32 s33, 0
	s_delay_alu instid0(VALU_DEP_1) | instskip(NEXT) | instid1(VALU_DEP_2)
	v_add_co_u32 v15, vcc_lo, s8, v15
	v_add_co_ci_u32_e32 v16, vcc_lo, s9, v16, vcc_lo
	global_load_b128 v[17:20], v[15:16], off
	s_waitcnt vmcnt(0)
	v_mul_f64 v[15:16], v[19:20], -v[7:8]
	v_mul_f64 v[19:20], v[5:6], v[19:20]
	s_delay_alu instid0(VALU_DEP_2) | instskip(NEXT) | instid1(VALU_DEP_2)
	v_fma_f64 v[15:16], v[5:6], v[17:18], v[15:16]
	v_fma_f64 v[17:18], v[7:8], v[17:18], v[19:20]
	s_branch .LBB146_15
.LBB146_14:                             ;   in Loop: Header=BB146_15 Depth=2
	s_or_b32 exec_lo, exec_lo, s36
	v_add_co_u32 v13, vcc_lo, v13, 32
	v_add_co_ci_u32_e32 v14, vcc_lo, 0, v14, vcc_lo
	s_delay_alu instid0(VALU_DEP_1) | instskip(SKIP_1) | instid1(SALU_CYCLE_1)
	v_cmp_ge_i64_e32 vcc_lo, v[13:14], v[11:12]
	s_or_b32 s33, vcc_lo, s33
	s_and_not1_b32 exec_lo, exec_lo, s33
	s_cbranch_execz .LBB146_11
.LBB146_15:                             ;   Parent Loop BB146_12 Depth=1
                                        ; =>  This Loop Header: Depth=2
                                        ;       Child Loop BB146_17 Depth 3
                                        ;         Child Loop BB146_23 Depth 4
                                        ;         Child Loop BB146_25 Depth 4
	;; [unrolled: 1-line block ×4, first 2 shown]
	v_lshlrev_b64 v[19:20], 4, v[13:14]
	s_mov_b32 s36, 0
	s_delay_alu instid0(VALU_DEP_1) | instskip(NEXT) | instid1(VALU_DEP_2)
	v_add_co_u32 v19, vcc_lo, s26, v19
	v_add_co_ci_u32_e32 v20, vcc_lo, s27, v20, vcc_lo
	global_load_b128 v[21:24], v[19:20], off
	v_lshlrev_b64 v[19:20], 3, v[13:14]
	s_delay_alu instid0(VALU_DEP_1) | instskip(NEXT) | instid1(VALU_DEP_2)
	v_add_co_u32 v19, vcc_lo, s24, v19
	v_add_co_ci_u32_e32 v20, vcc_lo, s25, v20, vcc_lo
	global_load_b64 v[25:26], v[19:20], off
	s_waitcnt vmcnt(1)
	v_mul_f64 v[19:20], v[23:24], -v[17:18]
	v_mul_f64 v[23:24], v[15:16], v[23:24]
	s_delay_alu instid0(VALU_DEP_2) | instskip(NEXT) | instid1(VALU_DEP_2)
	v_fma_f64 v[19:20], v[15:16], v[21:22], v[19:20]
	v_fma_f64 v[21:22], v[17:18], v[21:22], v[23:24]
	s_waitcnt vmcnt(0)
	v_sub_co_u32 v23, vcc_lo, v25, s5
	v_subrev_co_ci_u32_e32 v24, vcc_lo, 0, v26, vcc_lo
	s_delay_alu instid0(VALU_DEP_2) | instskip(NEXT) | instid1(VALU_DEP_1)
	v_mul_lo_u32 v25, 0x89, v23
	v_and_b32_e32 v33, 0x3ff, v25
	s_branch .LBB146_17
.LBB146_16:                             ;   in Loop: Header=BB146_17 Depth=3
	s_or_b32 exec_lo, exec_lo, s37
	s_xor_b32 s37, s38, -1
	s_delay_alu instid0(SALU_CYCLE_1) | instskip(NEXT) | instid1(SALU_CYCLE_1)
	s_and_b32 s37, exec_lo, s37
	s_or_b32 s36, s37, s36
	s_delay_alu instid0(SALU_CYCLE_1)
	s_and_not1_b32 exec_lo, exec_lo, s36
	s_cbranch_execz .LBB146_14
.LBB146_17:                             ;   Parent Loop BB146_12 Depth=1
                                        ;     Parent Loop BB146_15 Depth=2
                                        ; =>    This Loop Header: Depth=3
                                        ;         Child Loop BB146_23 Depth 4
                                        ;         Child Loop BB146_25 Depth 4
	;; [unrolled: 1-line block ×4, first 2 shown]
	s_delay_alu instid0(VALU_DEP_1)
	v_lshl_add_u32 v34, v33, 3, 0
	s_mov_b32 s37, exec_lo
                                        ; implicit-def: $sgpr38
	ds_load_b64 v[25:26], v34
	s_waitcnt lgkmcnt(0)
	v_cmpx_ne_u64_e64 v[25:26], v[23:24]
	s_xor_b32 s37, exec_lo, s37
	s_cbranch_execz .LBB146_29
; %bb.18:                               ;   in Loop: Header=BB146_17 Depth=3
	s_mov_b32 s39, exec_lo
                                        ; implicit-def: $sgpr38
	v_cmpx_ne_u64_e64 s[28:29], v[25:26]
	s_xor_b32 s39, exec_lo, s39
; %bb.19:                               ;   in Loop: Header=BB146_17 Depth=3
	v_add_nc_u32_e32 v25, 1, v33
	s_mov_b32 s38, -1
                                        ; implicit-def: $vgpr34
	s_delay_alu instid0(VALU_DEP_1)
	v_and_b32_e32 v33, 0x3ff, v25
; %bb.20:                               ;   in Loop: Header=BB146_17 Depth=3
	s_and_not1_saveexec_b32 s39, s39
	s_cbranch_execz .LBB146_28
; %bb.21:                               ;   in Loop: Header=BB146_17 Depth=3
	v_dual_mov_b32 v25, s28 :: v_dual_mov_b32 v26, s29
	s_mov_b32 s41, -1
	s_mov_b32 s40, exec_lo
	ds_cmpstore_rtn_b64 v[25:26], v34, v[23:24], v[25:26]
	s_waitcnt lgkmcnt(0)
	v_cmpx_eq_u64_e64 s[28:29], v[25:26]
	s_cbranch_execz .LBB146_27
; %bb.22:                               ;   in Loop: Header=BB146_17 Depth=3
	v_lshlrev_b32_e32 v25, 3, v33
	s_mov_b32 s41, 0
	s_delay_alu instid0(VALU_DEP_1)
	v_add_nc_u32_e32 v34, v34, v25
	ds_load_b64 v[25:26], v34 offset:8192
.LBB146_23:                             ;   Parent Loop BB146_12 Depth=1
                                        ;     Parent Loop BB146_15 Depth=2
                                        ;       Parent Loop BB146_17 Depth=3
                                        ; =>      This Inner Loop Header: Depth=4
	s_waitcnt lgkmcnt(0)
	v_add_f64 v[35:36], v[25:26], v[19:20]
	ds_cmpstore_rtn_b64 v[35:36], v34, v[35:36], v[25:26] offset:8192
	s_waitcnt lgkmcnt(0)
	v_cmp_eq_u64_e32 vcc_lo, v[35:36], v[25:26]
	v_dual_mov_b32 v25, v35 :: v_dual_mov_b32 v26, v36
	s_or_b32 s41, vcc_lo, s41
	s_delay_alu instid0(SALU_CYCLE_1)
	s_and_not1_b32 exec_lo, exec_lo, s41
	s_cbranch_execnz .LBB146_23
; %bb.24:                               ;   in Loop: Header=BB146_17 Depth=3
	s_or_b32 exec_lo, exec_lo, s41
	ds_load_b64 v[25:26], v34 offset:8200
	s_mov_b32 s41, 0
.LBB146_25:                             ;   Parent Loop BB146_12 Depth=1
                                        ;     Parent Loop BB146_15 Depth=2
                                        ;       Parent Loop BB146_17 Depth=3
                                        ; =>      This Inner Loop Header: Depth=4
	s_waitcnt lgkmcnt(0)
	v_add_f64 v[35:36], v[25:26], v[21:22]
	ds_cmpstore_rtn_b64 v[35:36], v34, v[35:36], v[25:26] offset:8200
	s_waitcnt lgkmcnt(0)
	v_cmp_eq_u64_e32 vcc_lo, v[35:36], v[25:26]
	v_dual_mov_b32 v25, v35 :: v_dual_mov_b32 v26, v36
	s_or_b32 s41, vcc_lo, s41
	s_delay_alu instid0(SALU_CYCLE_1)
	s_and_not1_b32 exec_lo, exec_lo, s41
	s_cbranch_execnz .LBB146_25
; %bb.26:                               ;   in Loop: Header=BB146_17 Depth=3
	s_or_b32 exec_lo, exec_lo, s41
	s_delay_alu instid0(SALU_CYCLE_1)
	s_xor_b32 s41, exec_lo, -1
.LBB146_27:                             ;   in Loop: Header=BB146_17 Depth=3
	s_or_b32 exec_lo, exec_lo, s40
	s_delay_alu instid0(SALU_CYCLE_1) | instskip(SKIP_1) | instid1(SALU_CYCLE_1)
	s_and_not1_b32 s38, s38, exec_lo
	s_and_b32 s40, s41, exec_lo
	s_or_b32 s38, s38, s40
.LBB146_28:                             ;   in Loop: Header=BB146_17 Depth=3
	s_or_b32 exec_lo, exec_lo, s39
	s_delay_alu instid0(SALU_CYCLE_1)
	s_and_b32 s38, s38, exec_lo
                                        ; implicit-def: $vgpr34
.LBB146_29:                             ;   in Loop: Header=BB146_17 Depth=3
	s_and_not1_saveexec_b32 s37, s37
	s_cbranch_execz .LBB146_16
; %bb.30:                               ;   in Loop: Header=BB146_17 Depth=3
	v_lshlrev_b32_e32 v25, 3, v33
	s_mov_b32 s39, 0
	s_delay_alu instid0(VALU_DEP_1)
	v_add_nc_u32_e32 v34, v34, v25
	ds_load_b64 v[25:26], v34 offset:8192
.LBB146_31:                             ;   Parent Loop BB146_12 Depth=1
                                        ;     Parent Loop BB146_15 Depth=2
                                        ;       Parent Loop BB146_17 Depth=3
                                        ; =>      This Inner Loop Header: Depth=4
	s_waitcnt lgkmcnt(0)
	v_add_f64 v[35:36], v[25:26], v[19:20]
	ds_cmpstore_rtn_b64 v[35:36], v34, v[35:36], v[25:26] offset:8192
	s_waitcnt lgkmcnt(0)
	v_cmp_eq_u64_e32 vcc_lo, v[35:36], v[25:26]
	v_dual_mov_b32 v25, v35 :: v_dual_mov_b32 v26, v36
	s_or_b32 s39, vcc_lo, s39
	s_delay_alu instid0(SALU_CYCLE_1)
	s_and_not1_b32 exec_lo, exec_lo, s39
	s_cbranch_execnz .LBB146_31
; %bb.32:                               ;   in Loop: Header=BB146_17 Depth=3
	s_or_b32 exec_lo, exec_lo, s39
	ds_load_b64 v[25:26], v34 offset:8200
	s_mov_b32 s39, 0
.LBB146_33:                             ;   Parent Loop BB146_12 Depth=1
                                        ;     Parent Loop BB146_15 Depth=2
                                        ;       Parent Loop BB146_17 Depth=3
                                        ; =>      This Inner Loop Header: Depth=4
	s_waitcnt lgkmcnt(0)
	v_add_f64 v[35:36], v[25:26], v[21:22]
	ds_cmpstore_rtn_b64 v[35:36], v34, v[35:36], v[25:26] offset:8200
	s_waitcnt lgkmcnt(0)
	v_cmp_eq_u64_e32 vcc_lo, v[35:36], v[25:26]
	v_dual_mov_b32 v25, v35 :: v_dual_mov_b32 v26, v36
	s_or_b32 s39, vcc_lo, s39
	s_delay_alu instid0(SALU_CYCLE_1)
	s_and_not1_b32 exec_lo, exec_lo, s39
	s_cbranch_execnz .LBB146_33
; %bb.34:                               ;   in Loop: Header=BB146_17 Depth=3
	s_or_b32 exec_lo, exec_lo, s39
	s_delay_alu instid0(SALU_CYCLE_1)
	s_and_not1_b32 s38, s38, exec_lo
	s_branch .LBB146_16
.LBB146_35:
	s_or_b32 exec_lo, exec_lo, s2
.LBB146_36:
	s_delay_alu instid0(SALU_CYCLE_1)
	s_and_not1_b32 vcc_lo, exec_lo, s3
	s_cbranch_vccnz .LBB146_61
; %bb.37:
	s_waitcnt lgkmcnt(0)
	s_lshl_b64 s[0:1], s[30:31], 3
	v_sub_co_u32 v5, s4, v0, s23
	s_add_u32 s0, s12, s0
	s_addc_u32 s1, s13, s1
	v_sub_co_ci_u32_e64 v6, null, 0, 0, s4
	s_load_b128 s[0:3], s[0:1], 0x0
	s_waitcnt lgkmcnt(0)
	v_add_co_u32 v5, vcc_lo, s0, v5
	s_delay_alu instid0(VALU_DEP_2)
	v_add_co_ci_u32_e32 v6, vcc_lo, s1, v6, vcc_lo
	s_sub_u32 s0, s2, s23
	s_subb_u32 s1, s3, 0
	s_mov_b32 s2, 0
	s_mov_b32 s3, exec_lo
	v_cmpx_gt_i64_e64 s[0:1], v[5:6]
	s_cbranch_execz .LBB146_60
; %bb.38:
	s_mov_b32 s4, s23
	s_branch .LBB146_40
.LBB146_39:                             ;   in Loop: Header=BB146_40 Depth=1
	s_or_b32 exec_lo, exec_lo, s5
	v_add_co_u32 v5, vcc_lo, 0x200, v5
	v_add_co_ci_u32_e32 v6, vcc_lo, 0, v6, vcc_lo
	s_delay_alu instid0(VALU_DEP_1) | instskip(SKIP_1) | instid1(SALU_CYCLE_1)
	v_cmp_le_i64_e32 vcc_lo, s[0:1], v[5:6]
	s_or_b32 s2, vcc_lo, s2
	s_and_not1_b32 exec_lo, exec_lo, s2
	s_cbranch_execz .LBB146_60
.LBB146_40:                             ; =>This Loop Header: Depth=1
                                        ;     Child Loop BB146_42 Depth 2
                                        ;       Child Loop BB146_48 Depth 3
                                        ;       Child Loop BB146_50 Depth 3
	;; [unrolled: 1-line block ×4, first 2 shown]
	v_lshlrev_b64 v[7:8], 4, v[5:6]
	s_mov_b32 s5, 0
	s_delay_alu instid0(VALU_DEP_1) | instskip(NEXT) | instid1(VALU_DEP_2)
	v_add_co_u32 v7, vcc_lo, s16, v7
	v_add_co_ci_u32_e32 v8, vcc_lo, s17, v8, vcc_lo
	global_load_b128 v[9:12], v[7:8], off
	v_lshlrev_b64 v[7:8], 3, v[5:6]
	s_delay_alu instid0(VALU_DEP_1) | instskip(NEXT) | instid1(VALU_DEP_2)
	v_add_co_u32 v7, vcc_lo, s14, v7
	v_add_co_ci_u32_e32 v8, vcc_lo, s15, v8, vcc_lo
	global_load_b64 v[13:14], v[7:8], off
	s_waitcnt vmcnt(1)
	v_mul_f64 v[7:8], v[11:12], -v[1:2]
	v_mul_f64 v[11:12], v[3:4], v[11:12]
	s_delay_alu instid0(VALU_DEP_2) | instskip(NEXT) | instid1(VALU_DEP_2)
	v_fma_f64 v[7:8], v[3:4], v[9:10], v[7:8]
	v_fma_f64 v[9:10], v[1:2], v[9:10], v[11:12]
	s_waitcnt vmcnt(0)
	v_sub_co_u32 v11, vcc_lo, v13, s4
	v_subrev_co_ci_u32_e32 v12, vcc_lo, 0, v14, vcc_lo
	s_delay_alu instid0(VALU_DEP_2) | instskip(NEXT) | instid1(VALU_DEP_1)
	v_mul_lo_u32 v13, 0x89, v11
	v_and_b32_e32 v15, 0x3ff, v13
	s_branch .LBB146_42
.LBB146_41:                             ;   in Loop: Header=BB146_42 Depth=2
	s_or_b32 exec_lo, exec_lo, s6
	s_xor_b32 s6, s7, -1
	s_delay_alu instid0(SALU_CYCLE_1) | instskip(NEXT) | instid1(SALU_CYCLE_1)
	s_and_b32 s6, exec_lo, s6
	s_or_b32 s5, s6, s5
	s_delay_alu instid0(SALU_CYCLE_1)
	s_and_not1_b32 exec_lo, exec_lo, s5
	s_cbranch_execz .LBB146_39
.LBB146_42:                             ;   Parent Loop BB146_40 Depth=1
                                        ; =>  This Loop Header: Depth=2
                                        ;       Child Loop BB146_48 Depth 3
                                        ;       Child Loop BB146_50 Depth 3
	;; [unrolled: 1-line block ×4, first 2 shown]
	s_delay_alu instid0(VALU_DEP_1)
	v_lshl_add_u32 v16, v15, 3, 0
	s_mov_b32 s6, exec_lo
                                        ; implicit-def: $sgpr7
	ds_load_b64 v[13:14], v16
	s_waitcnt lgkmcnt(0)
	v_cmpx_ne_u64_e64 v[13:14], v[11:12]
	s_xor_b32 s6, exec_lo, s6
	s_cbranch_execz .LBB146_54
; %bb.43:                               ;   in Loop: Header=BB146_42 Depth=2
	s_mov_b32 s8, exec_lo
                                        ; implicit-def: $sgpr7
	v_cmpx_ne_u64_e64 s[28:29], v[13:14]
	s_xor_b32 s8, exec_lo, s8
; %bb.44:                               ;   in Loop: Header=BB146_42 Depth=2
	v_add_nc_u32_e32 v13, 1, v15
	s_mov_b32 s7, -1
                                        ; implicit-def: $vgpr16
	s_delay_alu instid0(VALU_DEP_1)
	v_and_b32_e32 v15, 0x3ff, v13
; %bb.45:                               ;   in Loop: Header=BB146_42 Depth=2
	s_and_not1_saveexec_b32 s8, s8
	s_cbranch_execz .LBB146_53
; %bb.46:                               ;   in Loop: Header=BB146_42 Depth=2
	v_dual_mov_b32 v13, s28 :: v_dual_mov_b32 v14, s29
	s_mov_b32 s10, -1
	s_mov_b32 s9, exec_lo
	ds_cmpstore_rtn_b64 v[13:14], v16, v[11:12], v[13:14]
	s_waitcnt lgkmcnt(0)
	v_cmpx_eq_u64_e64 s[28:29], v[13:14]
	s_cbranch_execz .LBB146_52
; %bb.47:                               ;   in Loop: Header=BB146_42 Depth=2
	v_lshlrev_b32_e32 v13, 3, v15
	s_mov_b32 s10, 0
	s_delay_alu instid0(VALU_DEP_1)
	v_add_nc_u32_e32 v16, v16, v13
	ds_load_b64 v[13:14], v16 offset:8192
.LBB146_48:                             ;   Parent Loop BB146_40 Depth=1
                                        ;     Parent Loop BB146_42 Depth=2
                                        ; =>    This Inner Loop Header: Depth=3
	s_waitcnt lgkmcnt(0)
	v_add_f64 v[17:18], v[13:14], v[7:8]
	ds_cmpstore_rtn_b64 v[17:18], v16, v[17:18], v[13:14] offset:8192
	s_waitcnt lgkmcnt(0)
	v_cmp_eq_u64_e32 vcc_lo, v[17:18], v[13:14]
	v_dual_mov_b32 v13, v17 :: v_dual_mov_b32 v14, v18
	s_or_b32 s10, vcc_lo, s10
	s_delay_alu instid0(SALU_CYCLE_1)
	s_and_not1_b32 exec_lo, exec_lo, s10
	s_cbranch_execnz .LBB146_48
; %bb.49:                               ;   in Loop: Header=BB146_42 Depth=2
	s_or_b32 exec_lo, exec_lo, s10
	ds_load_b64 v[13:14], v16 offset:8200
	s_mov_b32 s10, 0
.LBB146_50:                             ;   Parent Loop BB146_40 Depth=1
                                        ;     Parent Loop BB146_42 Depth=2
                                        ; =>    This Inner Loop Header: Depth=3
	s_waitcnt lgkmcnt(0)
	v_add_f64 v[17:18], v[13:14], v[9:10]
	ds_cmpstore_rtn_b64 v[17:18], v16, v[17:18], v[13:14] offset:8200
	s_waitcnt lgkmcnt(0)
	v_cmp_eq_u64_e32 vcc_lo, v[17:18], v[13:14]
	v_dual_mov_b32 v13, v17 :: v_dual_mov_b32 v14, v18
	s_or_b32 s10, vcc_lo, s10
	s_delay_alu instid0(SALU_CYCLE_1)
	s_and_not1_b32 exec_lo, exec_lo, s10
	s_cbranch_execnz .LBB146_50
; %bb.51:                               ;   in Loop: Header=BB146_42 Depth=2
	s_or_b32 exec_lo, exec_lo, s10
	s_delay_alu instid0(SALU_CYCLE_1)
	s_xor_b32 s10, exec_lo, -1
.LBB146_52:                             ;   in Loop: Header=BB146_42 Depth=2
	s_or_b32 exec_lo, exec_lo, s9
	s_delay_alu instid0(SALU_CYCLE_1) | instskip(SKIP_1) | instid1(SALU_CYCLE_1)
	s_and_not1_b32 s7, s7, exec_lo
	s_and_b32 s9, s10, exec_lo
	s_or_b32 s7, s7, s9
.LBB146_53:                             ;   in Loop: Header=BB146_42 Depth=2
	s_or_b32 exec_lo, exec_lo, s8
	s_delay_alu instid0(SALU_CYCLE_1)
	s_and_b32 s7, s7, exec_lo
                                        ; implicit-def: $vgpr16
.LBB146_54:                             ;   in Loop: Header=BB146_42 Depth=2
	s_and_not1_saveexec_b32 s6, s6
	s_cbranch_execz .LBB146_41
; %bb.55:                               ;   in Loop: Header=BB146_42 Depth=2
	v_lshlrev_b32_e32 v13, 3, v15
	s_mov_b32 s8, 0
	s_delay_alu instid0(VALU_DEP_1)
	v_add_nc_u32_e32 v16, v16, v13
	ds_load_b64 v[13:14], v16 offset:8192
.LBB146_56:                             ;   Parent Loop BB146_40 Depth=1
                                        ;     Parent Loop BB146_42 Depth=2
                                        ; =>    This Inner Loop Header: Depth=3
	s_waitcnt lgkmcnt(0)
	v_add_f64 v[17:18], v[13:14], v[7:8]
	ds_cmpstore_rtn_b64 v[17:18], v16, v[17:18], v[13:14] offset:8192
	s_waitcnt lgkmcnt(0)
	v_cmp_eq_u64_e32 vcc_lo, v[17:18], v[13:14]
	v_dual_mov_b32 v13, v17 :: v_dual_mov_b32 v14, v18
	s_or_b32 s8, vcc_lo, s8
	s_delay_alu instid0(SALU_CYCLE_1)
	s_and_not1_b32 exec_lo, exec_lo, s8
	s_cbranch_execnz .LBB146_56
; %bb.57:                               ;   in Loop: Header=BB146_42 Depth=2
	s_or_b32 exec_lo, exec_lo, s8
	ds_load_b64 v[13:14], v16 offset:8200
	s_mov_b32 s8, 0
.LBB146_58:                             ;   Parent Loop BB146_40 Depth=1
                                        ;     Parent Loop BB146_42 Depth=2
                                        ; =>    This Inner Loop Header: Depth=3
	s_waitcnt lgkmcnt(0)
	v_add_f64 v[17:18], v[13:14], v[9:10]
	ds_cmpstore_rtn_b64 v[17:18], v16, v[17:18], v[13:14] offset:8200
	s_waitcnt lgkmcnt(0)
	v_cmp_eq_u64_e32 vcc_lo, v[17:18], v[13:14]
	v_dual_mov_b32 v13, v17 :: v_dual_mov_b32 v14, v18
	s_or_b32 s8, vcc_lo, s8
	s_delay_alu instid0(SALU_CYCLE_1)
	s_and_not1_b32 exec_lo, exec_lo, s8
	s_cbranch_execnz .LBB146_58
; %bb.59:                               ;   in Loop: Header=BB146_42 Depth=2
	s_or_b32 exec_lo, exec_lo, s8
	s_delay_alu instid0(SALU_CYCLE_1)
	s_and_not1_b32 s7, s7, exec_lo
	s_branch .LBB146_41
.LBB146_60:
	s_or_b32 exec_lo, exec_lo, s3
.LBB146_61:
	v_mbcnt_lo_u32_b32 v1, -1, 0
	v_lshl_add_u32 v10, v30, 3, 0
	v_cmp_eq_u32_e32 vcc_lo, 0x1ff, v0
	v_cmp_lt_u32_e64 s0, 31, v0
	v_cmp_lt_u32_e64 s1, 63, v0
	v_xor_b32_e32 v1, 63, v1
	v_cmp_lt_u32_e64 s2, 0x5f, v0
	v_cmp_lt_u32_e64 s3, 0x7f, v0
	;; [unrolled: 1-line block ×4, first 2 shown]
	v_lshrrev_b64 v[1:2], v1, -1
	v_dual_mov_b32 v2, 0 :: v_dual_mov_b32 v5, 0
	v_cmp_lt_u32_e64 s6, 0xdf, v0
	v_cmp_lt_u32_e64 s7, 0xff, v0
	;; [unrolled: 1-line block ×9, first 2 shown]
	v_mov_b32_e32 v3, 0
	s_mov_b32 s16, 0
	s_waitcnt lgkmcnt(0)
	s_barrier
	buffer_gl0_inv
	s_branch .LBB146_63
.LBB146_62:                             ;   in Loop: Header=BB146_63 Depth=1
	s_or_b32 exec_lo, exec_lo, s15
	s_waitcnt lgkmcnt(0)
	s_barrier
	buffer_gl0_inv
	ds_load_b64 v[6:7], v5 offset:24696
	v_add_co_u32 v27, s15, 0x200, v27
	s_delay_alu instid0(VALU_DEP_1) | instskip(SKIP_4) | instid1(VALU_DEP_1)
	s_xor_b32 s17, s15, -1
	v_add_nc_u32_e32 v29, 0x2000, v29
	v_add_nc_u32_e32 v28, 0x1000, v28
	s_waitcnt lgkmcnt(0)
	v_add_co_u32 v2, s15, v6, v2
	v_add_co_ci_u32_e64 v3, s15, v7, v3, s15
	s_and_b32 s15, exec_lo, s17
	s_delay_alu instid0(SALU_CYCLE_1) | instskip(NEXT) | instid1(SALU_CYCLE_1)
	s_or_b32 s16, s15, s16
	s_and_not1_b32 exec_lo, exec_lo, s16
	s_cbranch_execz .LBB146_97
.LBB146_63:                             ; =>This Inner Loop Header: Depth=1
	ds_load_b64 v[6:7], v28
	ds_load_2addr_b64 v[11:14], v29 offset1:1
	s_waitcnt lgkmcnt(1)
	v_cmp_gt_i64_e64 s15, s[28:29], v[6:7]
	s_waitcnt lgkmcnt(0)
	scratch_store_b128 off, v[11:14], off
	s_waitcnt_vscnt null, 0x0
	s_barrier
	buffer_gl0_inv
	v_and_b32_e32 v8, s15, v1
	s_bcnt1_i32_b32 s17, s15
	s_delay_alu instid0(SALU_CYCLE_1) | instskip(NEXT) | instid1(VALU_DEP_2)
	v_mov_b32_e32 v4, s17
	v_bcnt_u32_b32 v8, v8, 0
	ds_store_b64 v10, v[4:5] offset:24576
	s_waitcnt lgkmcnt(0)
	s_barrier
	buffer_gl0_inv
	s_and_saveexec_b32 s17, s0
	s_cbranch_execnz .LBB146_80
; %bb.64:                               ;   in Loop: Header=BB146_63 Depth=1
	s_or_b32 exec_lo, exec_lo, s17
	s_and_saveexec_b32 s17, s1
	s_cbranch_execnz .LBB146_81
.LBB146_65:                             ;   in Loop: Header=BB146_63 Depth=1
	s_or_b32 exec_lo, exec_lo, s17
	s_and_saveexec_b32 s17, s2
	s_cbranch_execnz .LBB146_82
.LBB146_66:                             ;   in Loop: Header=BB146_63 Depth=1
	s_or_b32 exec_lo, exec_lo, s17
	s_and_saveexec_b32 s17, s3
	s_cbranch_execnz .LBB146_83
.LBB146_67:                             ;   in Loop: Header=BB146_63 Depth=1
	s_or_b32 exec_lo, exec_lo, s17
	s_and_saveexec_b32 s17, s4
	s_cbranch_execnz .LBB146_84
.LBB146_68:                             ;   in Loop: Header=BB146_63 Depth=1
	s_or_b32 exec_lo, exec_lo, s17
	s_and_saveexec_b32 s17, s5
	s_cbranch_execnz .LBB146_85
.LBB146_69:                             ;   in Loop: Header=BB146_63 Depth=1
	s_or_b32 exec_lo, exec_lo, s17
	s_and_saveexec_b32 s17, s6
	s_cbranch_execnz .LBB146_86
.LBB146_70:                             ;   in Loop: Header=BB146_63 Depth=1
	s_or_b32 exec_lo, exec_lo, s17
	s_and_saveexec_b32 s17, s7
	s_cbranch_execnz .LBB146_87
.LBB146_71:                             ;   in Loop: Header=BB146_63 Depth=1
	s_or_b32 exec_lo, exec_lo, s17
	s_and_saveexec_b32 s17, s8
	s_cbranch_execnz .LBB146_88
.LBB146_72:                             ;   in Loop: Header=BB146_63 Depth=1
	s_or_b32 exec_lo, exec_lo, s17
	s_and_saveexec_b32 s17, s9
	s_cbranch_execnz .LBB146_89
.LBB146_73:                             ;   in Loop: Header=BB146_63 Depth=1
	s_or_b32 exec_lo, exec_lo, s17
	s_and_saveexec_b32 s17, s10
	s_cbranch_execnz .LBB146_90
.LBB146_74:                             ;   in Loop: Header=BB146_63 Depth=1
	s_or_b32 exec_lo, exec_lo, s17
	s_and_saveexec_b32 s17, s11
	s_cbranch_execnz .LBB146_91
.LBB146_75:                             ;   in Loop: Header=BB146_63 Depth=1
	s_or_b32 exec_lo, exec_lo, s17
	s_and_saveexec_b32 s17, s12
	s_cbranch_execnz .LBB146_92
.LBB146_76:                             ;   in Loop: Header=BB146_63 Depth=1
	s_or_b32 exec_lo, exec_lo, s17
	s_and_saveexec_b32 s17, s13
	s_cbranch_execnz .LBB146_93
.LBB146_77:                             ;   in Loop: Header=BB146_63 Depth=1
	s_or_b32 exec_lo, exec_lo, s17
	s_and_saveexec_b32 s17, s14
	s_cbranch_execnz .LBB146_94
.LBB146_78:                             ;   in Loop: Header=BB146_63 Depth=1
	s_or_b32 exec_lo, exec_lo, s17
	v_ashrrev_i32_e32 v9, 31, v8
	s_and_saveexec_b32 s17, s15
	s_cbranch_execnz .LBB146_95
.LBB146_79:                             ;   in Loop: Header=BB146_63 Depth=1
	s_or_b32 exec_lo, exec_lo, s17
	s_and_saveexec_b32 s15, vcc_lo
	s_cbranch_execz .LBB146_62
	s_branch .LBB146_96
.LBB146_80:                             ;   in Loop: Header=BB146_63 Depth=1
	ds_load_b32 v4, v5 offset:24576
	s_waitcnt lgkmcnt(0)
	v_add_nc_u32_e32 v8, v4, v8
	s_or_b32 exec_lo, exec_lo, s17
	s_and_saveexec_b32 s17, s1
	s_cbranch_execz .LBB146_65
.LBB146_81:                             ;   in Loop: Header=BB146_63 Depth=1
	ds_load_b32 v4, v5 offset:24584
	s_waitcnt lgkmcnt(0)
	v_add_nc_u32_e32 v8, v8, v4
	s_or_b32 exec_lo, exec_lo, s17
	s_and_saveexec_b32 s17, s2
	s_cbranch_execz .LBB146_66
.LBB146_82:                             ;   in Loop: Header=BB146_63 Depth=1
	ds_load_b32 v4, v5 offset:24592
	s_waitcnt lgkmcnt(0)
	v_add_nc_u32_e32 v8, v8, v4
	s_or_b32 exec_lo, exec_lo, s17
	s_and_saveexec_b32 s17, s3
	s_cbranch_execz .LBB146_67
.LBB146_83:                             ;   in Loop: Header=BB146_63 Depth=1
	ds_load_b32 v4, v5 offset:24600
	s_waitcnt lgkmcnt(0)
	v_add_nc_u32_e32 v8, v8, v4
	s_or_b32 exec_lo, exec_lo, s17
	s_and_saveexec_b32 s17, s4
	s_cbranch_execz .LBB146_68
.LBB146_84:                             ;   in Loop: Header=BB146_63 Depth=1
	ds_load_b32 v4, v5 offset:24608
	s_waitcnt lgkmcnt(0)
	v_add_nc_u32_e32 v8, v8, v4
	s_or_b32 exec_lo, exec_lo, s17
	s_and_saveexec_b32 s17, s5
	s_cbranch_execz .LBB146_69
.LBB146_85:                             ;   in Loop: Header=BB146_63 Depth=1
	ds_load_b32 v4, v5 offset:24616
	s_waitcnt lgkmcnt(0)
	v_add_nc_u32_e32 v8, v8, v4
	s_or_b32 exec_lo, exec_lo, s17
	s_and_saveexec_b32 s17, s6
	s_cbranch_execz .LBB146_70
.LBB146_86:                             ;   in Loop: Header=BB146_63 Depth=1
	ds_load_b32 v4, v5 offset:24624
	s_waitcnt lgkmcnt(0)
	v_add_nc_u32_e32 v8, v8, v4
	s_or_b32 exec_lo, exec_lo, s17
	s_and_saveexec_b32 s17, s7
	s_cbranch_execz .LBB146_71
.LBB146_87:                             ;   in Loop: Header=BB146_63 Depth=1
	ds_load_b32 v4, v5 offset:24632
	s_waitcnt lgkmcnt(0)
	v_add_nc_u32_e32 v8, v8, v4
	s_or_b32 exec_lo, exec_lo, s17
	s_and_saveexec_b32 s17, s8
	s_cbranch_execz .LBB146_72
.LBB146_88:                             ;   in Loop: Header=BB146_63 Depth=1
	ds_load_b32 v4, v5 offset:24640
	s_waitcnt lgkmcnt(0)
	v_add_nc_u32_e32 v8, v8, v4
	s_or_b32 exec_lo, exec_lo, s17
	s_and_saveexec_b32 s17, s9
	s_cbranch_execz .LBB146_73
.LBB146_89:                             ;   in Loop: Header=BB146_63 Depth=1
	ds_load_b32 v4, v5 offset:24648
	s_waitcnt lgkmcnt(0)
	v_add_nc_u32_e32 v8, v8, v4
	s_or_b32 exec_lo, exec_lo, s17
	s_and_saveexec_b32 s17, s10
	s_cbranch_execz .LBB146_74
.LBB146_90:                             ;   in Loop: Header=BB146_63 Depth=1
	ds_load_b32 v4, v5 offset:24656
	s_waitcnt lgkmcnt(0)
	v_add_nc_u32_e32 v8, v8, v4
	s_or_b32 exec_lo, exec_lo, s17
	s_and_saveexec_b32 s17, s11
	s_cbranch_execz .LBB146_75
.LBB146_91:                             ;   in Loop: Header=BB146_63 Depth=1
	ds_load_b32 v4, v5 offset:24664
	s_waitcnt lgkmcnt(0)
	v_add_nc_u32_e32 v8, v8, v4
	s_or_b32 exec_lo, exec_lo, s17
	s_and_saveexec_b32 s17, s12
	s_cbranch_execz .LBB146_76
.LBB146_92:                             ;   in Loop: Header=BB146_63 Depth=1
	ds_load_b32 v4, v5 offset:24672
	s_waitcnt lgkmcnt(0)
	v_add_nc_u32_e32 v8, v8, v4
	s_or_b32 exec_lo, exec_lo, s17
	s_and_saveexec_b32 s17, s13
	s_cbranch_execz .LBB146_77
.LBB146_93:                             ;   in Loop: Header=BB146_63 Depth=1
	ds_load_b32 v4, v5 offset:24680
	s_waitcnt lgkmcnt(0)
	v_add_nc_u32_e32 v8, v8, v4
	s_or_b32 exec_lo, exec_lo, s17
	s_and_saveexec_b32 s17, s14
	s_cbranch_execz .LBB146_78
.LBB146_94:                             ;   in Loop: Header=BB146_63 Depth=1
	ds_load_b32 v4, v5 offset:24688
	s_waitcnt lgkmcnt(0)
	v_add_nc_u32_e32 v8, v8, v4
	s_or_b32 exec_lo, exec_lo, s17
	s_delay_alu instid0(VALU_DEP_1)
	v_ashrrev_i32_e32 v9, 31, v8
	s_and_saveexec_b32 s17, s15
	s_cbranch_execz .LBB146_79
.LBB146_95:                             ;   in Loop: Header=BB146_63 Depth=1
	scratch_load_b128 v[11:14], off, off
	v_add3_u32 v4, v2, -1, v8
	s_delay_alu instid0(VALU_DEP_1) | instskip(SKIP_1) | instid1(VALU_DEP_2)
	v_lshlrev_b32_e32 v15, 4, v4
	v_lshl_add_u32 v4, v4, 3, 0
	v_add3_u32 v15, 0, v15, 0x2000
	ds_store_b64 v4, v[6:7]
	s_waitcnt vmcnt(0)
	ds_store_2addr_b64 v15, v[11:12], v[13:14] offset1:1
	s_or_b32 exec_lo, exec_lo, s17
	s_and_saveexec_b32 s15, vcc_lo
	s_cbranch_execz .LBB146_62
.LBB146_96:                             ;   in Loop: Header=BB146_63 Depth=1
	ds_store_b64 v5, v[8:9] offset:24696
	s_branch .LBB146_62
.LBB146_97:
	s_or_b32 exec_lo, exec_lo, s16
	s_lshl_b64 s[0:1], s[30:31], 3
	v_mov_b32_e32 v1, 0
	s_add_u32 s0, s18, s0
	s_addc_u32 s1, s19, s1
	s_mov_b32 s6, exec_lo
	s_load_b128 s[0:3], s[0:1], 0x0
	s_waitcnt lgkmcnt(0)
	s_sub_u32 s4, s2, s0
	s_subb_u32 s5, s3, s1
	s_delay_alu instid0(SALU_CYCLE_1)
	v_cmpx_gt_i64_e64 s[4:5], v[0:1]
	s_cbranch_execz .LBB146_107
; %bb.98:
	s_sub_u32 s8, s0, s22
	s_subb_u32 s9, s1, 0
	s_and_b32 s6, s4, 7
	s_sub_u32 s0, s0, s2
	s_subb_u32 s1, s1, s3
	s_mov_b32 s7, 0
	v_cmp_lt_u64_e64 s12, s[0:1], -7
	s_and_b32 s2, s4, -8
	s_cmp_lg_u64 s[6:7], 0
	s_mov_b32 s3, s5
	s_cselect_b32 s13, -1, 0
	s_mov_b32 s14, s7
	s_branch .LBB146_100
.LBB146_99:                             ;   in Loop: Header=BB146_100 Depth=1
	s_waitcnt lgkmcnt(0)
	v_lshlrev_b32_e32 v2, 3, v0
	v_add_co_u32 v0, vcc_lo, 0x200, v0
	v_add_co_ci_u32_e32 v1, vcc_lo, 0, v1, vcc_lo
	s_delay_alu instid0(VALU_DEP_3) | instskip(NEXT) | instid1(VALU_DEP_2)
	v_add3_u32 v2, v6, v2, 0x2000
	v_cmp_le_i64_e32 vcc_lo, s[4:5], v[0:1]
	ds_load_2addr_b64 v[6:9], v2 offset1:1
	v_lshlrev_b64 v[2:3], 4, v[4:5]
	s_or_b32 s14, vcc_lo, s14
	s_delay_alu instid0(VALU_DEP_1) | instskip(NEXT) | instid1(VALU_DEP_1)
	v_add_co_u32 v2, s0, s34, v2
	v_add_co_ci_u32_e64 v3, s0, s35, v3, s0
	s_waitcnt lgkmcnt(0)
	global_store_b128 v[2:3], v[6:9], off
	s_and_not1_b32 exec_lo, exec_lo, s14
	s_cbranch_execz .LBB146_107
.LBB146_100:                            ; =>This Loop Header: Depth=1
                                        ;     Child Loop BB146_102 Depth 2
                                        ;     Child Loop BB146_106 Depth 2
	v_lshl_add_u32 v6, v0, 3, 0
	v_dual_mov_b32 v4, s8 :: v_dual_mov_b32 v5, s9
	s_and_not1_b32 vcc_lo, exec_lo, s12
	s_mov_b64 s[0:1], 0
	ds_load_b64 v[2:3], v6
	s_cbranch_vccnz .LBB146_104
; %bb.101:                              ;   in Loop: Header=BB146_100 Depth=1
	v_dual_mov_b32 v4, s8 :: v_dual_mov_b32 v5, s9
	s_mov_b64 s[10:11], 0
	s_mov_b32 s1, 0
.LBB146_102:                            ;   Parent Loop BB146_100 Depth=1
                                        ; =>  This Inner Loop Header: Depth=2
	s_delay_alu instid0(SALU_CYCLE_1)
	v_mov_b32_e32 v19, s1
	s_add_u32 s10, s10, 8
	s_addc_u32 s11, s11, 0
	s_add_i32 s1, s1, 64
	s_cmp_eq_u64 s[2:3], s[10:11]
	ds_load_2addr_b64 v[7:10], v19 offset1:1
	ds_load_2addr_b64 v[11:14], v19 offset0:2 offset1:3
	ds_load_2addr_b64 v[15:18], v19 offset0:4 offset1:5
	;; [unrolled: 1-line block ×3, first 2 shown]
	s_waitcnt lgkmcnt(3)
	v_cmp_gt_i64_e32 vcc_lo, v[2:3], v[7:8]
	v_cndmask_b32_e64 v7, 0, 1, vcc_lo
	v_cmp_gt_i64_e32 vcc_lo, v[2:3], v[9:10]
	v_cndmask_b32_e64 v8, 0, 1, vcc_lo
	s_waitcnt lgkmcnt(2)
	v_cmp_gt_i64_e32 vcc_lo, v[2:3], v[11:12]
	v_cndmask_b32_e64 v9, 0, 1, vcc_lo
	v_cmp_gt_i64_e32 vcc_lo, v[2:3], v[13:14]
	v_cndmask_b32_e64 v10, 0, 1, vcc_lo
	s_waitcnt lgkmcnt(1)
	v_cmp_gt_i64_e32 vcc_lo, v[2:3], v[15:16]
	v_cndmask_b32_e64 v11, 0, 1, vcc_lo
	v_add_co_u32 v4, vcc_lo, v4, v7
	v_add_co_ci_u32_e32 v5, vcc_lo, 0, v5, vcc_lo
	v_cmp_gt_i64_e32 vcc_lo, v[2:3], v[17:18]
	s_delay_alu instid0(VALU_DEP_3) | instskip(NEXT) | instid1(VALU_DEP_1)
	v_add_co_u32 v4, s0, v4, v8
	v_add_co_ci_u32_e64 v5, s0, 0, v5, s0
	v_cndmask_b32_e64 v7, 0, 1, vcc_lo
	s_delay_alu instid0(VALU_DEP_3) | instskip(NEXT) | instid1(VALU_DEP_3)
	v_add_co_u32 v4, vcc_lo, v4, v9
	v_add_co_ci_u32_e32 v5, vcc_lo, 0, v5, vcc_lo
	s_waitcnt lgkmcnt(0)
	v_cmp_gt_i64_e32 vcc_lo, v[2:3], v[19:20]
	s_delay_alu instid0(VALU_DEP_3) | instskip(NEXT) | instid1(VALU_DEP_1)
	v_add_co_u32 v4, s0, v4, v10
	v_add_co_ci_u32_e64 v5, s0, 0, v5, s0
	v_cndmask_b32_e64 v8, 0, 1, vcc_lo
	s_delay_alu instid0(VALU_DEP_3) | instskip(NEXT) | instid1(VALU_DEP_3)
	v_add_co_u32 v4, vcc_lo, v4, v11
	v_add_co_ci_u32_e32 v5, vcc_lo, 0, v5, vcc_lo
	v_cmp_gt_i64_e32 vcc_lo, v[2:3], v[21:22]
	s_delay_alu instid0(VALU_DEP_3) | instskip(NEXT) | instid1(VALU_DEP_1)
	v_add_co_u32 v4, s0, v4, v7
	v_add_co_ci_u32_e64 v5, s0, 0, v5, s0
	v_cndmask_b32_e64 v7, 0, 1, vcc_lo
	s_delay_alu instid0(VALU_DEP_3) | instskip(NEXT) | instid1(VALU_DEP_3)
	v_add_co_u32 v4, vcc_lo, v4, v8
	v_add_co_ci_u32_e32 v5, vcc_lo, 0, v5, vcc_lo
	s_delay_alu instid0(VALU_DEP_2) | instskip(NEXT) | instid1(VALU_DEP_2)
	v_add_co_u32 v4, vcc_lo, v4, v7
	v_add_co_ci_u32_e32 v5, vcc_lo, 0, v5, vcc_lo
	s_cbranch_scc0 .LBB146_102
; %bb.103:                              ;   in Loop: Header=BB146_100 Depth=1
	s_mov_b64 s[0:1], s[2:3]
.LBB146_104:                            ;   in Loop: Header=BB146_100 Depth=1
	s_and_not1_b32 vcc_lo, exec_lo, s13
	s_cbranch_vccnz .LBB146_99
; %bb.105:                              ;   in Loop: Header=BB146_100 Depth=1
	s_lshl_b32 s0, s0, 3
	s_delay_alu instid0(SALU_CYCLE_1)
	s_add_i32 s10, s0, 0
	s_mov_b64 s[0:1], s[6:7]
.LBB146_106:                            ;   Parent Loop BB146_100 Depth=1
                                        ; =>  This Inner Loop Header: Depth=2
	v_mov_b32_e32 v7, s10
	s_add_i32 s10, s10, 8
	s_add_u32 s0, s0, -1
	s_addc_u32 s1, s1, -1
	s_delay_alu instid0(SALU_CYCLE_1) | instskip(SKIP_4) | instid1(VALU_DEP_1)
	s_cmp_lg_u64 s[0:1], 0
	ds_load_b64 v[7:8], v7
	s_waitcnt lgkmcnt(0)
	v_cmp_gt_i64_e32 vcc_lo, v[2:3], v[7:8]
	v_cndmask_b32_e64 v7, 0, 1, vcc_lo
	v_add_co_u32 v4, vcc_lo, v4, v7
	v_add_co_ci_u32_e32 v5, vcc_lo, 0, v5, vcc_lo
	s_cbranch_scc1 .LBB146_106
	s_branch .LBB146_99
.LBB146_107:
	s_nop 0
	s_sendmsg sendmsg(MSG_DEALLOC_VGPRS)
	s_endpgm
	.section	.rodata,"a",@progbits
	.p2align	6, 0x0
	.amdhsa_kernel _ZN9rocsparseL41csrgemm_numeric_fill_block_per_row_kernelILj512ELj32ELj1024ELj137ELj32Ell21rocsparse_complex_numIdEEEvT5_PKS3_S5_NS_24const_host_device_scalarIT6_EEPKT4_S5_PKS7_SB_S5_SD_S8_SB_S5_SD_SB_S5_PS7_21rocsparse_index_base_SF_SF_SF_bbb
		.amdhsa_group_segment_fixed_size 0
		.amdhsa_private_segment_fixed_size 40
		.amdhsa_kernarg_size 172
		.amdhsa_user_sgpr_count 15
		.amdhsa_user_sgpr_dispatch_ptr 0
		.amdhsa_user_sgpr_queue_ptr 0
		.amdhsa_user_sgpr_kernarg_segment_ptr 1
		.amdhsa_user_sgpr_dispatch_id 0
		.amdhsa_user_sgpr_private_segment_size 0
		.amdhsa_wavefront_size32 1
		.amdhsa_uses_dynamic_stack 0
		.amdhsa_enable_private_segment 1
		.amdhsa_system_sgpr_workgroup_id_x 1
		.amdhsa_system_sgpr_workgroup_id_y 0
		.amdhsa_system_sgpr_workgroup_id_z 0
		.amdhsa_system_sgpr_workgroup_info 0
		.amdhsa_system_vgpr_workitem_id 0
		.amdhsa_next_free_vgpr 37
		.amdhsa_next_free_sgpr 44
		.amdhsa_reserve_vcc 1
		.amdhsa_float_round_mode_32 0
		.amdhsa_float_round_mode_16_64 0
		.amdhsa_float_denorm_mode_32 3
		.amdhsa_float_denorm_mode_16_64 3
		.amdhsa_dx10_clamp 1
		.amdhsa_ieee_mode 1
		.amdhsa_fp16_overflow 0
		.amdhsa_workgroup_processor_mode 1
		.amdhsa_memory_ordered 1
		.amdhsa_forward_progress 0
		.amdhsa_shared_vgpr_count 0
		.amdhsa_exception_fp_ieee_invalid_op 0
		.amdhsa_exception_fp_denorm_src 0
		.amdhsa_exception_fp_ieee_div_zero 0
		.amdhsa_exception_fp_ieee_overflow 0
		.amdhsa_exception_fp_ieee_underflow 0
		.amdhsa_exception_fp_ieee_inexact 0
		.amdhsa_exception_int_div_zero 0
	.end_amdhsa_kernel
	.section	.text._ZN9rocsparseL41csrgemm_numeric_fill_block_per_row_kernelILj512ELj32ELj1024ELj137ELj32Ell21rocsparse_complex_numIdEEEvT5_PKS3_S5_NS_24const_host_device_scalarIT6_EEPKT4_S5_PKS7_SB_S5_SD_S8_SB_S5_SD_SB_S5_PS7_21rocsparse_index_base_SF_SF_SF_bbb,"axG",@progbits,_ZN9rocsparseL41csrgemm_numeric_fill_block_per_row_kernelILj512ELj32ELj1024ELj137ELj32Ell21rocsparse_complex_numIdEEEvT5_PKS3_S5_NS_24const_host_device_scalarIT6_EEPKT4_S5_PKS7_SB_S5_SD_S8_SB_S5_SD_SB_S5_PS7_21rocsparse_index_base_SF_SF_SF_bbb,comdat
.Lfunc_end146:
	.size	_ZN9rocsparseL41csrgemm_numeric_fill_block_per_row_kernelILj512ELj32ELj1024ELj137ELj32Ell21rocsparse_complex_numIdEEEvT5_PKS3_S5_NS_24const_host_device_scalarIT6_EEPKT4_S5_PKS7_SB_S5_SD_S8_SB_S5_SD_SB_S5_PS7_21rocsparse_index_base_SF_SF_SF_bbb, .Lfunc_end146-_ZN9rocsparseL41csrgemm_numeric_fill_block_per_row_kernelILj512ELj32ELj1024ELj137ELj32Ell21rocsparse_complex_numIdEEEvT5_PKS3_S5_NS_24const_host_device_scalarIT6_EEPKT4_S5_PKS7_SB_S5_SD_S8_SB_S5_SD_SB_S5_PS7_21rocsparse_index_base_SF_SF_SF_bbb
                                        ; -- End function
	.section	.AMDGPU.csdata,"",@progbits
; Kernel info:
; codeLenInByte = 4400
; NumSgprs: 46
; NumVgprs: 37
; ScratchSize: 40
; MemoryBound: 0
; FloatMode: 240
; IeeeMode: 1
; LDSByteSize: 0 bytes/workgroup (compile time only)
; SGPRBlocks: 5
; VGPRBlocks: 4
; NumSGPRsForWavesPerEU: 46
; NumVGPRsForWavesPerEU: 37
; Occupancy: 16
; WaveLimiterHint : 1
; COMPUTE_PGM_RSRC2:SCRATCH_EN: 1
; COMPUTE_PGM_RSRC2:USER_SGPR: 15
; COMPUTE_PGM_RSRC2:TRAP_HANDLER: 0
; COMPUTE_PGM_RSRC2:TGID_X_EN: 1
; COMPUTE_PGM_RSRC2:TGID_Y_EN: 0
; COMPUTE_PGM_RSRC2:TGID_Z_EN: 0
; COMPUTE_PGM_RSRC2:TIDIG_COMP_CNT: 0
	.section	.text._ZN9rocsparseL41csrgemm_numeric_fill_block_per_row_kernelILj512ELj32ELj1024ELj137ELj64Ell21rocsparse_complex_numIdEEEvT5_PKS3_S5_NS_24const_host_device_scalarIT6_EEPKT4_S5_PKS7_SB_S5_SD_S8_SB_S5_SD_SB_S5_PS7_21rocsparse_index_base_SF_SF_SF_bbb,"axG",@progbits,_ZN9rocsparseL41csrgemm_numeric_fill_block_per_row_kernelILj512ELj32ELj1024ELj137ELj64Ell21rocsparse_complex_numIdEEEvT5_PKS3_S5_NS_24const_host_device_scalarIT6_EEPKT4_S5_PKS7_SB_S5_SD_S8_SB_S5_SD_SB_S5_PS7_21rocsparse_index_base_SF_SF_SF_bbb,comdat
	.globl	_ZN9rocsparseL41csrgemm_numeric_fill_block_per_row_kernelILj512ELj32ELj1024ELj137ELj64Ell21rocsparse_complex_numIdEEEvT5_PKS3_S5_NS_24const_host_device_scalarIT6_EEPKT4_S5_PKS7_SB_S5_SD_S8_SB_S5_SD_SB_S5_PS7_21rocsparse_index_base_SF_SF_SF_bbb ; -- Begin function _ZN9rocsparseL41csrgemm_numeric_fill_block_per_row_kernelILj512ELj32ELj1024ELj137ELj64Ell21rocsparse_complex_numIdEEEvT5_PKS3_S5_NS_24const_host_device_scalarIT6_EEPKT4_S5_PKS7_SB_S5_SD_S8_SB_S5_SD_SB_S5_PS7_21rocsparse_index_base_SF_SF_SF_bbb
	.p2align	8
	.type	_ZN9rocsparseL41csrgemm_numeric_fill_block_per_row_kernelILj512ELj32ELj1024ELj137ELj64Ell21rocsparse_complex_numIdEEEvT5_PKS3_S5_NS_24const_host_device_scalarIT6_EEPKT4_S5_PKS7_SB_S5_SD_S8_SB_S5_SD_SB_S5_PS7_21rocsparse_index_base_SF_SF_SF_bbb,@function
_ZN9rocsparseL41csrgemm_numeric_fill_block_per_row_kernelILj512ELj32ELj1024ELj137ELj64Ell21rocsparse_complex_numIdEEEvT5_PKS3_S5_NS_24const_host_device_scalarIT6_EEPKT4_S5_PKS7_SB_S5_SD_S8_SB_S5_SD_SB_S5_PS7_21rocsparse_index_base_SF_SF_SF_bbb: ; @_ZN9rocsparseL41csrgemm_numeric_fill_block_per_row_kernelILj512ELj32ELj1024ELj137ELj64Ell21rocsparse_complex_numIdEEEvT5_PKS3_S5_NS_24const_host_device_scalarIT6_EEPKT4_S5_PKS7_SB_S5_SD_S8_SB_S5_SD_SB_S5_PS7_21rocsparse_index_base_SF_SF_SF_bbb
; %bb.0:
	s_clause 0x3
	s_load_b32 s42, s[0:1], 0xa8
	s_load_b128 s[4:7], s[0:1], 0x18
	s_load_b128 s[28:31], s[0:1], 0x58
	s_load_b128 s[20:23], s[0:1], 0x98
	v_mov_b32_e32 v1, 0
	v_mov_b32_e32 v2, 0
	s_mov_b32 s40, s15
	s_waitcnt lgkmcnt(0)
	s_bitcmp1_b32 s42, 0
	v_mov_b32_e32 v3, s4
	s_cselect_b32 s33, -1, 0
	s_bitcmp1_b32 s42, 16
	v_dual_mov_b32 v6, v2 :: v_dual_mov_b32 v5, v1
	s_cselect_b32 s2, -1, 0
	v_mov_b32_e32 v4, s5
	s_xor_b32 s41, s2, -1
	v_dual_mov_b32 v9, s28 :: v_dual_mov_b32 v10, s29
	v_cndmask_b32_e64 v7, 0, 1, s41
	s_bitcmp0_b32 s42, 0
	s_clause 0x1
	scratch_store_b64 off, v[3:4], off offset:16
	scratch_store_b64 off, v[9:10], off offset:24
	v_cmp_ne_u32_e32 vcc_lo, 1, v7
	v_dual_mov_b32 v8, v2 :: v_dual_mov_b32 v7, v1
	s_cbranch_scc1 .LBB147_3
; %bb.1:
	s_mov_b64 s[8:9], src_private_base
	s_and_b32 s3, s2, exec_lo
	s_cselect_b32 s3, s9, s5
	s_delay_alu instid0(SALU_CYCLE_1) | instskip(SKIP_2) | instid1(VALU_DEP_2)
	v_dual_mov_b32 v3, 16 :: v_dual_mov_b32 v4, s3
	v_dual_mov_b32 v8, s7 :: v_dual_mov_b32 v7, s6
	s_and_b32 vcc_lo, exec_lo, vcc_lo
	v_cndmask_b32_e64 v3, s4, v3, s2
	flat_load_b64 v[5:6], v[3:4]
	s_cbranch_vccnz .LBB147_3
; %bb.2:
	v_dual_mov_b32 v3, s4 :: v_dual_mov_b32 v4, s5
	flat_load_b64 v[7:8], v[3:4] offset:8
.LBB147_3:
	s_clause 0x4
	s_load_b64 s[34:35], s[0:1], 0x90
	s_load_b256 s[4:11], s[0:1], 0x68
	s_load_b128 s[24:27], s[0:1], 0x48
	s_load_b128 s[36:39], s[0:1], 0x8
	s_load_b256 s[12:19], s[0:1], 0x28
	s_bitcmp1_b32 s42, 8
	v_dual_mov_b32 v4, v2 :: v_dual_mov_b32 v3, v1
	s_cselect_b32 s3, -1, 0
	s_bfe_u32 s42, s42, 0x10008
	s_delay_alu instid0(SALU_CYCLE_1)
	s_cmp_eq_u32 s42, 0
	s_cbranch_scc1 .LBB147_6
; %bb.4:
	s_mov_b64 s[42:43], src_private_base
	s_and_b32 s42, s2, exec_lo
	s_cselect_b32 s42, s43, s29
	s_delay_alu instid0(SALU_CYCLE_1) | instskip(SKIP_1) | instid1(VALU_DEP_1)
	v_dual_mov_b32 v1, 24 :: v_dual_mov_b32 v2, s42
	s_and_not1_b32 vcc_lo, exec_lo, s41
	v_cndmask_b32_e64 v1, s28, v1, s2
	flat_load_b64 v[3:4], v[1:2]
	v_dual_mov_b32 v1, s30 :: v_dual_mov_b32 v2, s31
	s_cbranch_vccnz .LBB147_6
; %bb.5:
	v_dual_mov_b32 v1, s28 :: v_dual_mov_b32 v2, s29
	flat_load_b64 v[1:2], v[1:2] offset:8
.LBB147_6:
	s_load_b64 s[28:29], s[0:1], 0x0
	s_mov_b32 s0, 0
	v_or_b32_e32 v27, 0xfffffe00, v0
	s_mov_b32 s1, s0
	s_delay_alu instid0(SALU_CYCLE_1) | instskip(SKIP_3) | instid1(VALU_DEP_2)
	v_dual_mov_b32 v10, s1 :: v_dual_lshlrev_b32 v11, 4, v0
	v_lshl_add_u32 v28, v0, 3, 0
	s_mov_b32 s30, s0
	s_mov_b32 s31, s0
	v_add3_u32 v29, v11, 0, 0x2000
	v_dual_mov_b32 v11, s30 :: v_dual_mov_b32 v16, v27
	v_dual_mov_b32 v9, s0 :: v_dual_mov_b32 v12, s31
	v_mov_b32_e32 v15, v28
	s_delay_alu instid0(VALU_DEP_4)
	v_mov_b32_e32 v17, v29
	s_waitcnt lgkmcnt(0)
	v_dual_mov_b32 v13, s28 :: v_dual_mov_b32 v14, s29
.LBB147_7:                              ; =>This Inner Loop Header: Depth=1
	v_add_co_u32 v16, s1, 0x200, v16
	s_delay_alu instid0(VALU_DEP_1)
	s_xor_b32 s1, s1, -1
	ds_store_b64 v15, v[13:14]
	ds_store_2addr_b64 v17, v[9:10], v[11:12] offset1:1
	v_add_nc_u32_e32 v17, 0x2000, v17
	v_add_nc_u32_e32 v15, 0x1000, v15
	s_and_b32 s1, exec_lo, s1
	s_delay_alu instid0(SALU_CYCLE_1) | instskip(NEXT) | instid1(SALU_CYCLE_1)
	s_or_b32 s0, s1, s0
	s_and_not1_b32 exec_lo, exec_lo, s0
	s_cbranch_execnz .LBB147_7
; %bb.8:
	s_or_b32 exec_lo, exec_lo, s0
	s_waitcnt vmcnt(0) lgkmcnt(0)
	s_waitcnt_vscnt null, 0x0
	s_barrier
	buffer_gl0_inv
	s_load_b64 s[0:1], s[36:37], 0x0
	s_mov_b32 s41, 0
	s_waitcnt lgkmcnt(0)
	s_lshl_b64 s[0:1], s[0:1], 3
	s_delay_alu instid0(SALU_CYCLE_1) | instskip(SKIP_2) | instid1(SALU_CYCLE_1)
	s_add_u32 s2, s38, s0
	s_addc_u32 s30, s39, s1
	s_lshl_b64 s[0:1], s[40:41], 3
	s_add_u32 s0, s2, s0
	s_addc_u32 s1, s30, s1
	s_and_b32 vcc_lo, exec_lo, s33
	s_load_b64 s[30:31], s[0:1], 0x0
	s_cbranch_vccz .LBB147_36
; %bb.9:
	s_waitcnt lgkmcnt(0)
	s_lshl_b64 s[0:1], s[30:31], 3
	v_lshrrev_b32_e32 v9, 5, v0
	s_add_u32 s0, s12, s0
	s_addc_u32 s1, s13, s1
	s_mov_b32 s2, exec_lo
	s_load_b128 s[36:39], s[0:1], 0x0
	v_sub_co_u32 v9, s0, v9, s20
	s_delay_alu instid0(VALU_DEP_1) | instskip(SKIP_1) | instid1(VALU_DEP_2)
	v_sub_co_ci_u32_e64 v10, null, 0, 0, s0
	s_waitcnt lgkmcnt(0)
	v_add_co_u32 v9, vcc_lo, s36, v9
	s_delay_alu instid0(VALU_DEP_2)
	v_add_co_ci_u32_e32 v10, vcc_lo, s37, v10, vcc_lo
	s_sub_u32 s0, s38, s20
	s_subb_u32 s1, s39, 0
	s_delay_alu instid0(VALU_DEP_1) | instid1(SALU_CYCLE_1)
	v_cmpx_gt_i64_e64 s[0:1], v[9:10]
	s_cbranch_execz .LBB147_35
; %bb.10:
	v_and_b32_e32 v11, 31, v0
	s_mov_b32 s13, s21
	s_delay_alu instid0(VALU_DEP_1) | instskip(NEXT) | instid1(VALU_DEP_1)
	v_sub_co_u32 v30, s12, v11, s21
	v_sub_co_ci_u32_e64 v31, null, 0, 0, s12
	s_mov_b32 s12, 0
	s_branch .LBB147_12
.LBB147_11:                             ;   in Loop: Header=BB147_12 Depth=1
	s_or_b32 exec_lo, exec_lo, s21
	v_add_co_u32 v9, vcc_lo, v9, 16
	v_add_co_ci_u32_e32 v10, vcc_lo, 0, v10, vcc_lo
	s_delay_alu instid0(VALU_DEP_1) | instskip(SKIP_1) | instid1(SALU_CYCLE_1)
	v_cmp_le_i64_e32 vcc_lo, s[0:1], v[9:10]
	s_or_b32 s12, vcc_lo, s12
	s_and_not1_b32 exec_lo, exec_lo, s12
	s_cbranch_execz .LBB147_35
.LBB147_12:                             ; =>This Loop Header: Depth=1
                                        ;     Child Loop BB147_15 Depth 2
                                        ;       Child Loop BB147_17 Depth 3
                                        ;         Child Loop BB147_23 Depth 4
                                        ;         Child Loop BB147_25 Depth 4
	;; [unrolled: 1-line block ×4, first 2 shown]
	v_lshlrev_b64 v[11:12], 3, v[9:10]
	s_mov_b32 s21, exec_lo
	s_delay_alu instid0(VALU_DEP_1) | instskip(NEXT) | instid1(VALU_DEP_2)
	v_add_co_u32 v11, vcc_lo, s14, v11
	v_add_co_ci_u32_e32 v12, vcc_lo, s15, v12, vcc_lo
	global_load_b64 v[11:12], v[11:12], off
	s_waitcnt vmcnt(0)
	v_sub_co_u32 v11, vcc_lo, v11, s20
	v_subrev_co_ci_u32_e32 v12, vcc_lo, 0, v12, vcc_lo
	s_delay_alu instid0(VALU_DEP_1) | instskip(NEXT) | instid1(VALU_DEP_1)
	v_lshlrev_b64 v[11:12], 3, v[11:12]
	v_add_co_u32 v11, vcc_lo, s18, v11
	s_delay_alu instid0(VALU_DEP_2)
	v_add_co_ci_u32_e32 v12, vcc_lo, s19, v12, vcc_lo
	global_load_b128 v[13:16], v[11:12], off
	s_waitcnt vmcnt(0)
	v_sub_co_u32 v11, vcc_lo, v15, s13
	v_subrev_co_ci_u32_e32 v12, vcc_lo, 0, v16, vcc_lo
	v_add_co_u32 v13, vcc_lo, v13, v30
	v_add_co_ci_u32_e32 v14, vcc_lo, v14, v31, vcc_lo
	s_delay_alu instid0(VALU_DEP_1)
	v_cmpx_lt_i64_e64 v[13:14], v[11:12]
	s_cbranch_execz .LBB147_11
; %bb.13:                               ;   in Loop: Header=BB147_12 Depth=1
	v_lshlrev_b64 v[15:16], 4, v[9:10]
	s_mov_b32 s33, 0
	s_delay_alu instid0(VALU_DEP_1) | instskip(NEXT) | instid1(VALU_DEP_2)
	v_add_co_u32 v15, vcc_lo, s16, v15
	v_add_co_ci_u32_e32 v16, vcc_lo, s17, v16, vcc_lo
	global_load_b128 v[17:20], v[15:16], off
	s_waitcnt vmcnt(0)
	v_mul_f64 v[15:16], v[19:20], -v[7:8]
	v_mul_f64 v[19:20], v[5:6], v[19:20]
	s_delay_alu instid0(VALU_DEP_2) | instskip(NEXT) | instid1(VALU_DEP_2)
	v_fma_f64 v[15:16], v[5:6], v[17:18], v[15:16]
	v_fma_f64 v[17:18], v[7:8], v[17:18], v[19:20]
	s_branch .LBB147_15
.LBB147_14:                             ;   in Loop: Header=BB147_15 Depth=2
	s_or_b32 exec_lo, exec_lo, s36
	v_add_co_u32 v13, vcc_lo, v13, 32
	v_add_co_ci_u32_e32 v14, vcc_lo, 0, v14, vcc_lo
	s_delay_alu instid0(VALU_DEP_1) | instskip(SKIP_1) | instid1(SALU_CYCLE_1)
	v_cmp_ge_i64_e32 vcc_lo, v[13:14], v[11:12]
	s_or_b32 s33, vcc_lo, s33
	s_and_not1_b32 exec_lo, exec_lo, s33
	s_cbranch_execz .LBB147_11
.LBB147_15:                             ;   Parent Loop BB147_12 Depth=1
                                        ; =>  This Loop Header: Depth=2
                                        ;       Child Loop BB147_17 Depth 3
                                        ;         Child Loop BB147_23 Depth 4
                                        ;         Child Loop BB147_25 Depth 4
                                        ;         Child Loop BB147_31 Depth 4
                                        ;         Child Loop BB147_33 Depth 4
	v_lshlrev_b64 v[19:20], 4, v[13:14]
	s_mov_b32 s36, 0
	s_delay_alu instid0(VALU_DEP_1) | instskip(NEXT) | instid1(VALU_DEP_2)
	v_add_co_u32 v19, vcc_lo, s26, v19
	v_add_co_ci_u32_e32 v20, vcc_lo, s27, v20, vcc_lo
	global_load_b128 v[21:24], v[19:20], off
	v_lshlrev_b64 v[19:20], 3, v[13:14]
	s_delay_alu instid0(VALU_DEP_1) | instskip(NEXT) | instid1(VALU_DEP_2)
	v_add_co_u32 v19, vcc_lo, s24, v19
	v_add_co_ci_u32_e32 v20, vcc_lo, s25, v20, vcc_lo
	global_load_b64 v[25:26], v[19:20], off
	s_waitcnt vmcnt(1)
	v_mul_f64 v[19:20], v[23:24], -v[17:18]
	v_mul_f64 v[23:24], v[15:16], v[23:24]
	s_delay_alu instid0(VALU_DEP_2) | instskip(NEXT) | instid1(VALU_DEP_2)
	v_fma_f64 v[19:20], v[15:16], v[21:22], v[19:20]
	v_fma_f64 v[21:22], v[17:18], v[21:22], v[23:24]
	s_waitcnt vmcnt(0)
	v_sub_co_u32 v23, vcc_lo, v25, s13
	v_subrev_co_ci_u32_e32 v24, vcc_lo, 0, v26, vcc_lo
	s_delay_alu instid0(VALU_DEP_2) | instskip(NEXT) | instid1(VALU_DEP_1)
	v_mul_lo_u32 v25, 0x89, v23
	v_and_b32_e32 v32, 0x3ff, v25
	s_branch .LBB147_17
.LBB147_16:                             ;   in Loop: Header=BB147_17 Depth=3
	s_or_b32 exec_lo, exec_lo, s37
	s_xor_b32 s37, s38, -1
	s_delay_alu instid0(SALU_CYCLE_1) | instskip(NEXT) | instid1(SALU_CYCLE_1)
	s_and_b32 s37, exec_lo, s37
	s_or_b32 s36, s37, s36
	s_delay_alu instid0(SALU_CYCLE_1)
	s_and_not1_b32 exec_lo, exec_lo, s36
	s_cbranch_execz .LBB147_14
.LBB147_17:                             ;   Parent Loop BB147_12 Depth=1
                                        ;     Parent Loop BB147_15 Depth=2
                                        ; =>    This Loop Header: Depth=3
                                        ;         Child Loop BB147_23 Depth 4
                                        ;         Child Loop BB147_25 Depth 4
	;; [unrolled: 1-line block ×4, first 2 shown]
	s_delay_alu instid0(VALU_DEP_1)
	v_lshl_add_u32 v33, v32, 3, 0
	s_mov_b32 s37, exec_lo
                                        ; implicit-def: $sgpr38
	ds_load_b64 v[25:26], v33
	s_waitcnt lgkmcnt(0)
	v_cmpx_ne_u64_e64 v[25:26], v[23:24]
	s_xor_b32 s37, exec_lo, s37
	s_cbranch_execz .LBB147_29
; %bb.18:                               ;   in Loop: Header=BB147_17 Depth=3
	s_mov_b32 s39, exec_lo
                                        ; implicit-def: $sgpr38
	v_cmpx_ne_u64_e64 s[28:29], v[25:26]
	s_xor_b32 s39, exec_lo, s39
; %bb.19:                               ;   in Loop: Header=BB147_17 Depth=3
	v_add_nc_u32_e32 v25, 1, v32
	s_mov_b32 s38, -1
                                        ; implicit-def: $vgpr33
	s_delay_alu instid0(VALU_DEP_1)
	v_and_b32_e32 v32, 0x3ff, v25
; %bb.20:                               ;   in Loop: Header=BB147_17 Depth=3
	s_and_not1_saveexec_b32 s39, s39
	s_cbranch_execz .LBB147_28
; %bb.21:                               ;   in Loop: Header=BB147_17 Depth=3
	v_dual_mov_b32 v25, s28 :: v_dual_mov_b32 v26, s29
	s_mov_b32 s41, -1
	s_mov_b32 s40, exec_lo
	ds_cmpstore_rtn_b64 v[25:26], v33, v[23:24], v[25:26]
	s_waitcnt lgkmcnt(0)
	v_cmpx_eq_u64_e64 s[28:29], v[25:26]
	s_cbranch_execz .LBB147_27
; %bb.22:                               ;   in Loop: Header=BB147_17 Depth=3
	v_lshlrev_b32_e32 v25, 3, v32
	s_mov_b32 s41, 0
	s_delay_alu instid0(VALU_DEP_1)
	v_add_nc_u32_e32 v33, v33, v25
	ds_load_b64 v[25:26], v33 offset:8192
.LBB147_23:                             ;   Parent Loop BB147_12 Depth=1
                                        ;     Parent Loop BB147_15 Depth=2
                                        ;       Parent Loop BB147_17 Depth=3
                                        ; =>      This Inner Loop Header: Depth=4
	s_waitcnt lgkmcnt(0)
	v_add_f64 v[34:35], v[25:26], v[19:20]
	ds_cmpstore_rtn_b64 v[34:35], v33, v[34:35], v[25:26] offset:8192
	s_waitcnt lgkmcnt(0)
	v_cmp_eq_u64_e32 vcc_lo, v[34:35], v[25:26]
	v_dual_mov_b32 v25, v34 :: v_dual_mov_b32 v26, v35
	s_or_b32 s41, vcc_lo, s41
	s_delay_alu instid0(SALU_CYCLE_1)
	s_and_not1_b32 exec_lo, exec_lo, s41
	s_cbranch_execnz .LBB147_23
; %bb.24:                               ;   in Loop: Header=BB147_17 Depth=3
	s_or_b32 exec_lo, exec_lo, s41
	ds_load_b64 v[25:26], v33 offset:8200
	s_mov_b32 s41, 0
.LBB147_25:                             ;   Parent Loop BB147_12 Depth=1
                                        ;     Parent Loop BB147_15 Depth=2
                                        ;       Parent Loop BB147_17 Depth=3
                                        ; =>      This Inner Loop Header: Depth=4
	s_waitcnt lgkmcnt(0)
	v_add_f64 v[34:35], v[25:26], v[21:22]
	ds_cmpstore_rtn_b64 v[34:35], v33, v[34:35], v[25:26] offset:8200
	s_waitcnt lgkmcnt(0)
	v_cmp_eq_u64_e32 vcc_lo, v[34:35], v[25:26]
	v_dual_mov_b32 v25, v34 :: v_dual_mov_b32 v26, v35
	s_or_b32 s41, vcc_lo, s41
	s_delay_alu instid0(SALU_CYCLE_1)
	s_and_not1_b32 exec_lo, exec_lo, s41
	s_cbranch_execnz .LBB147_25
; %bb.26:                               ;   in Loop: Header=BB147_17 Depth=3
	s_or_b32 exec_lo, exec_lo, s41
	s_delay_alu instid0(SALU_CYCLE_1)
	s_xor_b32 s41, exec_lo, -1
.LBB147_27:                             ;   in Loop: Header=BB147_17 Depth=3
	s_or_b32 exec_lo, exec_lo, s40
	s_delay_alu instid0(SALU_CYCLE_1) | instskip(SKIP_1) | instid1(SALU_CYCLE_1)
	s_and_not1_b32 s38, s38, exec_lo
	s_and_b32 s40, s41, exec_lo
	s_or_b32 s38, s38, s40
.LBB147_28:                             ;   in Loop: Header=BB147_17 Depth=3
	s_or_b32 exec_lo, exec_lo, s39
	s_delay_alu instid0(SALU_CYCLE_1)
	s_and_b32 s38, s38, exec_lo
                                        ; implicit-def: $vgpr33
.LBB147_29:                             ;   in Loop: Header=BB147_17 Depth=3
	s_and_not1_saveexec_b32 s37, s37
	s_cbranch_execz .LBB147_16
; %bb.30:                               ;   in Loop: Header=BB147_17 Depth=3
	v_lshlrev_b32_e32 v25, 3, v32
	s_mov_b32 s39, 0
	s_delay_alu instid0(VALU_DEP_1)
	v_add_nc_u32_e32 v33, v33, v25
	ds_load_b64 v[25:26], v33 offset:8192
.LBB147_31:                             ;   Parent Loop BB147_12 Depth=1
                                        ;     Parent Loop BB147_15 Depth=2
                                        ;       Parent Loop BB147_17 Depth=3
                                        ; =>      This Inner Loop Header: Depth=4
	s_waitcnt lgkmcnt(0)
	v_add_f64 v[34:35], v[25:26], v[19:20]
	ds_cmpstore_rtn_b64 v[34:35], v33, v[34:35], v[25:26] offset:8192
	s_waitcnt lgkmcnt(0)
	v_cmp_eq_u64_e32 vcc_lo, v[34:35], v[25:26]
	v_dual_mov_b32 v25, v34 :: v_dual_mov_b32 v26, v35
	s_or_b32 s39, vcc_lo, s39
	s_delay_alu instid0(SALU_CYCLE_1)
	s_and_not1_b32 exec_lo, exec_lo, s39
	s_cbranch_execnz .LBB147_31
; %bb.32:                               ;   in Loop: Header=BB147_17 Depth=3
	s_or_b32 exec_lo, exec_lo, s39
	ds_load_b64 v[25:26], v33 offset:8200
	s_mov_b32 s39, 0
.LBB147_33:                             ;   Parent Loop BB147_12 Depth=1
                                        ;     Parent Loop BB147_15 Depth=2
                                        ;       Parent Loop BB147_17 Depth=3
                                        ; =>      This Inner Loop Header: Depth=4
	s_waitcnt lgkmcnt(0)
	v_add_f64 v[34:35], v[25:26], v[21:22]
	ds_cmpstore_rtn_b64 v[34:35], v33, v[34:35], v[25:26] offset:8200
	s_waitcnt lgkmcnt(0)
	v_cmp_eq_u64_e32 vcc_lo, v[34:35], v[25:26]
	v_dual_mov_b32 v25, v34 :: v_dual_mov_b32 v26, v35
	s_or_b32 s39, vcc_lo, s39
	s_delay_alu instid0(SALU_CYCLE_1)
	s_and_not1_b32 exec_lo, exec_lo, s39
	s_cbranch_execnz .LBB147_33
; %bb.34:                               ;   in Loop: Header=BB147_17 Depth=3
	s_or_b32 exec_lo, exec_lo, s39
	s_delay_alu instid0(SALU_CYCLE_1)
	s_and_not1_b32 s38, s38, exec_lo
	s_branch .LBB147_16
.LBB147_35:
	s_or_b32 exec_lo, exec_lo, s2
.LBB147_36:
	s_delay_alu instid0(SALU_CYCLE_1)
	s_and_not1_b32 vcc_lo, exec_lo, s3
	s_cbranch_vccnz .LBB147_61
; %bb.37:
	s_waitcnt lgkmcnt(0)
	s_lshl_b64 s[0:1], s[30:31], 3
	s_delay_alu instid0(SALU_CYCLE_1)
	s_add_u32 s0, s4, s0
	s_addc_u32 s1, s5, s1
	v_sub_co_u32 v5, s4, v0, s23
	s_load_b128 s[0:3], s[0:1], 0x0
	v_sub_co_ci_u32_e64 v6, null, 0, 0, s4
	s_waitcnt lgkmcnt(0)
	s_delay_alu instid0(VALU_DEP_2) | instskip(NEXT) | instid1(VALU_DEP_2)
	v_add_co_u32 v5, vcc_lo, s0, v5
	v_add_co_ci_u32_e32 v6, vcc_lo, s1, v6, vcc_lo
	s_sub_u32 s0, s2, s23
	s_subb_u32 s1, s3, 0
	s_mov_b32 s2, 0
	s_mov_b32 s3, exec_lo
	v_cmpx_gt_i64_e64 s[0:1], v[5:6]
	s_cbranch_execz .LBB147_60
; %bb.38:
	s_mov_b32 s4, s23
	s_branch .LBB147_40
.LBB147_39:                             ;   in Loop: Header=BB147_40 Depth=1
	s_or_b32 exec_lo, exec_lo, s5
	v_add_co_u32 v5, vcc_lo, 0x200, v5
	v_add_co_ci_u32_e32 v6, vcc_lo, 0, v6, vcc_lo
	s_delay_alu instid0(VALU_DEP_1) | instskip(SKIP_1) | instid1(SALU_CYCLE_1)
	v_cmp_le_i64_e32 vcc_lo, s[0:1], v[5:6]
	s_or_b32 s2, vcc_lo, s2
	s_and_not1_b32 exec_lo, exec_lo, s2
	s_cbranch_execz .LBB147_60
.LBB147_40:                             ; =>This Loop Header: Depth=1
                                        ;     Child Loop BB147_42 Depth 2
                                        ;       Child Loop BB147_48 Depth 3
                                        ;       Child Loop BB147_50 Depth 3
	;; [unrolled: 1-line block ×4, first 2 shown]
	v_lshlrev_b64 v[7:8], 4, v[5:6]
	s_mov_b32 s5, 0
	s_delay_alu instid0(VALU_DEP_1) | instskip(NEXT) | instid1(VALU_DEP_2)
	v_add_co_u32 v7, vcc_lo, s8, v7
	v_add_co_ci_u32_e32 v8, vcc_lo, s9, v8, vcc_lo
	global_load_b128 v[9:12], v[7:8], off
	v_lshlrev_b64 v[7:8], 3, v[5:6]
	s_delay_alu instid0(VALU_DEP_1) | instskip(NEXT) | instid1(VALU_DEP_2)
	v_add_co_u32 v7, vcc_lo, s6, v7
	v_add_co_ci_u32_e32 v8, vcc_lo, s7, v8, vcc_lo
	global_load_b64 v[13:14], v[7:8], off
	s_waitcnt vmcnt(1)
	v_mul_f64 v[7:8], v[11:12], -v[1:2]
	v_mul_f64 v[11:12], v[3:4], v[11:12]
	s_delay_alu instid0(VALU_DEP_2) | instskip(NEXT) | instid1(VALU_DEP_2)
	v_fma_f64 v[7:8], v[3:4], v[9:10], v[7:8]
	v_fma_f64 v[9:10], v[1:2], v[9:10], v[11:12]
	s_waitcnt vmcnt(0)
	v_sub_co_u32 v11, vcc_lo, v13, s4
	v_subrev_co_ci_u32_e32 v12, vcc_lo, 0, v14, vcc_lo
	s_delay_alu instid0(VALU_DEP_2) | instskip(NEXT) | instid1(VALU_DEP_1)
	v_mul_lo_u32 v13, 0x89, v11
	v_and_b32_e32 v15, 0x3ff, v13
	s_branch .LBB147_42
.LBB147_41:                             ;   in Loop: Header=BB147_42 Depth=2
	s_or_b32 exec_lo, exec_lo, s12
	s_xor_b32 s12, s13, -1
	s_delay_alu instid0(SALU_CYCLE_1) | instskip(NEXT) | instid1(SALU_CYCLE_1)
	s_and_b32 s12, exec_lo, s12
	s_or_b32 s5, s12, s5
	s_delay_alu instid0(SALU_CYCLE_1)
	s_and_not1_b32 exec_lo, exec_lo, s5
	s_cbranch_execz .LBB147_39
.LBB147_42:                             ;   Parent Loop BB147_40 Depth=1
                                        ; =>  This Loop Header: Depth=2
                                        ;       Child Loop BB147_48 Depth 3
                                        ;       Child Loop BB147_50 Depth 3
	;; [unrolled: 1-line block ×4, first 2 shown]
	s_delay_alu instid0(VALU_DEP_1)
	v_lshl_add_u32 v16, v15, 3, 0
	s_mov_b32 s12, exec_lo
                                        ; implicit-def: $sgpr13
	ds_load_b64 v[13:14], v16
	s_waitcnt lgkmcnt(0)
	v_cmpx_ne_u64_e64 v[13:14], v[11:12]
	s_xor_b32 s12, exec_lo, s12
	s_cbranch_execz .LBB147_54
; %bb.43:                               ;   in Loop: Header=BB147_42 Depth=2
	s_mov_b32 s14, exec_lo
                                        ; implicit-def: $sgpr13
	v_cmpx_ne_u64_e64 s[28:29], v[13:14]
	s_xor_b32 s14, exec_lo, s14
; %bb.44:                               ;   in Loop: Header=BB147_42 Depth=2
	v_add_nc_u32_e32 v13, 1, v15
	s_mov_b32 s13, -1
                                        ; implicit-def: $vgpr16
	s_delay_alu instid0(VALU_DEP_1)
	v_and_b32_e32 v15, 0x3ff, v13
; %bb.45:                               ;   in Loop: Header=BB147_42 Depth=2
	s_and_not1_saveexec_b32 s14, s14
	s_cbranch_execz .LBB147_53
; %bb.46:                               ;   in Loop: Header=BB147_42 Depth=2
	v_dual_mov_b32 v13, s28 :: v_dual_mov_b32 v14, s29
	s_mov_b32 s16, -1
	s_mov_b32 s15, exec_lo
	ds_cmpstore_rtn_b64 v[13:14], v16, v[11:12], v[13:14]
	s_waitcnt lgkmcnt(0)
	v_cmpx_eq_u64_e64 s[28:29], v[13:14]
	s_cbranch_execz .LBB147_52
; %bb.47:                               ;   in Loop: Header=BB147_42 Depth=2
	v_lshlrev_b32_e32 v13, 3, v15
	s_mov_b32 s16, 0
	s_delay_alu instid0(VALU_DEP_1)
	v_add_nc_u32_e32 v16, v16, v13
	ds_load_b64 v[13:14], v16 offset:8192
.LBB147_48:                             ;   Parent Loop BB147_40 Depth=1
                                        ;     Parent Loop BB147_42 Depth=2
                                        ; =>    This Inner Loop Header: Depth=3
	s_waitcnt lgkmcnt(0)
	v_add_f64 v[17:18], v[13:14], v[7:8]
	ds_cmpstore_rtn_b64 v[17:18], v16, v[17:18], v[13:14] offset:8192
	s_waitcnt lgkmcnt(0)
	v_cmp_eq_u64_e32 vcc_lo, v[17:18], v[13:14]
	v_dual_mov_b32 v13, v17 :: v_dual_mov_b32 v14, v18
	s_or_b32 s16, vcc_lo, s16
	s_delay_alu instid0(SALU_CYCLE_1)
	s_and_not1_b32 exec_lo, exec_lo, s16
	s_cbranch_execnz .LBB147_48
; %bb.49:                               ;   in Loop: Header=BB147_42 Depth=2
	s_or_b32 exec_lo, exec_lo, s16
	ds_load_b64 v[13:14], v16 offset:8200
	s_mov_b32 s16, 0
.LBB147_50:                             ;   Parent Loop BB147_40 Depth=1
                                        ;     Parent Loop BB147_42 Depth=2
                                        ; =>    This Inner Loop Header: Depth=3
	s_waitcnt lgkmcnt(0)
	v_add_f64 v[17:18], v[13:14], v[9:10]
	ds_cmpstore_rtn_b64 v[17:18], v16, v[17:18], v[13:14] offset:8200
	s_waitcnt lgkmcnt(0)
	v_cmp_eq_u64_e32 vcc_lo, v[17:18], v[13:14]
	v_dual_mov_b32 v13, v17 :: v_dual_mov_b32 v14, v18
	s_or_b32 s16, vcc_lo, s16
	s_delay_alu instid0(SALU_CYCLE_1)
	s_and_not1_b32 exec_lo, exec_lo, s16
	s_cbranch_execnz .LBB147_50
; %bb.51:                               ;   in Loop: Header=BB147_42 Depth=2
	s_or_b32 exec_lo, exec_lo, s16
	s_delay_alu instid0(SALU_CYCLE_1)
	s_xor_b32 s16, exec_lo, -1
.LBB147_52:                             ;   in Loop: Header=BB147_42 Depth=2
	s_or_b32 exec_lo, exec_lo, s15
	s_delay_alu instid0(SALU_CYCLE_1) | instskip(SKIP_1) | instid1(SALU_CYCLE_1)
	s_and_not1_b32 s13, s13, exec_lo
	s_and_b32 s15, s16, exec_lo
	s_or_b32 s13, s13, s15
.LBB147_53:                             ;   in Loop: Header=BB147_42 Depth=2
	s_or_b32 exec_lo, exec_lo, s14
	s_delay_alu instid0(SALU_CYCLE_1)
	s_and_b32 s13, s13, exec_lo
                                        ; implicit-def: $vgpr16
.LBB147_54:                             ;   in Loop: Header=BB147_42 Depth=2
	s_and_not1_saveexec_b32 s12, s12
	s_cbranch_execz .LBB147_41
; %bb.55:                               ;   in Loop: Header=BB147_42 Depth=2
	v_lshlrev_b32_e32 v13, 3, v15
	s_mov_b32 s14, 0
	s_delay_alu instid0(VALU_DEP_1)
	v_add_nc_u32_e32 v16, v16, v13
	ds_load_b64 v[13:14], v16 offset:8192
.LBB147_56:                             ;   Parent Loop BB147_40 Depth=1
                                        ;     Parent Loop BB147_42 Depth=2
                                        ; =>    This Inner Loop Header: Depth=3
	s_waitcnt lgkmcnt(0)
	v_add_f64 v[17:18], v[13:14], v[7:8]
	ds_cmpstore_rtn_b64 v[17:18], v16, v[17:18], v[13:14] offset:8192
	s_waitcnt lgkmcnt(0)
	v_cmp_eq_u64_e32 vcc_lo, v[17:18], v[13:14]
	v_dual_mov_b32 v13, v17 :: v_dual_mov_b32 v14, v18
	s_or_b32 s14, vcc_lo, s14
	s_delay_alu instid0(SALU_CYCLE_1)
	s_and_not1_b32 exec_lo, exec_lo, s14
	s_cbranch_execnz .LBB147_56
; %bb.57:                               ;   in Loop: Header=BB147_42 Depth=2
	s_or_b32 exec_lo, exec_lo, s14
	ds_load_b64 v[13:14], v16 offset:8200
	s_mov_b32 s14, 0
.LBB147_58:                             ;   Parent Loop BB147_40 Depth=1
                                        ;     Parent Loop BB147_42 Depth=2
                                        ; =>    This Inner Loop Header: Depth=3
	s_waitcnt lgkmcnt(0)
	v_add_f64 v[17:18], v[13:14], v[9:10]
	ds_cmpstore_rtn_b64 v[17:18], v16, v[17:18], v[13:14] offset:8200
	s_waitcnt lgkmcnt(0)
	v_cmp_eq_u64_e32 vcc_lo, v[17:18], v[13:14]
	v_dual_mov_b32 v13, v17 :: v_dual_mov_b32 v14, v18
	s_or_b32 s14, vcc_lo, s14
	s_delay_alu instid0(SALU_CYCLE_1)
	s_and_not1_b32 exec_lo, exec_lo, s14
	s_cbranch_execnz .LBB147_58
; %bb.59:                               ;   in Loop: Header=BB147_42 Depth=2
	s_or_b32 exec_lo, exec_lo, s14
	s_delay_alu instid0(SALU_CYCLE_1)
	s_and_not1_b32 s13, s13, exec_lo
	s_branch .LBB147_41
.LBB147_60:
	s_or_b32 exec_lo, exec_lo, s3
.LBB147_61:
	v_mbcnt_lo_u32_b32 v1, -1, 0
	v_lshrrev_b32_e32 v2, 3, v0
	v_cmp_eq_u32_e32 vcc_lo, 0x1ff, v0
	v_cmp_lt_u32_e64 s0, 63, v0
	v_cmp_lt_u32_e64 s1, 0x7f, v0
	v_xor_b32_e32 v1, 63, v1
	v_and_b32_e32 v3, 56, v2
	v_cmp_lt_u32_e64 s2, 0xbf, v0
	v_cmp_lt_u32_e64 s3, 0xff, v0
	;; [unrolled: 1-line block ×3, first 2 shown]
	v_lshrrev_b64 v[1:2], v1, -1
	v_add_nc_u32_e32 v10, 0, v3
	v_dual_mov_b32 v2, 0 :: v_dual_mov_b32 v5, 0
	v_cmp_lt_u32_e64 s5, 0x17f, v0
	v_cmp_lt_u32_e64 s6, 0x1bf, v0
	v_mov_b32_e32 v3, 0
	s_mov_b32 s8, 0
	s_waitcnt lgkmcnt(0)
	s_barrier
	buffer_gl0_inv
	s_branch .LBB147_63
.LBB147_62:                             ;   in Loop: Header=BB147_63 Depth=1
	s_or_b32 exec_lo, exec_lo, s7
	s_waitcnt lgkmcnt(0)
	s_barrier
	buffer_gl0_inv
	ds_load_b64 v[6:7], v5 offset:24632
	v_add_co_u32 v27, s7, 0x200, v27
	s_delay_alu instid0(VALU_DEP_1) | instskip(SKIP_4) | instid1(VALU_DEP_1)
	s_xor_b32 s9, s7, -1
	v_add_nc_u32_e32 v29, 0x2000, v29
	v_add_nc_u32_e32 v28, 0x1000, v28
	s_waitcnt lgkmcnt(0)
	v_add_co_u32 v2, s7, v6, v2
	v_add_co_ci_u32_e64 v3, s7, v7, v3, s7
	s_and_b32 s7, exec_lo, s9
	s_delay_alu instid0(SALU_CYCLE_1) | instskip(NEXT) | instid1(SALU_CYCLE_1)
	s_or_b32 s8, s7, s8
	s_and_not1_b32 exec_lo, exec_lo, s8
	s_cbranch_execz .LBB147_81
.LBB147_63:                             ; =>This Inner Loop Header: Depth=1
	ds_load_b64 v[6:7], v28
	ds_load_2addr_b64 v[11:14], v29 offset1:1
	s_waitcnt lgkmcnt(1)
	v_cmp_gt_i64_e64 s7, s[28:29], v[6:7]
	s_waitcnt lgkmcnt(0)
	scratch_store_b128 off, v[11:14], off
	s_waitcnt_vscnt null, 0x0
	s_barrier
	buffer_gl0_inv
	v_and_b32_e32 v8, s7, v1
	s_bcnt1_i32_b32 s9, s7
	s_delay_alu instid0(SALU_CYCLE_1) | instskip(NEXT) | instid1(VALU_DEP_2)
	v_mov_b32_e32 v4, s9
	v_bcnt_u32_b32 v8, v8, 0
	ds_store_b64 v10, v[4:5] offset:24576
	s_waitcnt lgkmcnt(0)
	s_barrier
	buffer_gl0_inv
	s_and_saveexec_b32 s9, s0
	s_cbranch_execnz .LBB147_72
; %bb.64:                               ;   in Loop: Header=BB147_63 Depth=1
	s_or_b32 exec_lo, exec_lo, s9
	s_and_saveexec_b32 s9, s1
	s_cbranch_execnz .LBB147_73
.LBB147_65:                             ;   in Loop: Header=BB147_63 Depth=1
	s_or_b32 exec_lo, exec_lo, s9
	s_and_saveexec_b32 s9, s2
	s_cbranch_execnz .LBB147_74
.LBB147_66:                             ;   in Loop: Header=BB147_63 Depth=1
	s_or_b32 exec_lo, exec_lo, s9
	s_and_saveexec_b32 s9, s3
	s_cbranch_execnz .LBB147_75
.LBB147_67:                             ;   in Loop: Header=BB147_63 Depth=1
	s_or_b32 exec_lo, exec_lo, s9
	s_and_saveexec_b32 s9, s4
	s_cbranch_execnz .LBB147_76
.LBB147_68:                             ;   in Loop: Header=BB147_63 Depth=1
	s_or_b32 exec_lo, exec_lo, s9
	s_and_saveexec_b32 s9, s5
	s_cbranch_execnz .LBB147_77
.LBB147_69:                             ;   in Loop: Header=BB147_63 Depth=1
	s_or_b32 exec_lo, exec_lo, s9
	s_and_saveexec_b32 s9, s6
	s_cbranch_execnz .LBB147_78
.LBB147_70:                             ;   in Loop: Header=BB147_63 Depth=1
	s_or_b32 exec_lo, exec_lo, s9
	v_ashrrev_i32_e32 v9, 31, v8
	s_and_saveexec_b32 s9, s7
	s_cbranch_execnz .LBB147_79
.LBB147_71:                             ;   in Loop: Header=BB147_63 Depth=1
	s_or_b32 exec_lo, exec_lo, s9
	s_and_saveexec_b32 s7, vcc_lo
	s_cbranch_execz .LBB147_62
	s_branch .LBB147_80
.LBB147_72:                             ;   in Loop: Header=BB147_63 Depth=1
	ds_load_b32 v4, v5 offset:24576
	s_waitcnt lgkmcnt(0)
	v_add_nc_u32_e32 v8, v4, v8
	s_or_b32 exec_lo, exec_lo, s9
	s_and_saveexec_b32 s9, s1
	s_cbranch_execz .LBB147_65
.LBB147_73:                             ;   in Loop: Header=BB147_63 Depth=1
	ds_load_b32 v4, v5 offset:24584
	s_waitcnt lgkmcnt(0)
	v_add_nc_u32_e32 v8, v8, v4
	s_or_b32 exec_lo, exec_lo, s9
	s_and_saveexec_b32 s9, s2
	s_cbranch_execz .LBB147_66
.LBB147_74:                             ;   in Loop: Header=BB147_63 Depth=1
	ds_load_b32 v4, v5 offset:24592
	s_waitcnt lgkmcnt(0)
	v_add_nc_u32_e32 v8, v8, v4
	s_or_b32 exec_lo, exec_lo, s9
	s_and_saveexec_b32 s9, s3
	s_cbranch_execz .LBB147_67
.LBB147_75:                             ;   in Loop: Header=BB147_63 Depth=1
	ds_load_b32 v4, v5 offset:24600
	s_waitcnt lgkmcnt(0)
	v_add_nc_u32_e32 v8, v8, v4
	s_or_b32 exec_lo, exec_lo, s9
	s_and_saveexec_b32 s9, s4
	s_cbranch_execz .LBB147_68
.LBB147_76:                             ;   in Loop: Header=BB147_63 Depth=1
	ds_load_b32 v4, v5 offset:24608
	s_waitcnt lgkmcnt(0)
	v_add_nc_u32_e32 v8, v8, v4
	s_or_b32 exec_lo, exec_lo, s9
	s_and_saveexec_b32 s9, s5
	s_cbranch_execz .LBB147_69
.LBB147_77:                             ;   in Loop: Header=BB147_63 Depth=1
	ds_load_b32 v4, v5 offset:24616
	s_waitcnt lgkmcnt(0)
	v_add_nc_u32_e32 v8, v8, v4
	s_or_b32 exec_lo, exec_lo, s9
	s_and_saveexec_b32 s9, s6
	s_cbranch_execz .LBB147_70
.LBB147_78:                             ;   in Loop: Header=BB147_63 Depth=1
	ds_load_b32 v4, v5 offset:24624
	s_waitcnt lgkmcnt(0)
	v_add_nc_u32_e32 v8, v8, v4
	s_or_b32 exec_lo, exec_lo, s9
	s_delay_alu instid0(VALU_DEP_1)
	v_ashrrev_i32_e32 v9, 31, v8
	s_and_saveexec_b32 s9, s7
	s_cbranch_execz .LBB147_71
.LBB147_79:                             ;   in Loop: Header=BB147_63 Depth=1
	scratch_load_b128 v[11:14], off, off
	v_add3_u32 v4, v2, -1, v8
	s_delay_alu instid0(VALU_DEP_1) | instskip(SKIP_1) | instid1(VALU_DEP_2)
	v_lshlrev_b32_e32 v15, 4, v4
	v_lshl_add_u32 v4, v4, 3, 0
	v_add3_u32 v15, 0, v15, 0x2000
	ds_store_b64 v4, v[6:7]
	s_waitcnt vmcnt(0)
	ds_store_2addr_b64 v15, v[11:12], v[13:14] offset1:1
	s_or_b32 exec_lo, exec_lo, s9
	s_and_saveexec_b32 s7, vcc_lo
	s_cbranch_execz .LBB147_62
.LBB147_80:                             ;   in Loop: Header=BB147_63 Depth=1
	ds_store_b64 v5, v[8:9] offset:24632
	s_branch .LBB147_62
.LBB147_81:
	s_or_b32 exec_lo, exec_lo, s8
	s_lshl_b64 s[0:1], s[30:31], 3
	v_mov_b32_e32 v1, 0
	s_add_u32 s0, s10, s0
	s_addc_u32 s1, s11, s1
	s_mov_b32 s6, exec_lo
	s_load_b128 s[0:3], s[0:1], 0x0
	s_waitcnt lgkmcnt(0)
	s_sub_u32 s4, s2, s0
	s_subb_u32 s5, s3, s1
	s_delay_alu instid0(SALU_CYCLE_1)
	v_cmpx_gt_i64_e64 s[4:5], v[0:1]
	s_cbranch_execz .LBB147_91
; %bb.82:
	s_sub_u32 s8, s0, s22
	s_subb_u32 s9, s1, 0
	s_and_b32 s6, s4, 7
	s_sub_u32 s0, s0, s2
	s_subb_u32 s1, s1, s3
	s_mov_b32 s7, 0
	v_cmp_lt_u64_e64 s12, s[0:1], -7
	s_and_b32 s2, s4, -8
	s_cmp_lg_u64 s[6:7], 0
	s_mov_b32 s3, s5
	s_cselect_b32 s13, -1, 0
	s_mov_b32 s14, s7
	s_branch .LBB147_84
.LBB147_83:                             ;   in Loop: Header=BB147_84 Depth=1
	s_waitcnt lgkmcnt(0)
	v_lshlrev_b32_e32 v2, 3, v0
	v_add_co_u32 v0, vcc_lo, 0x200, v0
	v_add_co_ci_u32_e32 v1, vcc_lo, 0, v1, vcc_lo
	s_delay_alu instid0(VALU_DEP_3) | instskip(NEXT) | instid1(VALU_DEP_2)
	v_add3_u32 v2, v6, v2, 0x2000
	v_cmp_le_i64_e32 vcc_lo, s[4:5], v[0:1]
	ds_load_2addr_b64 v[6:9], v2 offset1:1
	v_lshlrev_b64 v[2:3], 4, v[4:5]
	s_or_b32 s14, vcc_lo, s14
	s_delay_alu instid0(VALU_DEP_1) | instskip(NEXT) | instid1(VALU_DEP_1)
	v_add_co_u32 v2, s0, s34, v2
	v_add_co_ci_u32_e64 v3, s0, s35, v3, s0
	s_waitcnt lgkmcnt(0)
	global_store_b128 v[2:3], v[6:9], off
	s_and_not1_b32 exec_lo, exec_lo, s14
	s_cbranch_execz .LBB147_91
.LBB147_84:                             ; =>This Loop Header: Depth=1
                                        ;     Child Loop BB147_86 Depth 2
                                        ;     Child Loop BB147_90 Depth 2
	v_lshl_add_u32 v6, v0, 3, 0
	v_dual_mov_b32 v4, s8 :: v_dual_mov_b32 v5, s9
	s_and_not1_b32 vcc_lo, exec_lo, s12
	s_mov_b64 s[0:1], 0
	ds_load_b64 v[2:3], v6
	s_cbranch_vccnz .LBB147_88
; %bb.85:                               ;   in Loop: Header=BB147_84 Depth=1
	v_dual_mov_b32 v4, s8 :: v_dual_mov_b32 v5, s9
	s_mov_b64 s[10:11], 0
	s_mov_b32 s1, 0
.LBB147_86:                             ;   Parent Loop BB147_84 Depth=1
                                        ; =>  This Inner Loop Header: Depth=2
	s_delay_alu instid0(SALU_CYCLE_1)
	v_mov_b32_e32 v19, s1
	s_add_u32 s10, s10, 8
	s_addc_u32 s11, s11, 0
	s_add_i32 s1, s1, 64
	s_cmp_eq_u64 s[2:3], s[10:11]
	ds_load_2addr_b64 v[7:10], v19 offset1:1
	ds_load_2addr_b64 v[11:14], v19 offset0:2 offset1:3
	ds_load_2addr_b64 v[15:18], v19 offset0:4 offset1:5
	;; [unrolled: 1-line block ×3, first 2 shown]
	s_waitcnt lgkmcnt(3)
	v_cmp_gt_i64_e32 vcc_lo, v[2:3], v[7:8]
	v_cndmask_b32_e64 v7, 0, 1, vcc_lo
	v_cmp_gt_i64_e32 vcc_lo, v[2:3], v[9:10]
	v_cndmask_b32_e64 v8, 0, 1, vcc_lo
	s_waitcnt lgkmcnt(2)
	v_cmp_gt_i64_e32 vcc_lo, v[2:3], v[11:12]
	v_cndmask_b32_e64 v9, 0, 1, vcc_lo
	v_cmp_gt_i64_e32 vcc_lo, v[2:3], v[13:14]
	v_cndmask_b32_e64 v10, 0, 1, vcc_lo
	s_waitcnt lgkmcnt(1)
	v_cmp_gt_i64_e32 vcc_lo, v[2:3], v[15:16]
	v_cndmask_b32_e64 v11, 0, 1, vcc_lo
	v_add_co_u32 v4, vcc_lo, v4, v7
	v_add_co_ci_u32_e32 v5, vcc_lo, 0, v5, vcc_lo
	v_cmp_gt_i64_e32 vcc_lo, v[2:3], v[17:18]
	s_delay_alu instid0(VALU_DEP_3) | instskip(NEXT) | instid1(VALU_DEP_1)
	v_add_co_u32 v4, s0, v4, v8
	v_add_co_ci_u32_e64 v5, s0, 0, v5, s0
	v_cndmask_b32_e64 v7, 0, 1, vcc_lo
	s_delay_alu instid0(VALU_DEP_3) | instskip(NEXT) | instid1(VALU_DEP_3)
	v_add_co_u32 v4, vcc_lo, v4, v9
	v_add_co_ci_u32_e32 v5, vcc_lo, 0, v5, vcc_lo
	s_waitcnt lgkmcnt(0)
	v_cmp_gt_i64_e32 vcc_lo, v[2:3], v[19:20]
	s_delay_alu instid0(VALU_DEP_3) | instskip(NEXT) | instid1(VALU_DEP_1)
	v_add_co_u32 v4, s0, v4, v10
	v_add_co_ci_u32_e64 v5, s0, 0, v5, s0
	v_cndmask_b32_e64 v8, 0, 1, vcc_lo
	s_delay_alu instid0(VALU_DEP_3) | instskip(NEXT) | instid1(VALU_DEP_3)
	v_add_co_u32 v4, vcc_lo, v4, v11
	v_add_co_ci_u32_e32 v5, vcc_lo, 0, v5, vcc_lo
	v_cmp_gt_i64_e32 vcc_lo, v[2:3], v[21:22]
	s_delay_alu instid0(VALU_DEP_3) | instskip(NEXT) | instid1(VALU_DEP_1)
	v_add_co_u32 v4, s0, v4, v7
	v_add_co_ci_u32_e64 v5, s0, 0, v5, s0
	v_cndmask_b32_e64 v7, 0, 1, vcc_lo
	s_delay_alu instid0(VALU_DEP_3) | instskip(NEXT) | instid1(VALU_DEP_3)
	v_add_co_u32 v4, vcc_lo, v4, v8
	v_add_co_ci_u32_e32 v5, vcc_lo, 0, v5, vcc_lo
	s_delay_alu instid0(VALU_DEP_2) | instskip(NEXT) | instid1(VALU_DEP_2)
	v_add_co_u32 v4, vcc_lo, v4, v7
	v_add_co_ci_u32_e32 v5, vcc_lo, 0, v5, vcc_lo
	s_cbranch_scc0 .LBB147_86
; %bb.87:                               ;   in Loop: Header=BB147_84 Depth=1
	s_mov_b64 s[0:1], s[2:3]
.LBB147_88:                             ;   in Loop: Header=BB147_84 Depth=1
	s_and_not1_b32 vcc_lo, exec_lo, s13
	s_cbranch_vccnz .LBB147_83
; %bb.89:                               ;   in Loop: Header=BB147_84 Depth=1
	s_lshl_b32 s0, s0, 3
	s_delay_alu instid0(SALU_CYCLE_1)
	s_add_i32 s10, s0, 0
	s_mov_b64 s[0:1], s[6:7]
.LBB147_90:                             ;   Parent Loop BB147_84 Depth=1
                                        ; =>  This Inner Loop Header: Depth=2
	v_mov_b32_e32 v7, s10
	s_add_i32 s10, s10, 8
	s_add_u32 s0, s0, -1
	s_addc_u32 s1, s1, -1
	s_delay_alu instid0(SALU_CYCLE_1) | instskip(SKIP_4) | instid1(VALU_DEP_1)
	s_cmp_lg_u64 s[0:1], 0
	ds_load_b64 v[7:8], v7
	s_waitcnt lgkmcnt(0)
	v_cmp_gt_i64_e32 vcc_lo, v[2:3], v[7:8]
	v_cndmask_b32_e64 v7, 0, 1, vcc_lo
	v_add_co_u32 v4, vcc_lo, v4, v7
	v_add_co_ci_u32_e32 v5, vcc_lo, 0, v5, vcc_lo
	s_cbranch_scc1 .LBB147_90
	s_branch .LBB147_83
.LBB147_91:
	s_nop 0
	s_sendmsg sendmsg(MSG_DEALLOC_VGPRS)
	s_endpgm
	.section	.rodata,"a",@progbits
	.p2align	6, 0x0
	.amdhsa_kernel _ZN9rocsparseL41csrgemm_numeric_fill_block_per_row_kernelILj512ELj32ELj1024ELj137ELj64Ell21rocsparse_complex_numIdEEEvT5_PKS3_S5_NS_24const_host_device_scalarIT6_EEPKT4_S5_PKS7_SB_S5_SD_S8_SB_S5_SD_SB_S5_PS7_21rocsparse_index_base_SF_SF_SF_bbb
		.amdhsa_group_segment_fixed_size 0
		.amdhsa_private_segment_fixed_size 40
		.amdhsa_kernarg_size 172
		.amdhsa_user_sgpr_count 15
		.amdhsa_user_sgpr_dispatch_ptr 0
		.amdhsa_user_sgpr_queue_ptr 0
		.amdhsa_user_sgpr_kernarg_segment_ptr 1
		.amdhsa_user_sgpr_dispatch_id 0
		.amdhsa_user_sgpr_private_segment_size 0
		.amdhsa_wavefront_size32 1
		.amdhsa_uses_dynamic_stack 0
		.amdhsa_enable_private_segment 1
		.amdhsa_system_sgpr_workgroup_id_x 1
		.amdhsa_system_sgpr_workgroup_id_y 0
		.amdhsa_system_sgpr_workgroup_id_z 0
		.amdhsa_system_sgpr_workgroup_info 0
		.amdhsa_system_vgpr_workitem_id 0
		.amdhsa_next_free_vgpr 36
		.amdhsa_next_free_sgpr 44
		.amdhsa_reserve_vcc 1
		.amdhsa_float_round_mode_32 0
		.amdhsa_float_round_mode_16_64 0
		.amdhsa_float_denorm_mode_32 3
		.amdhsa_float_denorm_mode_16_64 3
		.amdhsa_dx10_clamp 1
		.amdhsa_ieee_mode 1
		.amdhsa_fp16_overflow 0
		.amdhsa_workgroup_processor_mode 1
		.amdhsa_memory_ordered 1
		.amdhsa_forward_progress 0
		.amdhsa_shared_vgpr_count 0
		.amdhsa_exception_fp_ieee_invalid_op 0
		.amdhsa_exception_fp_denorm_src 0
		.amdhsa_exception_fp_ieee_div_zero 0
		.amdhsa_exception_fp_ieee_overflow 0
		.amdhsa_exception_fp_ieee_underflow 0
		.amdhsa_exception_fp_ieee_inexact 0
		.amdhsa_exception_int_div_zero 0
	.end_amdhsa_kernel
	.section	.text._ZN9rocsparseL41csrgemm_numeric_fill_block_per_row_kernelILj512ELj32ELj1024ELj137ELj64Ell21rocsparse_complex_numIdEEEvT5_PKS3_S5_NS_24const_host_device_scalarIT6_EEPKT4_S5_PKS7_SB_S5_SD_S8_SB_S5_SD_SB_S5_PS7_21rocsparse_index_base_SF_SF_SF_bbb,"axG",@progbits,_ZN9rocsparseL41csrgemm_numeric_fill_block_per_row_kernelILj512ELj32ELj1024ELj137ELj64Ell21rocsparse_complex_numIdEEEvT5_PKS3_S5_NS_24const_host_device_scalarIT6_EEPKT4_S5_PKS7_SB_S5_SD_S8_SB_S5_SD_SB_S5_PS7_21rocsparse_index_base_SF_SF_SF_bbb,comdat
.Lfunc_end147:
	.size	_ZN9rocsparseL41csrgemm_numeric_fill_block_per_row_kernelILj512ELj32ELj1024ELj137ELj64Ell21rocsparse_complex_numIdEEEvT5_PKS3_S5_NS_24const_host_device_scalarIT6_EEPKT4_S5_PKS7_SB_S5_SD_S8_SB_S5_SD_SB_S5_PS7_21rocsparse_index_base_SF_SF_SF_bbb, .Lfunc_end147-_ZN9rocsparseL41csrgemm_numeric_fill_block_per_row_kernelILj512ELj32ELj1024ELj137ELj64Ell21rocsparse_complex_numIdEEEvT5_PKS3_S5_NS_24const_host_device_scalarIT6_EEPKT4_S5_PKS7_SB_S5_SD_S8_SB_S5_SD_SB_S5_PS7_21rocsparse_index_base_SF_SF_SF_bbb
                                        ; -- End function
	.section	.AMDGPU.csdata,"",@progbits
; Kernel info:
; codeLenInByte = 3996
; NumSgprs: 46
; NumVgprs: 36
; ScratchSize: 40
; MemoryBound: 0
; FloatMode: 240
; IeeeMode: 1
; LDSByteSize: 0 bytes/workgroup (compile time only)
; SGPRBlocks: 5
; VGPRBlocks: 4
; NumSGPRsForWavesPerEU: 46
; NumVGPRsForWavesPerEU: 36
; Occupancy: 16
; WaveLimiterHint : 1
; COMPUTE_PGM_RSRC2:SCRATCH_EN: 1
; COMPUTE_PGM_RSRC2:USER_SGPR: 15
; COMPUTE_PGM_RSRC2:TRAP_HANDLER: 0
; COMPUTE_PGM_RSRC2:TGID_X_EN: 1
; COMPUTE_PGM_RSRC2:TGID_Y_EN: 0
; COMPUTE_PGM_RSRC2:TGID_Z_EN: 0
; COMPUTE_PGM_RSRC2:TIDIG_COMP_CNT: 0
	.section	.text._ZN9rocsparseL41csrgemm_numeric_fill_block_per_row_kernelILj1024ELj32ELj2048ELj137ELj32Ell21rocsparse_complex_numIdEEEvT5_PKS3_S5_NS_24const_host_device_scalarIT6_EEPKT4_S5_PKS7_SB_S5_SD_S8_SB_S5_SD_SB_S5_PS7_21rocsparse_index_base_SF_SF_SF_bbb,"axG",@progbits,_ZN9rocsparseL41csrgemm_numeric_fill_block_per_row_kernelILj1024ELj32ELj2048ELj137ELj32Ell21rocsparse_complex_numIdEEEvT5_PKS3_S5_NS_24const_host_device_scalarIT6_EEPKT4_S5_PKS7_SB_S5_SD_S8_SB_S5_SD_SB_S5_PS7_21rocsparse_index_base_SF_SF_SF_bbb,comdat
	.globl	_ZN9rocsparseL41csrgemm_numeric_fill_block_per_row_kernelILj1024ELj32ELj2048ELj137ELj32Ell21rocsparse_complex_numIdEEEvT5_PKS3_S5_NS_24const_host_device_scalarIT6_EEPKT4_S5_PKS7_SB_S5_SD_S8_SB_S5_SD_SB_S5_PS7_21rocsparse_index_base_SF_SF_SF_bbb ; -- Begin function _ZN9rocsparseL41csrgemm_numeric_fill_block_per_row_kernelILj1024ELj32ELj2048ELj137ELj32Ell21rocsparse_complex_numIdEEEvT5_PKS3_S5_NS_24const_host_device_scalarIT6_EEPKT4_S5_PKS7_SB_S5_SD_S8_SB_S5_SD_SB_S5_PS7_21rocsparse_index_base_SF_SF_SF_bbb
	.p2align	8
	.type	_ZN9rocsparseL41csrgemm_numeric_fill_block_per_row_kernelILj1024ELj32ELj2048ELj137ELj32Ell21rocsparse_complex_numIdEEEvT5_PKS3_S5_NS_24const_host_device_scalarIT6_EEPKT4_S5_PKS7_SB_S5_SD_S8_SB_S5_SD_SB_S5_PS7_21rocsparse_index_base_SF_SF_SF_bbb,@function
_ZN9rocsparseL41csrgemm_numeric_fill_block_per_row_kernelILj1024ELj32ELj2048ELj137ELj32Ell21rocsparse_complex_numIdEEEvT5_PKS3_S5_NS_24const_host_device_scalarIT6_EEPKT4_S5_PKS7_SB_S5_SD_S8_SB_S5_SD_SB_S5_PS7_21rocsparse_index_base_SF_SF_SF_bbb: ; @_ZN9rocsparseL41csrgemm_numeric_fill_block_per_row_kernelILj1024ELj32ELj2048ELj137ELj32Ell21rocsparse_complex_numIdEEEvT5_PKS3_S5_NS_24const_host_device_scalarIT6_EEPKT4_S5_PKS7_SB_S5_SD_S8_SB_S5_SD_SB_S5_PS7_21rocsparse_index_base_SF_SF_SF_bbb
; %bb.0:
	s_clause 0x3
	s_load_b32 s27, s[0:1], 0xa8
	s_load_b128 s[4:7], s[0:1], 0x18
	s_load_b128 s[16:19], s[0:1], 0x58
	;; [unrolled: 1-line block ×3, first 2 shown]
	v_mov_b32_e32 v1, 0
	v_mov_b32_e32 v2, 0
	s_mov_b32 s24, s15
	s_waitcnt lgkmcnt(0)
	s_bitcmp1_b32 s27, 0
	v_mov_b32_e32 v3, s4
	s_cselect_b32 s26, -1, 0
	s_bitcmp1_b32 s27, 16
	v_dual_mov_b32 v6, v2 :: v_dual_mov_b32 v5, v1
	s_cselect_b32 s2, -1, 0
	v_mov_b32_e32 v4, s5
	s_xor_b32 s25, s2, -1
	v_dual_mov_b32 v9, s16 :: v_dual_mov_b32 v10, s17
	v_cndmask_b32_e64 v7, 0, 1, s25
	s_bitcmp0_b32 s27, 0
	s_clause 0x1
	scratch_store_b64 off, v[3:4], off offset:16
	scratch_store_b64 off, v[9:10], off offset:24
	v_cmp_ne_u32_e32 vcc_lo, 1, v7
	v_dual_mov_b32 v8, v2 :: v_dual_mov_b32 v7, v1
	s_cbranch_scc1 .LBB148_3
; %bb.1:
	s_mov_b64 s[8:9], src_private_base
	s_and_b32 s3, s2, exec_lo
	s_cselect_b32 s3, s9, s5
	s_delay_alu instid0(SALU_CYCLE_1) | instskip(SKIP_2) | instid1(VALU_DEP_2)
	v_dual_mov_b32 v3, 16 :: v_dual_mov_b32 v4, s3
	v_dual_mov_b32 v8, s7 :: v_dual_mov_b32 v7, s6
	s_and_b32 vcc_lo, exec_lo, vcc_lo
	v_cndmask_b32_e64 v3, s4, v3, s2
	flat_load_b64 v[5:6], v[3:4]
	s_cbranch_vccnz .LBB148_3
; %bb.2:
	v_dual_mov_b32 v3, s4 :: v_dual_mov_b32 v4, s5
	flat_load_b64 v[7:8], v[3:4] offset:8
.LBB148_3:
	s_clause 0x4
	s_load_b64 s[34:35], s[0:1], 0x90
	s_load_b256 s[36:43], s[0:1], 0x68
	s_load_b128 s[12:15], s[0:1], 0x48
	s_load_b128 s[20:23], s[0:1], 0x8
	s_load_b256 s[4:11], s[0:1], 0x28
	s_bitcmp1_b32 s27, 8
	v_dual_mov_b32 v4, v2 :: v_dual_mov_b32 v3, v1
	s_cselect_b32 s3, -1, 0
	s_bfe_u32 s27, s27, 0x10008
	s_delay_alu instid0(SALU_CYCLE_1)
	s_cmp_eq_u32 s27, 0
	s_cbranch_scc1 .LBB148_6
; %bb.4:
	s_mov_b64 s[28:29], src_private_base
	s_and_b32 s27, s2, exec_lo
	s_cselect_b32 s27, s29, s17
	s_delay_alu instid0(SALU_CYCLE_1) | instskip(SKIP_1) | instid1(VALU_DEP_1)
	v_dual_mov_b32 v1, 24 :: v_dual_mov_b32 v2, s27
	s_and_not1_b32 vcc_lo, exec_lo, s25
	v_cndmask_b32_e64 v1, s16, v1, s2
	flat_load_b64 v[3:4], v[1:2]
	v_dual_mov_b32 v1, s18 :: v_dual_mov_b32 v2, s19
	s_cbranch_vccnz .LBB148_6
; %bb.5:
	v_dual_mov_b32 v1, s16 :: v_dual_mov_b32 v2, s17
	flat_load_b64 v[1:2], v[1:2] offset:8
.LBB148_6:
	s_load_b64 s[48:49], s[0:1], 0x0
	s_mov_b32 s0, 0
	v_or_b32_e32 v27, 0xfffffc00, v0
	s_mov_b32 s1, s0
	s_delay_alu instid0(SALU_CYCLE_1) | instskip(SKIP_3) | instid1(VALU_DEP_2)
	v_dual_mov_b32 v10, s1 :: v_dual_lshlrev_b32 v11, 4, v0
	v_lshl_add_u32 v28, v0, 3, 0
	s_mov_b32 s16, s0
	s_mov_b32 s17, s0
	v_add3_u32 v29, v11, 0, 0x4000
	v_dual_mov_b32 v11, s16 :: v_dual_mov_b32 v16, v27
	v_dual_mov_b32 v9, s0 :: v_dual_mov_b32 v12, s17
	v_mov_b32_e32 v15, v28
	s_delay_alu instid0(VALU_DEP_4)
	v_mov_b32_e32 v17, v29
	s_waitcnt lgkmcnt(0)
	v_dual_mov_b32 v13, s48 :: v_dual_mov_b32 v14, s49
.LBB148_7:                              ; =>This Inner Loop Header: Depth=1
	v_add_co_u32 v16, s1, 0x400, v16
	s_delay_alu instid0(VALU_DEP_1)
	s_xor_b32 s1, s1, -1
	ds_store_b64 v15, v[13:14]
	ds_store_2addr_b64 v17, v[9:10], v[11:12] offset1:1
	v_add_nc_u32_e32 v17, 0x4000, v17
	v_add_nc_u32_e32 v15, 0x2000, v15
	s_and_b32 s1, exec_lo, s1
	s_delay_alu instid0(SALU_CYCLE_1) | instskip(NEXT) | instid1(SALU_CYCLE_1)
	s_or_b32 s0, s1, s0
	s_and_not1_b32 exec_lo, exec_lo, s0
	s_cbranch_execnz .LBB148_7
; %bb.8:
	s_or_b32 exec_lo, exec_lo, s0
	s_waitcnt vmcnt(0) lgkmcnt(0)
	s_waitcnt_vscnt null, 0x0
	s_barrier
	buffer_gl0_inv
	s_load_b64 s[0:1], s[20:21], 0x0
	s_mov_b32 s25, 0
	v_lshrrev_b32_e32 v30, 5, v0
	s_waitcnt lgkmcnt(0)
	s_lshl_b64 s[0:1], s[0:1], 3
	s_delay_alu instid0(SALU_CYCLE_1) | instskip(SKIP_2) | instid1(SALU_CYCLE_1)
	s_add_u32 s2, s22, s0
	s_addc_u32 s16, s23, s1
	s_lshl_b64 s[0:1], s[24:25], 3
	s_add_u32 s0, s2, s0
	s_addc_u32 s1, s16, s1
	s_and_b32 vcc_lo, exec_lo, s26
	s_load_b64 s[50:51], s[0:1], 0x0
	s_cbranch_vccz .LBB148_36
; %bb.9:
	s_waitcnt lgkmcnt(0)
	s_lshl_b64 s[0:1], s[50:51], 3
	s_mov_b32 s2, exec_lo
	s_add_u32 s0, s4, s0
	s_addc_u32 s1, s5, s1
	s_load_b128 s[16:19], s[0:1], 0x0
	v_sub_co_u32 v9, s0, v30, s44
	s_delay_alu instid0(VALU_DEP_1) | instskip(SKIP_1) | instid1(VALU_DEP_2)
	v_sub_co_ci_u32_e64 v10, null, 0, 0, s0
	s_waitcnt lgkmcnt(0)
	v_add_co_u32 v9, vcc_lo, s16, v9
	s_delay_alu instid0(VALU_DEP_2)
	v_add_co_ci_u32_e32 v10, vcc_lo, s17, v10, vcc_lo
	s_sub_u32 s0, s18, s44
	s_subb_u32 s1, s19, 0
	s_delay_alu instid0(VALU_DEP_1) | instid1(SALU_CYCLE_1)
	v_cmpx_gt_i64_e64 s[0:1], v[9:10]
	s_cbranch_execz .LBB148_35
; %bb.10:
	v_and_b32_e32 v11, 31, v0
	s_mov_b32 s5, s45
	s_delay_alu instid0(VALU_DEP_1) | instskip(NEXT) | instid1(VALU_DEP_1)
	v_sub_co_u32 v31, s4, v11, s45
	v_sub_co_ci_u32_e64 v32, null, 0, 0, s4
	s_mov_b32 s4, 0
	s_branch .LBB148_12
.LBB148_11:                             ;   in Loop: Header=BB148_12 Depth=1
	s_or_b32 exec_lo, exec_lo, s16
	v_add_co_u32 v9, vcc_lo, v9, 32
	v_add_co_ci_u32_e32 v10, vcc_lo, 0, v10, vcc_lo
	s_delay_alu instid0(VALU_DEP_1) | instskip(SKIP_1) | instid1(SALU_CYCLE_1)
	v_cmp_le_i64_e32 vcc_lo, s[0:1], v[9:10]
	s_or_b32 s4, vcc_lo, s4
	s_and_not1_b32 exec_lo, exec_lo, s4
	s_cbranch_execz .LBB148_35
.LBB148_12:                             ; =>This Loop Header: Depth=1
                                        ;     Child Loop BB148_15 Depth 2
                                        ;       Child Loop BB148_17 Depth 3
                                        ;         Child Loop BB148_23 Depth 4
                                        ;         Child Loop BB148_25 Depth 4
	;; [unrolled: 1-line block ×4, first 2 shown]
	v_lshlrev_b64 v[11:12], 3, v[9:10]
	s_mov_b32 s16, exec_lo
	s_delay_alu instid0(VALU_DEP_1) | instskip(NEXT) | instid1(VALU_DEP_2)
	v_add_co_u32 v11, vcc_lo, s6, v11
	v_add_co_ci_u32_e32 v12, vcc_lo, s7, v12, vcc_lo
	global_load_b64 v[11:12], v[11:12], off
	s_waitcnt vmcnt(0)
	v_sub_co_u32 v11, vcc_lo, v11, s44
	v_subrev_co_ci_u32_e32 v12, vcc_lo, 0, v12, vcc_lo
	s_delay_alu instid0(VALU_DEP_1) | instskip(NEXT) | instid1(VALU_DEP_1)
	v_lshlrev_b64 v[11:12], 3, v[11:12]
	v_add_co_u32 v11, vcc_lo, s10, v11
	s_delay_alu instid0(VALU_DEP_2)
	v_add_co_ci_u32_e32 v12, vcc_lo, s11, v12, vcc_lo
	global_load_b128 v[13:16], v[11:12], off
	s_waitcnt vmcnt(0)
	v_sub_co_u32 v11, vcc_lo, v15, s5
	v_subrev_co_ci_u32_e32 v12, vcc_lo, 0, v16, vcc_lo
	v_add_co_u32 v13, vcc_lo, v13, v31
	v_add_co_ci_u32_e32 v14, vcc_lo, v14, v32, vcc_lo
	s_delay_alu instid0(VALU_DEP_1)
	v_cmpx_lt_i64_e64 v[13:14], v[11:12]
	s_cbranch_execz .LBB148_11
; %bb.13:                               ;   in Loop: Header=BB148_12 Depth=1
	v_lshlrev_b64 v[15:16], 4, v[9:10]
	s_mov_b32 s17, 0
	s_delay_alu instid0(VALU_DEP_1) | instskip(NEXT) | instid1(VALU_DEP_2)
	v_add_co_u32 v15, vcc_lo, s8, v15
	v_add_co_ci_u32_e32 v16, vcc_lo, s9, v16, vcc_lo
	global_load_b128 v[17:20], v[15:16], off
	s_waitcnt vmcnt(0)
	v_mul_f64 v[15:16], v[19:20], -v[7:8]
	v_mul_f64 v[19:20], v[5:6], v[19:20]
	s_delay_alu instid0(VALU_DEP_2) | instskip(NEXT) | instid1(VALU_DEP_2)
	v_fma_f64 v[15:16], v[5:6], v[17:18], v[15:16]
	v_fma_f64 v[17:18], v[7:8], v[17:18], v[19:20]
	s_branch .LBB148_15
.LBB148_14:                             ;   in Loop: Header=BB148_15 Depth=2
	s_or_b32 exec_lo, exec_lo, s18
	v_add_co_u32 v13, vcc_lo, v13, 32
	v_add_co_ci_u32_e32 v14, vcc_lo, 0, v14, vcc_lo
	s_delay_alu instid0(VALU_DEP_1) | instskip(SKIP_1) | instid1(SALU_CYCLE_1)
	v_cmp_ge_i64_e32 vcc_lo, v[13:14], v[11:12]
	s_or_b32 s17, vcc_lo, s17
	s_and_not1_b32 exec_lo, exec_lo, s17
	s_cbranch_execz .LBB148_11
.LBB148_15:                             ;   Parent Loop BB148_12 Depth=1
                                        ; =>  This Loop Header: Depth=2
                                        ;       Child Loop BB148_17 Depth 3
                                        ;         Child Loop BB148_23 Depth 4
                                        ;         Child Loop BB148_25 Depth 4
	;; [unrolled: 1-line block ×4, first 2 shown]
	v_lshlrev_b64 v[19:20], 4, v[13:14]
	s_mov_b32 s18, 0
	s_delay_alu instid0(VALU_DEP_1) | instskip(NEXT) | instid1(VALU_DEP_2)
	v_add_co_u32 v19, vcc_lo, s14, v19
	v_add_co_ci_u32_e32 v20, vcc_lo, s15, v20, vcc_lo
	global_load_b128 v[21:24], v[19:20], off
	v_lshlrev_b64 v[19:20], 3, v[13:14]
	s_delay_alu instid0(VALU_DEP_1) | instskip(NEXT) | instid1(VALU_DEP_2)
	v_add_co_u32 v19, vcc_lo, s12, v19
	v_add_co_ci_u32_e32 v20, vcc_lo, s13, v20, vcc_lo
	global_load_b64 v[25:26], v[19:20], off
	s_waitcnt vmcnt(1)
	v_mul_f64 v[19:20], v[23:24], -v[17:18]
	v_mul_f64 v[23:24], v[15:16], v[23:24]
	s_delay_alu instid0(VALU_DEP_2) | instskip(NEXT) | instid1(VALU_DEP_2)
	v_fma_f64 v[19:20], v[15:16], v[21:22], v[19:20]
	v_fma_f64 v[21:22], v[17:18], v[21:22], v[23:24]
	s_waitcnt vmcnt(0)
	v_sub_co_u32 v23, vcc_lo, v25, s5
	v_subrev_co_ci_u32_e32 v24, vcc_lo, 0, v26, vcc_lo
	s_delay_alu instid0(VALU_DEP_2) | instskip(NEXT) | instid1(VALU_DEP_1)
	v_mul_lo_u32 v25, 0x89, v23
	v_and_b32_e32 v33, 0x7ff, v25
	s_branch .LBB148_17
.LBB148_16:                             ;   in Loop: Header=BB148_17 Depth=3
	s_or_b32 exec_lo, exec_lo, s19
	s_xor_b32 s19, s20, -1
	s_delay_alu instid0(SALU_CYCLE_1) | instskip(NEXT) | instid1(SALU_CYCLE_1)
	s_and_b32 s19, exec_lo, s19
	s_or_b32 s18, s19, s18
	s_delay_alu instid0(SALU_CYCLE_1)
	s_and_not1_b32 exec_lo, exec_lo, s18
	s_cbranch_execz .LBB148_14
.LBB148_17:                             ;   Parent Loop BB148_12 Depth=1
                                        ;     Parent Loop BB148_15 Depth=2
                                        ; =>    This Loop Header: Depth=3
                                        ;         Child Loop BB148_23 Depth 4
                                        ;         Child Loop BB148_25 Depth 4
	;; [unrolled: 1-line block ×4, first 2 shown]
	s_delay_alu instid0(VALU_DEP_1)
	v_lshl_add_u32 v34, v33, 3, 0
	s_mov_b32 s19, exec_lo
                                        ; implicit-def: $sgpr20
	ds_load_b64 v[25:26], v34
	s_waitcnt lgkmcnt(0)
	v_cmpx_ne_u64_e64 v[25:26], v[23:24]
	s_xor_b32 s19, exec_lo, s19
	s_cbranch_execz .LBB148_29
; %bb.18:                               ;   in Loop: Header=BB148_17 Depth=3
	s_mov_b32 s21, exec_lo
                                        ; implicit-def: $sgpr20
	v_cmpx_ne_u64_e64 s[48:49], v[25:26]
	s_xor_b32 s21, exec_lo, s21
; %bb.19:                               ;   in Loop: Header=BB148_17 Depth=3
	v_add_nc_u32_e32 v25, 1, v33
	s_mov_b32 s20, -1
                                        ; implicit-def: $vgpr34
	s_delay_alu instid0(VALU_DEP_1)
	v_and_b32_e32 v33, 0x7ff, v25
; %bb.20:                               ;   in Loop: Header=BB148_17 Depth=3
	s_and_not1_saveexec_b32 s21, s21
	s_cbranch_execz .LBB148_28
; %bb.21:                               ;   in Loop: Header=BB148_17 Depth=3
	v_dual_mov_b32 v25, s48 :: v_dual_mov_b32 v26, s49
	s_mov_b32 s23, -1
	s_mov_b32 s22, exec_lo
	ds_cmpstore_rtn_b64 v[25:26], v34, v[23:24], v[25:26]
	s_waitcnt lgkmcnt(0)
	v_cmpx_eq_u64_e64 s[48:49], v[25:26]
	s_cbranch_execz .LBB148_27
; %bb.22:                               ;   in Loop: Header=BB148_17 Depth=3
	v_lshlrev_b32_e32 v25, 3, v33
	s_mov_b32 s23, 0
	s_delay_alu instid0(VALU_DEP_1)
	v_add_nc_u32_e32 v34, v34, v25
	ds_load_b64 v[25:26], v34 offset:16384
.LBB148_23:                             ;   Parent Loop BB148_12 Depth=1
                                        ;     Parent Loop BB148_15 Depth=2
                                        ;       Parent Loop BB148_17 Depth=3
                                        ; =>      This Inner Loop Header: Depth=4
	s_waitcnt lgkmcnt(0)
	v_add_f64 v[35:36], v[25:26], v[19:20]
	ds_cmpstore_rtn_b64 v[35:36], v34, v[35:36], v[25:26] offset:16384
	s_waitcnt lgkmcnt(0)
	v_cmp_eq_u64_e32 vcc_lo, v[35:36], v[25:26]
	v_dual_mov_b32 v25, v35 :: v_dual_mov_b32 v26, v36
	s_or_b32 s23, vcc_lo, s23
	s_delay_alu instid0(SALU_CYCLE_1)
	s_and_not1_b32 exec_lo, exec_lo, s23
	s_cbranch_execnz .LBB148_23
; %bb.24:                               ;   in Loop: Header=BB148_17 Depth=3
	s_or_b32 exec_lo, exec_lo, s23
	ds_load_b64 v[25:26], v34 offset:16392
	s_mov_b32 s23, 0
.LBB148_25:                             ;   Parent Loop BB148_12 Depth=1
                                        ;     Parent Loop BB148_15 Depth=2
                                        ;       Parent Loop BB148_17 Depth=3
                                        ; =>      This Inner Loop Header: Depth=4
	s_waitcnt lgkmcnt(0)
	v_add_f64 v[35:36], v[25:26], v[21:22]
	ds_cmpstore_rtn_b64 v[35:36], v34, v[35:36], v[25:26] offset:16392
	s_waitcnt lgkmcnt(0)
	v_cmp_eq_u64_e32 vcc_lo, v[35:36], v[25:26]
	v_dual_mov_b32 v25, v35 :: v_dual_mov_b32 v26, v36
	s_or_b32 s23, vcc_lo, s23
	s_delay_alu instid0(SALU_CYCLE_1)
	s_and_not1_b32 exec_lo, exec_lo, s23
	s_cbranch_execnz .LBB148_25
; %bb.26:                               ;   in Loop: Header=BB148_17 Depth=3
	s_or_b32 exec_lo, exec_lo, s23
	s_delay_alu instid0(SALU_CYCLE_1)
	s_xor_b32 s23, exec_lo, -1
.LBB148_27:                             ;   in Loop: Header=BB148_17 Depth=3
	s_or_b32 exec_lo, exec_lo, s22
	s_delay_alu instid0(SALU_CYCLE_1) | instskip(SKIP_1) | instid1(SALU_CYCLE_1)
	s_and_not1_b32 s20, s20, exec_lo
	s_and_b32 s22, s23, exec_lo
	s_or_b32 s20, s20, s22
.LBB148_28:                             ;   in Loop: Header=BB148_17 Depth=3
	s_or_b32 exec_lo, exec_lo, s21
	s_delay_alu instid0(SALU_CYCLE_1)
	s_and_b32 s20, s20, exec_lo
                                        ; implicit-def: $vgpr34
.LBB148_29:                             ;   in Loop: Header=BB148_17 Depth=3
	s_and_not1_saveexec_b32 s19, s19
	s_cbranch_execz .LBB148_16
; %bb.30:                               ;   in Loop: Header=BB148_17 Depth=3
	v_lshlrev_b32_e32 v25, 3, v33
	s_mov_b32 s21, 0
	s_delay_alu instid0(VALU_DEP_1)
	v_add_nc_u32_e32 v34, v34, v25
	ds_load_b64 v[25:26], v34 offset:16384
.LBB148_31:                             ;   Parent Loop BB148_12 Depth=1
                                        ;     Parent Loop BB148_15 Depth=2
                                        ;       Parent Loop BB148_17 Depth=3
                                        ; =>      This Inner Loop Header: Depth=4
	s_waitcnt lgkmcnt(0)
	v_add_f64 v[35:36], v[25:26], v[19:20]
	ds_cmpstore_rtn_b64 v[35:36], v34, v[35:36], v[25:26] offset:16384
	s_waitcnt lgkmcnt(0)
	v_cmp_eq_u64_e32 vcc_lo, v[35:36], v[25:26]
	v_dual_mov_b32 v25, v35 :: v_dual_mov_b32 v26, v36
	s_or_b32 s21, vcc_lo, s21
	s_delay_alu instid0(SALU_CYCLE_1)
	s_and_not1_b32 exec_lo, exec_lo, s21
	s_cbranch_execnz .LBB148_31
; %bb.32:                               ;   in Loop: Header=BB148_17 Depth=3
	s_or_b32 exec_lo, exec_lo, s21
	ds_load_b64 v[25:26], v34 offset:16392
	s_mov_b32 s21, 0
.LBB148_33:                             ;   Parent Loop BB148_12 Depth=1
                                        ;     Parent Loop BB148_15 Depth=2
                                        ;       Parent Loop BB148_17 Depth=3
                                        ; =>      This Inner Loop Header: Depth=4
	s_waitcnt lgkmcnt(0)
	v_add_f64 v[35:36], v[25:26], v[21:22]
	ds_cmpstore_rtn_b64 v[35:36], v34, v[35:36], v[25:26] offset:16392
	s_waitcnt lgkmcnt(0)
	v_cmp_eq_u64_e32 vcc_lo, v[35:36], v[25:26]
	v_dual_mov_b32 v25, v35 :: v_dual_mov_b32 v26, v36
	s_or_b32 s21, vcc_lo, s21
	s_delay_alu instid0(SALU_CYCLE_1)
	s_and_not1_b32 exec_lo, exec_lo, s21
	s_cbranch_execnz .LBB148_33
; %bb.34:                               ;   in Loop: Header=BB148_17 Depth=3
	s_or_b32 exec_lo, exec_lo, s21
	s_delay_alu instid0(SALU_CYCLE_1)
	s_and_not1_b32 s20, s20, exec_lo
	s_branch .LBB148_16
.LBB148_35:
	s_or_b32 exec_lo, exec_lo, s2
.LBB148_36:
	s_delay_alu instid0(SALU_CYCLE_1)
	s_and_not1_b32 vcc_lo, exec_lo, s3
	s_cbranch_vccnz .LBB148_61
; %bb.37:
	s_waitcnt lgkmcnt(0)
	s_lshl_b64 s[0:1], s[50:51], 3
	v_sub_co_u32 v5, s4, v0, s47
	s_add_u32 s0, s36, s0
	s_addc_u32 s1, s37, s1
	v_sub_co_ci_u32_e64 v6, null, 0, 0, s4
	s_load_b128 s[0:3], s[0:1], 0x0
	s_waitcnt lgkmcnt(0)
	v_add_co_u32 v5, vcc_lo, s0, v5
	s_delay_alu instid0(VALU_DEP_2)
	v_add_co_ci_u32_e32 v6, vcc_lo, s1, v6, vcc_lo
	s_sub_u32 s0, s2, s47
	s_subb_u32 s1, s3, 0
	s_mov_b32 s2, 0
	s_mov_b32 s3, exec_lo
	v_cmpx_gt_i64_e64 s[0:1], v[5:6]
	s_cbranch_execz .LBB148_60
; %bb.38:
	s_mov_b32 s4, s47
	s_branch .LBB148_40
.LBB148_39:                             ;   in Loop: Header=BB148_40 Depth=1
	s_or_b32 exec_lo, exec_lo, s5
	v_add_co_u32 v5, vcc_lo, 0x400, v5
	v_add_co_ci_u32_e32 v6, vcc_lo, 0, v6, vcc_lo
	s_delay_alu instid0(VALU_DEP_1) | instskip(SKIP_1) | instid1(SALU_CYCLE_1)
	v_cmp_le_i64_e32 vcc_lo, s[0:1], v[5:6]
	s_or_b32 s2, vcc_lo, s2
	s_and_not1_b32 exec_lo, exec_lo, s2
	s_cbranch_execz .LBB148_60
.LBB148_40:                             ; =>This Loop Header: Depth=1
                                        ;     Child Loop BB148_42 Depth 2
                                        ;       Child Loop BB148_48 Depth 3
                                        ;       Child Loop BB148_50 Depth 3
	;; [unrolled: 1-line block ×4, first 2 shown]
	v_lshlrev_b64 v[7:8], 4, v[5:6]
	s_mov_b32 s5, 0
	s_delay_alu instid0(VALU_DEP_1) | instskip(NEXT) | instid1(VALU_DEP_2)
	v_add_co_u32 v7, vcc_lo, s40, v7
	v_add_co_ci_u32_e32 v8, vcc_lo, s41, v8, vcc_lo
	global_load_b128 v[9:12], v[7:8], off
	v_lshlrev_b64 v[7:8], 3, v[5:6]
	s_delay_alu instid0(VALU_DEP_1) | instskip(NEXT) | instid1(VALU_DEP_2)
	v_add_co_u32 v7, vcc_lo, s38, v7
	v_add_co_ci_u32_e32 v8, vcc_lo, s39, v8, vcc_lo
	global_load_b64 v[13:14], v[7:8], off
	s_waitcnt vmcnt(1)
	v_mul_f64 v[7:8], v[11:12], -v[1:2]
	v_mul_f64 v[11:12], v[3:4], v[11:12]
	s_delay_alu instid0(VALU_DEP_2) | instskip(NEXT) | instid1(VALU_DEP_2)
	v_fma_f64 v[7:8], v[3:4], v[9:10], v[7:8]
	v_fma_f64 v[9:10], v[1:2], v[9:10], v[11:12]
	s_waitcnt vmcnt(0)
	v_sub_co_u32 v11, vcc_lo, v13, s4
	v_subrev_co_ci_u32_e32 v12, vcc_lo, 0, v14, vcc_lo
	s_delay_alu instid0(VALU_DEP_2) | instskip(NEXT) | instid1(VALU_DEP_1)
	v_mul_lo_u32 v13, 0x89, v11
	v_and_b32_e32 v15, 0x7ff, v13
	s_branch .LBB148_42
.LBB148_41:                             ;   in Loop: Header=BB148_42 Depth=2
	s_or_b32 exec_lo, exec_lo, s6
	s_xor_b32 s6, s7, -1
	s_delay_alu instid0(SALU_CYCLE_1) | instskip(NEXT) | instid1(SALU_CYCLE_1)
	s_and_b32 s6, exec_lo, s6
	s_or_b32 s5, s6, s5
	s_delay_alu instid0(SALU_CYCLE_1)
	s_and_not1_b32 exec_lo, exec_lo, s5
	s_cbranch_execz .LBB148_39
.LBB148_42:                             ;   Parent Loop BB148_40 Depth=1
                                        ; =>  This Loop Header: Depth=2
                                        ;       Child Loop BB148_48 Depth 3
                                        ;       Child Loop BB148_50 Depth 3
	;; [unrolled: 1-line block ×4, first 2 shown]
	s_delay_alu instid0(VALU_DEP_1)
	v_lshl_add_u32 v16, v15, 3, 0
	s_mov_b32 s6, exec_lo
                                        ; implicit-def: $sgpr7
	ds_load_b64 v[13:14], v16
	s_waitcnt lgkmcnt(0)
	v_cmpx_ne_u64_e64 v[13:14], v[11:12]
	s_xor_b32 s6, exec_lo, s6
	s_cbranch_execz .LBB148_54
; %bb.43:                               ;   in Loop: Header=BB148_42 Depth=2
	s_mov_b32 s8, exec_lo
                                        ; implicit-def: $sgpr7
	v_cmpx_ne_u64_e64 s[48:49], v[13:14]
	s_xor_b32 s8, exec_lo, s8
; %bb.44:                               ;   in Loop: Header=BB148_42 Depth=2
	v_add_nc_u32_e32 v13, 1, v15
	s_mov_b32 s7, -1
                                        ; implicit-def: $vgpr16
	s_delay_alu instid0(VALU_DEP_1)
	v_and_b32_e32 v15, 0x7ff, v13
; %bb.45:                               ;   in Loop: Header=BB148_42 Depth=2
	s_and_not1_saveexec_b32 s8, s8
	s_cbranch_execz .LBB148_53
; %bb.46:                               ;   in Loop: Header=BB148_42 Depth=2
	v_dual_mov_b32 v13, s48 :: v_dual_mov_b32 v14, s49
	s_mov_b32 s10, -1
	s_mov_b32 s9, exec_lo
	ds_cmpstore_rtn_b64 v[13:14], v16, v[11:12], v[13:14]
	s_waitcnt lgkmcnt(0)
	v_cmpx_eq_u64_e64 s[48:49], v[13:14]
	s_cbranch_execz .LBB148_52
; %bb.47:                               ;   in Loop: Header=BB148_42 Depth=2
	v_lshlrev_b32_e32 v13, 3, v15
	s_mov_b32 s10, 0
	s_delay_alu instid0(VALU_DEP_1)
	v_add_nc_u32_e32 v16, v16, v13
	ds_load_b64 v[13:14], v16 offset:16384
.LBB148_48:                             ;   Parent Loop BB148_40 Depth=1
                                        ;     Parent Loop BB148_42 Depth=2
                                        ; =>    This Inner Loop Header: Depth=3
	s_waitcnt lgkmcnt(0)
	v_add_f64 v[17:18], v[13:14], v[7:8]
	ds_cmpstore_rtn_b64 v[17:18], v16, v[17:18], v[13:14] offset:16384
	s_waitcnt lgkmcnt(0)
	v_cmp_eq_u64_e32 vcc_lo, v[17:18], v[13:14]
	v_dual_mov_b32 v13, v17 :: v_dual_mov_b32 v14, v18
	s_or_b32 s10, vcc_lo, s10
	s_delay_alu instid0(SALU_CYCLE_1)
	s_and_not1_b32 exec_lo, exec_lo, s10
	s_cbranch_execnz .LBB148_48
; %bb.49:                               ;   in Loop: Header=BB148_42 Depth=2
	s_or_b32 exec_lo, exec_lo, s10
	ds_load_b64 v[13:14], v16 offset:16392
	s_mov_b32 s10, 0
.LBB148_50:                             ;   Parent Loop BB148_40 Depth=1
                                        ;     Parent Loop BB148_42 Depth=2
                                        ; =>    This Inner Loop Header: Depth=3
	s_waitcnt lgkmcnt(0)
	v_add_f64 v[17:18], v[13:14], v[9:10]
	ds_cmpstore_rtn_b64 v[17:18], v16, v[17:18], v[13:14] offset:16392
	s_waitcnt lgkmcnt(0)
	v_cmp_eq_u64_e32 vcc_lo, v[17:18], v[13:14]
	v_dual_mov_b32 v13, v17 :: v_dual_mov_b32 v14, v18
	s_or_b32 s10, vcc_lo, s10
	s_delay_alu instid0(SALU_CYCLE_1)
	s_and_not1_b32 exec_lo, exec_lo, s10
	s_cbranch_execnz .LBB148_50
; %bb.51:                               ;   in Loop: Header=BB148_42 Depth=2
	s_or_b32 exec_lo, exec_lo, s10
	s_delay_alu instid0(SALU_CYCLE_1)
	s_xor_b32 s10, exec_lo, -1
.LBB148_52:                             ;   in Loop: Header=BB148_42 Depth=2
	s_or_b32 exec_lo, exec_lo, s9
	s_delay_alu instid0(SALU_CYCLE_1) | instskip(SKIP_1) | instid1(SALU_CYCLE_1)
	s_and_not1_b32 s7, s7, exec_lo
	s_and_b32 s9, s10, exec_lo
	s_or_b32 s7, s7, s9
.LBB148_53:                             ;   in Loop: Header=BB148_42 Depth=2
	s_or_b32 exec_lo, exec_lo, s8
	s_delay_alu instid0(SALU_CYCLE_1)
	s_and_b32 s7, s7, exec_lo
                                        ; implicit-def: $vgpr16
.LBB148_54:                             ;   in Loop: Header=BB148_42 Depth=2
	s_and_not1_saveexec_b32 s6, s6
	s_cbranch_execz .LBB148_41
; %bb.55:                               ;   in Loop: Header=BB148_42 Depth=2
	v_lshlrev_b32_e32 v13, 3, v15
	s_mov_b32 s8, 0
	s_delay_alu instid0(VALU_DEP_1)
	v_add_nc_u32_e32 v16, v16, v13
	ds_load_b64 v[13:14], v16 offset:16384
.LBB148_56:                             ;   Parent Loop BB148_40 Depth=1
                                        ;     Parent Loop BB148_42 Depth=2
                                        ; =>    This Inner Loop Header: Depth=3
	s_waitcnt lgkmcnt(0)
	v_add_f64 v[17:18], v[13:14], v[7:8]
	ds_cmpstore_rtn_b64 v[17:18], v16, v[17:18], v[13:14] offset:16384
	s_waitcnt lgkmcnt(0)
	v_cmp_eq_u64_e32 vcc_lo, v[17:18], v[13:14]
	v_dual_mov_b32 v13, v17 :: v_dual_mov_b32 v14, v18
	s_or_b32 s8, vcc_lo, s8
	s_delay_alu instid0(SALU_CYCLE_1)
	s_and_not1_b32 exec_lo, exec_lo, s8
	s_cbranch_execnz .LBB148_56
; %bb.57:                               ;   in Loop: Header=BB148_42 Depth=2
	s_or_b32 exec_lo, exec_lo, s8
	ds_load_b64 v[13:14], v16 offset:16392
	s_mov_b32 s8, 0
.LBB148_58:                             ;   Parent Loop BB148_40 Depth=1
                                        ;     Parent Loop BB148_42 Depth=2
                                        ; =>    This Inner Loop Header: Depth=3
	s_waitcnt lgkmcnt(0)
	v_add_f64 v[17:18], v[13:14], v[9:10]
	ds_cmpstore_rtn_b64 v[17:18], v16, v[17:18], v[13:14] offset:16392
	s_waitcnt lgkmcnt(0)
	v_cmp_eq_u64_e32 vcc_lo, v[17:18], v[13:14]
	v_dual_mov_b32 v13, v17 :: v_dual_mov_b32 v14, v18
	s_or_b32 s8, vcc_lo, s8
	s_delay_alu instid0(SALU_CYCLE_1)
	s_and_not1_b32 exec_lo, exec_lo, s8
	s_cbranch_execnz .LBB148_58
; %bb.59:                               ;   in Loop: Header=BB148_42 Depth=2
	s_or_b32 exec_lo, exec_lo, s8
	s_delay_alu instid0(SALU_CYCLE_1)
	s_and_not1_b32 s7, s7, exec_lo
	s_branch .LBB148_41
.LBB148_60:
	s_or_b32 exec_lo, exec_lo, s3
.LBB148_61:
	v_mbcnt_lo_u32_b32 v1, -1, 0
	v_lshl_add_u32 v10, v30, 3, 0
	v_cmp_eq_u32_e32 vcc_lo, 0x3ff, v0
	v_cmp_lt_u32_e64 s0, 31, v0
	v_cmp_lt_u32_e64 s1, 63, v0
	v_xor_b32_e32 v1, 63, v1
	v_cmp_lt_u32_e64 s2, 0x5f, v0
	v_cmp_lt_u32_e64 s3, 0x7f, v0
	;; [unrolled: 1-line block ×4, first 2 shown]
	v_lshrrev_b64 v[1:2], v1, -1
	v_dual_mov_b32 v2, 0 :: v_dual_mov_b32 v5, 0
	v_cmp_lt_u32_e64 s6, 0xdf, v0
	v_cmp_lt_u32_e64 s7, 0xff, v0
	;; [unrolled: 1-line block ×25, first 2 shown]
	v_mov_b32_e32 v3, 0
	s_mov_b32 s33, 0
	s_waitcnt lgkmcnt(0)
	s_barrier
	buffer_gl0_inv
	s_branch .LBB148_63
.LBB148_62:                             ;   in Loop: Header=BB148_63 Depth=1
	s_or_b32 exec_lo, exec_lo, s31
	s_waitcnt lgkmcnt(0)
	s_barrier
	buffer_gl0_inv
	ds_load_b64 v[6:7], v5 offset:49400
	v_add_co_u32 v27, s31, 0x400, v27
	s_delay_alu instid0(VALU_DEP_1) | instskip(SKIP_4) | instid1(VALU_DEP_1)
	s_xor_b32 s36, s31, -1
	v_add_nc_u32_e32 v29, 0x4000, v29
	v_add_nc_u32_e32 v28, 0x2000, v28
	s_waitcnt lgkmcnt(0)
	v_add_co_u32 v2, s31, v6, v2
	v_add_co_ci_u32_e64 v3, s31, v7, v3, s31
	s_and_b32 s31, exec_lo, s36
	s_delay_alu instid0(SALU_CYCLE_1) | instskip(NEXT) | instid1(SALU_CYCLE_1)
	s_or_b32 s33, s31, s33
	s_and_not1_b32 exec_lo, exec_lo, s33
	s_cbranch_execz .LBB148_129
.LBB148_63:                             ; =>This Inner Loop Header: Depth=1
	ds_load_b64 v[6:7], v28
	ds_load_2addr_b64 v[11:14], v29 offset1:1
	s_waitcnt lgkmcnt(1)
	v_cmp_gt_i64_e64 s31, s[48:49], v[6:7]
	s_waitcnt lgkmcnt(0)
	scratch_store_b128 off, v[11:14], off
	s_waitcnt_vscnt null, 0x0
	s_barrier
	buffer_gl0_inv
	v_and_b32_e32 v8, s31, v1
	s_bcnt1_i32_b32 s36, s31
	s_delay_alu instid0(SALU_CYCLE_1) | instskip(NEXT) | instid1(VALU_DEP_2)
	v_mov_b32_e32 v4, s36
	v_bcnt_u32_b32 v8, v8, 0
	ds_store_b64 v10, v[4:5] offset:49152
	s_waitcnt lgkmcnt(0)
	s_barrier
	buffer_gl0_inv
	s_and_saveexec_b32 s36, s0
	s_cbranch_execnz .LBB148_96
; %bb.64:                               ;   in Loop: Header=BB148_63 Depth=1
	s_or_b32 exec_lo, exec_lo, s36
	s_and_saveexec_b32 s36, s1
	s_cbranch_execnz .LBB148_97
.LBB148_65:                             ;   in Loop: Header=BB148_63 Depth=1
	s_or_b32 exec_lo, exec_lo, s36
	s_and_saveexec_b32 s36, s2
	s_cbranch_execnz .LBB148_98
.LBB148_66:                             ;   in Loop: Header=BB148_63 Depth=1
	s_or_b32 exec_lo, exec_lo, s36
	s_and_saveexec_b32 s36, s3
	s_cbranch_execnz .LBB148_99
.LBB148_67:                             ;   in Loop: Header=BB148_63 Depth=1
	s_or_b32 exec_lo, exec_lo, s36
	s_and_saveexec_b32 s36, s4
	s_cbranch_execnz .LBB148_100
.LBB148_68:                             ;   in Loop: Header=BB148_63 Depth=1
	s_or_b32 exec_lo, exec_lo, s36
	s_and_saveexec_b32 s36, s5
	s_cbranch_execnz .LBB148_101
.LBB148_69:                             ;   in Loop: Header=BB148_63 Depth=1
	s_or_b32 exec_lo, exec_lo, s36
	s_and_saveexec_b32 s36, s6
	s_cbranch_execnz .LBB148_102
.LBB148_70:                             ;   in Loop: Header=BB148_63 Depth=1
	s_or_b32 exec_lo, exec_lo, s36
	s_and_saveexec_b32 s36, s7
	s_cbranch_execnz .LBB148_103
.LBB148_71:                             ;   in Loop: Header=BB148_63 Depth=1
	s_or_b32 exec_lo, exec_lo, s36
	s_and_saveexec_b32 s36, s8
	s_cbranch_execnz .LBB148_104
.LBB148_72:                             ;   in Loop: Header=BB148_63 Depth=1
	s_or_b32 exec_lo, exec_lo, s36
	s_and_saveexec_b32 s36, s9
	s_cbranch_execnz .LBB148_105
.LBB148_73:                             ;   in Loop: Header=BB148_63 Depth=1
	s_or_b32 exec_lo, exec_lo, s36
	s_and_saveexec_b32 s36, s10
	s_cbranch_execnz .LBB148_106
.LBB148_74:                             ;   in Loop: Header=BB148_63 Depth=1
	s_or_b32 exec_lo, exec_lo, s36
	s_and_saveexec_b32 s36, s11
	s_cbranch_execnz .LBB148_107
.LBB148_75:                             ;   in Loop: Header=BB148_63 Depth=1
	s_or_b32 exec_lo, exec_lo, s36
	s_and_saveexec_b32 s36, s12
	s_cbranch_execnz .LBB148_108
.LBB148_76:                             ;   in Loop: Header=BB148_63 Depth=1
	s_or_b32 exec_lo, exec_lo, s36
	s_and_saveexec_b32 s36, s13
	s_cbranch_execnz .LBB148_109
.LBB148_77:                             ;   in Loop: Header=BB148_63 Depth=1
	s_or_b32 exec_lo, exec_lo, s36
	s_and_saveexec_b32 s36, s14
	s_cbranch_execnz .LBB148_110
.LBB148_78:                             ;   in Loop: Header=BB148_63 Depth=1
	s_or_b32 exec_lo, exec_lo, s36
	s_and_saveexec_b32 s36, s15
	s_cbranch_execnz .LBB148_111
.LBB148_79:                             ;   in Loop: Header=BB148_63 Depth=1
	s_or_b32 exec_lo, exec_lo, s36
	s_and_saveexec_b32 s36, s16
	s_cbranch_execnz .LBB148_112
.LBB148_80:                             ;   in Loop: Header=BB148_63 Depth=1
	s_or_b32 exec_lo, exec_lo, s36
	s_and_saveexec_b32 s36, s17
	s_cbranch_execnz .LBB148_113
.LBB148_81:                             ;   in Loop: Header=BB148_63 Depth=1
	s_or_b32 exec_lo, exec_lo, s36
	s_and_saveexec_b32 s36, s18
	s_cbranch_execnz .LBB148_114
.LBB148_82:                             ;   in Loop: Header=BB148_63 Depth=1
	s_or_b32 exec_lo, exec_lo, s36
	s_and_saveexec_b32 s36, s19
	s_cbranch_execnz .LBB148_115
.LBB148_83:                             ;   in Loop: Header=BB148_63 Depth=1
	s_or_b32 exec_lo, exec_lo, s36
	s_and_saveexec_b32 s36, s20
	s_cbranch_execnz .LBB148_116
.LBB148_84:                             ;   in Loop: Header=BB148_63 Depth=1
	s_or_b32 exec_lo, exec_lo, s36
	s_and_saveexec_b32 s36, s21
	s_cbranch_execnz .LBB148_117
.LBB148_85:                             ;   in Loop: Header=BB148_63 Depth=1
	s_or_b32 exec_lo, exec_lo, s36
	s_and_saveexec_b32 s36, s22
	s_cbranch_execnz .LBB148_118
.LBB148_86:                             ;   in Loop: Header=BB148_63 Depth=1
	s_or_b32 exec_lo, exec_lo, s36
	s_and_saveexec_b32 s36, s23
	s_cbranch_execnz .LBB148_119
.LBB148_87:                             ;   in Loop: Header=BB148_63 Depth=1
	s_or_b32 exec_lo, exec_lo, s36
	s_and_saveexec_b32 s36, s24
	s_cbranch_execnz .LBB148_120
.LBB148_88:                             ;   in Loop: Header=BB148_63 Depth=1
	s_or_b32 exec_lo, exec_lo, s36
	s_and_saveexec_b32 s36, s25
	s_cbranch_execnz .LBB148_121
.LBB148_89:                             ;   in Loop: Header=BB148_63 Depth=1
	s_or_b32 exec_lo, exec_lo, s36
	s_and_saveexec_b32 s36, s26
	s_cbranch_execnz .LBB148_122
.LBB148_90:                             ;   in Loop: Header=BB148_63 Depth=1
	s_or_b32 exec_lo, exec_lo, s36
	s_and_saveexec_b32 s36, s27
	s_cbranch_execnz .LBB148_123
.LBB148_91:                             ;   in Loop: Header=BB148_63 Depth=1
	s_or_b32 exec_lo, exec_lo, s36
	s_and_saveexec_b32 s36, s28
	s_cbranch_execnz .LBB148_124
.LBB148_92:                             ;   in Loop: Header=BB148_63 Depth=1
	s_or_b32 exec_lo, exec_lo, s36
	s_and_saveexec_b32 s36, s29
	s_cbranch_execnz .LBB148_125
.LBB148_93:                             ;   in Loop: Header=BB148_63 Depth=1
	s_or_b32 exec_lo, exec_lo, s36
	s_and_saveexec_b32 s36, s30
	s_cbranch_execnz .LBB148_126
.LBB148_94:                             ;   in Loop: Header=BB148_63 Depth=1
	s_or_b32 exec_lo, exec_lo, s36
	v_ashrrev_i32_e32 v9, 31, v8
	s_and_saveexec_b32 s36, s31
	s_cbranch_execnz .LBB148_127
.LBB148_95:                             ;   in Loop: Header=BB148_63 Depth=1
	s_or_b32 exec_lo, exec_lo, s36
	s_and_saveexec_b32 s31, vcc_lo
	s_cbranch_execz .LBB148_62
	s_branch .LBB148_128
.LBB148_96:                             ;   in Loop: Header=BB148_63 Depth=1
	ds_load_b32 v4, v5 offset:49152
	s_waitcnt lgkmcnt(0)
	v_add_nc_u32_e32 v8, v4, v8
	s_or_b32 exec_lo, exec_lo, s36
	s_and_saveexec_b32 s36, s1
	s_cbranch_execz .LBB148_65
.LBB148_97:                             ;   in Loop: Header=BB148_63 Depth=1
	ds_load_b32 v4, v5 offset:49160
	s_waitcnt lgkmcnt(0)
	v_add_nc_u32_e32 v8, v8, v4
	s_or_b32 exec_lo, exec_lo, s36
	s_and_saveexec_b32 s36, s2
	s_cbranch_execz .LBB148_66
.LBB148_98:                             ;   in Loop: Header=BB148_63 Depth=1
	ds_load_b32 v4, v5 offset:49168
	s_waitcnt lgkmcnt(0)
	v_add_nc_u32_e32 v8, v8, v4
	s_or_b32 exec_lo, exec_lo, s36
	s_and_saveexec_b32 s36, s3
	s_cbranch_execz .LBB148_67
.LBB148_99:                             ;   in Loop: Header=BB148_63 Depth=1
	ds_load_b32 v4, v5 offset:49176
	s_waitcnt lgkmcnt(0)
	v_add_nc_u32_e32 v8, v8, v4
	s_or_b32 exec_lo, exec_lo, s36
	s_and_saveexec_b32 s36, s4
	s_cbranch_execz .LBB148_68
.LBB148_100:                            ;   in Loop: Header=BB148_63 Depth=1
	ds_load_b32 v4, v5 offset:49184
	s_waitcnt lgkmcnt(0)
	v_add_nc_u32_e32 v8, v8, v4
	s_or_b32 exec_lo, exec_lo, s36
	s_and_saveexec_b32 s36, s5
	s_cbranch_execz .LBB148_69
.LBB148_101:                            ;   in Loop: Header=BB148_63 Depth=1
	ds_load_b32 v4, v5 offset:49192
	s_waitcnt lgkmcnt(0)
	v_add_nc_u32_e32 v8, v8, v4
	s_or_b32 exec_lo, exec_lo, s36
	s_and_saveexec_b32 s36, s6
	s_cbranch_execz .LBB148_70
.LBB148_102:                            ;   in Loop: Header=BB148_63 Depth=1
	ds_load_b32 v4, v5 offset:49200
	s_waitcnt lgkmcnt(0)
	v_add_nc_u32_e32 v8, v8, v4
	s_or_b32 exec_lo, exec_lo, s36
	s_and_saveexec_b32 s36, s7
	s_cbranch_execz .LBB148_71
.LBB148_103:                            ;   in Loop: Header=BB148_63 Depth=1
	ds_load_b32 v4, v5 offset:49208
	s_waitcnt lgkmcnt(0)
	v_add_nc_u32_e32 v8, v8, v4
	s_or_b32 exec_lo, exec_lo, s36
	s_and_saveexec_b32 s36, s8
	s_cbranch_execz .LBB148_72
.LBB148_104:                            ;   in Loop: Header=BB148_63 Depth=1
	ds_load_b32 v4, v5 offset:49216
	s_waitcnt lgkmcnt(0)
	v_add_nc_u32_e32 v8, v8, v4
	s_or_b32 exec_lo, exec_lo, s36
	s_and_saveexec_b32 s36, s9
	s_cbranch_execz .LBB148_73
.LBB148_105:                            ;   in Loop: Header=BB148_63 Depth=1
	ds_load_b32 v4, v5 offset:49224
	s_waitcnt lgkmcnt(0)
	v_add_nc_u32_e32 v8, v8, v4
	s_or_b32 exec_lo, exec_lo, s36
	s_and_saveexec_b32 s36, s10
	s_cbranch_execz .LBB148_74
.LBB148_106:                            ;   in Loop: Header=BB148_63 Depth=1
	ds_load_b32 v4, v5 offset:49232
	s_waitcnt lgkmcnt(0)
	v_add_nc_u32_e32 v8, v8, v4
	s_or_b32 exec_lo, exec_lo, s36
	s_and_saveexec_b32 s36, s11
	s_cbranch_execz .LBB148_75
.LBB148_107:                            ;   in Loop: Header=BB148_63 Depth=1
	ds_load_b32 v4, v5 offset:49240
	s_waitcnt lgkmcnt(0)
	v_add_nc_u32_e32 v8, v8, v4
	s_or_b32 exec_lo, exec_lo, s36
	s_and_saveexec_b32 s36, s12
	s_cbranch_execz .LBB148_76
.LBB148_108:                            ;   in Loop: Header=BB148_63 Depth=1
	ds_load_b32 v4, v5 offset:49248
	s_waitcnt lgkmcnt(0)
	v_add_nc_u32_e32 v8, v8, v4
	s_or_b32 exec_lo, exec_lo, s36
	s_and_saveexec_b32 s36, s13
	s_cbranch_execz .LBB148_77
.LBB148_109:                            ;   in Loop: Header=BB148_63 Depth=1
	ds_load_b32 v4, v5 offset:49256
	s_waitcnt lgkmcnt(0)
	v_add_nc_u32_e32 v8, v8, v4
	s_or_b32 exec_lo, exec_lo, s36
	s_and_saveexec_b32 s36, s14
	s_cbranch_execz .LBB148_78
.LBB148_110:                            ;   in Loop: Header=BB148_63 Depth=1
	ds_load_b32 v4, v5 offset:49264
	s_waitcnt lgkmcnt(0)
	v_add_nc_u32_e32 v8, v8, v4
	s_or_b32 exec_lo, exec_lo, s36
	s_and_saveexec_b32 s36, s15
	s_cbranch_execz .LBB148_79
.LBB148_111:                            ;   in Loop: Header=BB148_63 Depth=1
	ds_load_b32 v4, v5 offset:49272
	s_waitcnt lgkmcnt(0)
	v_add_nc_u32_e32 v8, v8, v4
	s_or_b32 exec_lo, exec_lo, s36
	s_and_saveexec_b32 s36, s16
	s_cbranch_execz .LBB148_80
.LBB148_112:                            ;   in Loop: Header=BB148_63 Depth=1
	ds_load_b32 v4, v5 offset:49280
	s_waitcnt lgkmcnt(0)
	v_add_nc_u32_e32 v8, v8, v4
	s_or_b32 exec_lo, exec_lo, s36
	s_and_saveexec_b32 s36, s17
	s_cbranch_execz .LBB148_81
.LBB148_113:                            ;   in Loop: Header=BB148_63 Depth=1
	ds_load_b32 v4, v5 offset:49288
	s_waitcnt lgkmcnt(0)
	v_add_nc_u32_e32 v8, v8, v4
	s_or_b32 exec_lo, exec_lo, s36
	s_and_saveexec_b32 s36, s18
	s_cbranch_execz .LBB148_82
.LBB148_114:                            ;   in Loop: Header=BB148_63 Depth=1
	ds_load_b32 v4, v5 offset:49296
	s_waitcnt lgkmcnt(0)
	v_add_nc_u32_e32 v8, v8, v4
	s_or_b32 exec_lo, exec_lo, s36
	s_and_saveexec_b32 s36, s19
	s_cbranch_execz .LBB148_83
.LBB148_115:                            ;   in Loop: Header=BB148_63 Depth=1
	ds_load_b32 v4, v5 offset:49304
	s_waitcnt lgkmcnt(0)
	v_add_nc_u32_e32 v8, v8, v4
	s_or_b32 exec_lo, exec_lo, s36
	s_and_saveexec_b32 s36, s20
	s_cbranch_execz .LBB148_84
.LBB148_116:                            ;   in Loop: Header=BB148_63 Depth=1
	ds_load_b32 v4, v5 offset:49312
	s_waitcnt lgkmcnt(0)
	v_add_nc_u32_e32 v8, v8, v4
	s_or_b32 exec_lo, exec_lo, s36
	s_and_saveexec_b32 s36, s21
	s_cbranch_execz .LBB148_85
.LBB148_117:                            ;   in Loop: Header=BB148_63 Depth=1
	ds_load_b32 v4, v5 offset:49320
	s_waitcnt lgkmcnt(0)
	v_add_nc_u32_e32 v8, v8, v4
	s_or_b32 exec_lo, exec_lo, s36
	s_and_saveexec_b32 s36, s22
	s_cbranch_execz .LBB148_86
.LBB148_118:                            ;   in Loop: Header=BB148_63 Depth=1
	ds_load_b32 v4, v5 offset:49328
	s_waitcnt lgkmcnt(0)
	v_add_nc_u32_e32 v8, v8, v4
	s_or_b32 exec_lo, exec_lo, s36
	s_and_saveexec_b32 s36, s23
	s_cbranch_execz .LBB148_87
.LBB148_119:                            ;   in Loop: Header=BB148_63 Depth=1
	ds_load_b32 v4, v5 offset:49336
	s_waitcnt lgkmcnt(0)
	v_add_nc_u32_e32 v8, v8, v4
	s_or_b32 exec_lo, exec_lo, s36
	s_and_saveexec_b32 s36, s24
	s_cbranch_execz .LBB148_88
.LBB148_120:                            ;   in Loop: Header=BB148_63 Depth=1
	ds_load_b32 v4, v5 offset:49344
	s_waitcnt lgkmcnt(0)
	v_add_nc_u32_e32 v8, v8, v4
	s_or_b32 exec_lo, exec_lo, s36
	s_and_saveexec_b32 s36, s25
	s_cbranch_execz .LBB148_89
.LBB148_121:                            ;   in Loop: Header=BB148_63 Depth=1
	ds_load_b32 v4, v5 offset:49352
	s_waitcnt lgkmcnt(0)
	v_add_nc_u32_e32 v8, v8, v4
	s_or_b32 exec_lo, exec_lo, s36
	s_and_saveexec_b32 s36, s26
	s_cbranch_execz .LBB148_90
.LBB148_122:                            ;   in Loop: Header=BB148_63 Depth=1
	ds_load_b32 v4, v5 offset:49360
	s_waitcnt lgkmcnt(0)
	v_add_nc_u32_e32 v8, v8, v4
	s_or_b32 exec_lo, exec_lo, s36
	s_and_saveexec_b32 s36, s27
	s_cbranch_execz .LBB148_91
.LBB148_123:                            ;   in Loop: Header=BB148_63 Depth=1
	ds_load_b32 v4, v5 offset:49368
	s_waitcnt lgkmcnt(0)
	v_add_nc_u32_e32 v8, v8, v4
	s_or_b32 exec_lo, exec_lo, s36
	s_and_saveexec_b32 s36, s28
	s_cbranch_execz .LBB148_92
.LBB148_124:                            ;   in Loop: Header=BB148_63 Depth=1
	ds_load_b32 v4, v5 offset:49376
	s_waitcnt lgkmcnt(0)
	v_add_nc_u32_e32 v8, v8, v4
	s_or_b32 exec_lo, exec_lo, s36
	s_and_saveexec_b32 s36, s29
	s_cbranch_execz .LBB148_93
.LBB148_125:                            ;   in Loop: Header=BB148_63 Depth=1
	ds_load_b32 v4, v5 offset:49384
	s_waitcnt lgkmcnt(0)
	v_add_nc_u32_e32 v8, v8, v4
	s_or_b32 exec_lo, exec_lo, s36
	s_and_saveexec_b32 s36, s30
	s_cbranch_execz .LBB148_94
.LBB148_126:                            ;   in Loop: Header=BB148_63 Depth=1
	ds_load_b32 v4, v5 offset:49392
	s_waitcnt lgkmcnt(0)
	v_add_nc_u32_e32 v8, v8, v4
	s_or_b32 exec_lo, exec_lo, s36
	s_delay_alu instid0(VALU_DEP_1)
	v_ashrrev_i32_e32 v9, 31, v8
	s_and_saveexec_b32 s36, s31
	s_cbranch_execz .LBB148_95
.LBB148_127:                            ;   in Loop: Header=BB148_63 Depth=1
	scratch_load_b128 v[11:14], off, off
	v_add3_u32 v4, v2, -1, v8
	s_delay_alu instid0(VALU_DEP_1) | instskip(SKIP_1) | instid1(VALU_DEP_2)
	v_lshlrev_b32_e32 v15, 4, v4
	v_lshl_add_u32 v4, v4, 3, 0
	v_add3_u32 v15, 0, v15, 0x4000
	ds_store_b64 v4, v[6:7]
	s_waitcnt vmcnt(0)
	ds_store_2addr_b64 v15, v[11:12], v[13:14] offset1:1
	s_or_b32 exec_lo, exec_lo, s36
	s_and_saveexec_b32 s31, vcc_lo
	s_cbranch_execz .LBB148_62
.LBB148_128:                            ;   in Loop: Header=BB148_63 Depth=1
	ds_store_b64 v5, v[8:9] offset:49400
	s_branch .LBB148_62
.LBB148_129:
	s_or_b32 exec_lo, exec_lo, s33
	s_lshl_b64 s[0:1], s[50:51], 3
	v_mov_b32_e32 v1, 0
	s_add_u32 s0, s42, s0
	s_addc_u32 s1, s43, s1
	s_mov_b32 s6, exec_lo
	s_load_b128 s[0:3], s[0:1], 0x0
	s_waitcnt lgkmcnt(0)
	s_sub_u32 s4, s2, s0
	s_subb_u32 s5, s3, s1
	s_delay_alu instid0(SALU_CYCLE_1)
	v_cmpx_gt_i64_e64 s[4:5], v[0:1]
	s_cbranch_execz .LBB148_139
; %bb.130:
	s_sub_u32 s8, s0, s46
	s_subb_u32 s9, s1, 0
	s_and_b32 s6, s4, 7
	s_sub_u32 s0, s0, s2
	s_subb_u32 s1, s1, s3
	s_mov_b32 s7, 0
	v_cmp_lt_u64_e64 s12, s[0:1], -7
	s_and_b32 s2, s4, -8
	s_cmp_lg_u64 s[6:7], 0
	s_mov_b32 s3, s5
	s_cselect_b32 s13, -1, 0
	s_mov_b32 s14, s7
	s_branch .LBB148_132
.LBB148_131:                            ;   in Loop: Header=BB148_132 Depth=1
	s_waitcnt lgkmcnt(0)
	v_lshlrev_b32_e32 v2, 3, v0
	v_add_co_u32 v0, vcc_lo, 0x400, v0
	v_add_co_ci_u32_e32 v1, vcc_lo, 0, v1, vcc_lo
	s_delay_alu instid0(VALU_DEP_3) | instskip(NEXT) | instid1(VALU_DEP_2)
	v_add3_u32 v2, v6, v2, 0x4000
	v_cmp_le_i64_e32 vcc_lo, s[4:5], v[0:1]
	ds_load_2addr_b64 v[6:9], v2 offset1:1
	v_lshlrev_b64 v[2:3], 4, v[4:5]
	s_or_b32 s14, vcc_lo, s14
	s_delay_alu instid0(VALU_DEP_1) | instskip(NEXT) | instid1(VALU_DEP_1)
	v_add_co_u32 v2, s0, s34, v2
	v_add_co_ci_u32_e64 v3, s0, s35, v3, s0
	s_waitcnt lgkmcnt(0)
	global_store_b128 v[2:3], v[6:9], off
	s_and_not1_b32 exec_lo, exec_lo, s14
	s_cbranch_execz .LBB148_139
.LBB148_132:                            ; =>This Loop Header: Depth=1
                                        ;     Child Loop BB148_134 Depth 2
                                        ;     Child Loop BB148_138 Depth 2
	v_lshl_add_u32 v6, v0, 3, 0
	v_dual_mov_b32 v4, s8 :: v_dual_mov_b32 v5, s9
	s_and_not1_b32 vcc_lo, exec_lo, s12
	s_mov_b64 s[0:1], 0
	ds_load_b64 v[2:3], v6
	s_cbranch_vccnz .LBB148_136
; %bb.133:                              ;   in Loop: Header=BB148_132 Depth=1
	v_dual_mov_b32 v4, s8 :: v_dual_mov_b32 v5, s9
	s_mov_b64 s[10:11], 0
	s_mov_b32 s1, 0
.LBB148_134:                            ;   Parent Loop BB148_132 Depth=1
                                        ; =>  This Inner Loop Header: Depth=2
	s_delay_alu instid0(SALU_CYCLE_1)
	v_mov_b32_e32 v19, s1
	s_add_u32 s10, s10, 8
	s_addc_u32 s11, s11, 0
	s_add_i32 s1, s1, 64
	s_cmp_eq_u64 s[2:3], s[10:11]
	ds_load_2addr_b64 v[7:10], v19 offset1:1
	ds_load_2addr_b64 v[11:14], v19 offset0:2 offset1:3
	ds_load_2addr_b64 v[15:18], v19 offset0:4 offset1:5
	;; [unrolled: 1-line block ×3, first 2 shown]
	s_waitcnt lgkmcnt(3)
	v_cmp_gt_i64_e32 vcc_lo, v[2:3], v[7:8]
	v_cndmask_b32_e64 v7, 0, 1, vcc_lo
	v_cmp_gt_i64_e32 vcc_lo, v[2:3], v[9:10]
	v_cndmask_b32_e64 v8, 0, 1, vcc_lo
	s_waitcnt lgkmcnt(2)
	v_cmp_gt_i64_e32 vcc_lo, v[2:3], v[11:12]
	v_cndmask_b32_e64 v9, 0, 1, vcc_lo
	v_cmp_gt_i64_e32 vcc_lo, v[2:3], v[13:14]
	v_cndmask_b32_e64 v10, 0, 1, vcc_lo
	s_waitcnt lgkmcnt(1)
	v_cmp_gt_i64_e32 vcc_lo, v[2:3], v[15:16]
	v_cndmask_b32_e64 v11, 0, 1, vcc_lo
	v_add_co_u32 v4, vcc_lo, v4, v7
	v_add_co_ci_u32_e32 v5, vcc_lo, 0, v5, vcc_lo
	v_cmp_gt_i64_e32 vcc_lo, v[2:3], v[17:18]
	s_delay_alu instid0(VALU_DEP_3) | instskip(NEXT) | instid1(VALU_DEP_1)
	v_add_co_u32 v4, s0, v4, v8
	v_add_co_ci_u32_e64 v5, s0, 0, v5, s0
	v_cndmask_b32_e64 v7, 0, 1, vcc_lo
	s_delay_alu instid0(VALU_DEP_3) | instskip(NEXT) | instid1(VALU_DEP_3)
	v_add_co_u32 v4, vcc_lo, v4, v9
	v_add_co_ci_u32_e32 v5, vcc_lo, 0, v5, vcc_lo
	s_waitcnt lgkmcnt(0)
	v_cmp_gt_i64_e32 vcc_lo, v[2:3], v[19:20]
	s_delay_alu instid0(VALU_DEP_3) | instskip(NEXT) | instid1(VALU_DEP_1)
	v_add_co_u32 v4, s0, v4, v10
	v_add_co_ci_u32_e64 v5, s0, 0, v5, s0
	v_cndmask_b32_e64 v8, 0, 1, vcc_lo
	s_delay_alu instid0(VALU_DEP_3) | instskip(NEXT) | instid1(VALU_DEP_3)
	v_add_co_u32 v4, vcc_lo, v4, v11
	v_add_co_ci_u32_e32 v5, vcc_lo, 0, v5, vcc_lo
	v_cmp_gt_i64_e32 vcc_lo, v[2:3], v[21:22]
	s_delay_alu instid0(VALU_DEP_3) | instskip(NEXT) | instid1(VALU_DEP_1)
	v_add_co_u32 v4, s0, v4, v7
	v_add_co_ci_u32_e64 v5, s0, 0, v5, s0
	v_cndmask_b32_e64 v7, 0, 1, vcc_lo
	s_delay_alu instid0(VALU_DEP_3) | instskip(NEXT) | instid1(VALU_DEP_3)
	v_add_co_u32 v4, vcc_lo, v4, v8
	v_add_co_ci_u32_e32 v5, vcc_lo, 0, v5, vcc_lo
	s_delay_alu instid0(VALU_DEP_2) | instskip(NEXT) | instid1(VALU_DEP_2)
	v_add_co_u32 v4, vcc_lo, v4, v7
	v_add_co_ci_u32_e32 v5, vcc_lo, 0, v5, vcc_lo
	s_cbranch_scc0 .LBB148_134
; %bb.135:                              ;   in Loop: Header=BB148_132 Depth=1
	s_mov_b64 s[0:1], s[2:3]
.LBB148_136:                            ;   in Loop: Header=BB148_132 Depth=1
	s_and_not1_b32 vcc_lo, exec_lo, s13
	s_cbranch_vccnz .LBB148_131
; %bb.137:                              ;   in Loop: Header=BB148_132 Depth=1
	s_lshl_b32 s0, s0, 3
	s_delay_alu instid0(SALU_CYCLE_1)
	s_add_i32 s10, s0, 0
	s_mov_b64 s[0:1], s[6:7]
.LBB148_138:                            ;   Parent Loop BB148_132 Depth=1
                                        ; =>  This Inner Loop Header: Depth=2
	v_mov_b32_e32 v7, s10
	s_add_i32 s10, s10, 8
	s_add_u32 s0, s0, -1
	s_addc_u32 s1, s1, -1
	s_delay_alu instid0(SALU_CYCLE_1) | instskip(SKIP_4) | instid1(VALU_DEP_1)
	s_cmp_lg_u64 s[0:1], 0
	ds_load_b64 v[7:8], v7
	s_waitcnt lgkmcnt(0)
	v_cmp_gt_i64_e32 vcc_lo, v[2:3], v[7:8]
	v_cndmask_b32_e64 v7, 0, 1, vcc_lo
	v_add_co_u32 v4, vcc_lo, v4, v7
	v_add_co_ci_u32_e32 v5, vcc_lo, 0, v5, vcc_lo
	s_cbranch_scc1 .LBB148_138
	s_branch .LBB148_131
.LBB148_139:
	s_nop 0
	s_sendmsg sendmsg(MSG_DEALLOC_VGPRS)
	s_endpgm
	.section	.rodata,"a",@progbits
	.p2align	6, 0x0
	.amdhsa_kernel _ZN9rocsparseL41csrgemm_numeric_fill_block_per_row_kernelILj1024ELj32ELj2048ELj137ELj32Ell21rocsparse_complex_numIdEEEvT5_PKS3_S5_NS_24const_host_device_scalarIT6_EEPKT4_S5_PKS7_SB_S5_SD_S8_SB_S5_SD_SB_S5_PS7_21rocsparse_index_base_SF_SF_SF_bbb
		.amdhsa_group_segment_fixed_size 0
		.amdhsa_private_segment_fixed_size 40
		.amdhsa_kernarg_size 172
		.amdhsa_user_sgpr_count 15
		.amdhsa_user_sgpr_dispatch_ptr 0
		.amdhsa_user_sgpr_queue_ptr 0
		.amdhsa_user_sgpr_kernarg_segment_ptr 1
		.amdhsa_user_sgpr_dispatch_id 0
		.amdhsa_user_sgpr_private_segment_size 0
		.amdhsa_wavefront_size32 1
		.amdhsa_uses_dynamic_stack 0
		.amdhsa_enable_private_segment 1
		.amdhsa_system_sgpr_workgroup_id_x 1
		.amdhsa_system_sgpr_workgroup_id_y 0
		.amdhsa_system_sgpr_workgroup_id_z 0
		.amdhsa_system_sgpr_workgroup_info 0
		.amdhsa_system_vgpr_workitem_id 0
		.amdhsa_next_free_vgpr 37
		.amdhsa_next_free_sgpr 52
		.amdhsa_reserve_vcc 1
		.amdhsa_float_round_mode_32 0
		.amdhsa_float_round_mode_16_64 0
		.amdhsa_float_denorm_mode_32 3
		.amdhsa_float_denorm_mode_16_64 3
		.amdhsa_dx10_clamp 1
		.amdhsa_ieee_mode 1
		.amdhsa_fp16_overflow 0
		.amdhsa_workgroup_processor_mode 1
		.amdhsa_memory_ordered 1
		.amdhsa_forward_progress 0
		.amdhsa_shared_vgpr_count 0
		.amdhsa_exception_fp_ieee_invalid_op 0
		.amdhsa_exception_fp_denorm_src 0
		.amdhsa_exception_fp_ieee_div_zero 0
		.amdhsa_exception_fp_ieee_overflow 0
		.amdhsa_exception_fp_ieee_underflow 0
		.amdhsa_exception_fp_ieee_inexact 0
		.amdhsa_exception_int_div_zero 0
	.end_amdhsa_kernel
	.section	.text._ZN9rocsparseL41csrgemm_numeric_fill_block_per_row_kernelILj1024ELj32ELj2048ELj137ELj32Ell21rocsparse_complex_numIdEEEvT5_PKS3_S5_NS_24const_host_device_scalarIT6_EEPKT4_S5_PKS7_SB_S5_SD_S8_SB_S5_SD_SB_S5_PS7_21rocsparse_index_base_SF_SF_SF_bbb,"axG",@progbits,_ZN9rocsparseL41csrgemm_numeric_fill_block_per_row_kernelILj1024ELj32ELj2048ELj137ELj32Ell21rocsparse_complex_numIdEEEvT5_PKS3_S5_NS_24const_host_device_scalarIT6_EEPKT4_S5_PKS7_SB_S5_SD_S8_SB_S5_SD_SB_S5_PS7_21rocsparse_index_base_SF_SF_SF_bbb,comdat
.Lfunc_end148:
	.size	_ZN9rocsparseL41csrgemm_numeric_fill_block_per_row_kernelILj1024ELj32ELj2048ELj137ELj32Ell21rocsparse_complex_numIdEEEvT5_PKS3_S5_NS_24const_host_device_scalarIT6_EEPKT4_S5_PKS7_SB_S5_SD_S8_SB_S5_SD_SB_S5_PS7_21rocsparse_index_base_SF_SF_SF_bbb, .Lfunc_end148-_ZN9rocsparseL41csrgemm_numeric_fill_block_per_row_kernelILj1024ELj32ELj2048ELj137ELj32Ell21rocsparse_complex_numIdEEEvT5_PKS3_S5_NS_24const_host_device_scalarIT6_EEPKT4_S5_PKS7_SB_S5_SD_S8_SB_S5_SD_SB_S5_PS7_21rocsparse_index_base_SF_SF_SF_bbb
                                        ; -- End function
	.section	.AMDGPU.csdata,"",@progbits
; Kernel info:
; codeLenInByte = 5232
; NumSgprs: 54
; NumVgprs: 37
; ScratchSize: 40
; MemoryBound: 0
; FloatMode: 240
; IeeeMode: 1
; LDSByteSize: 0 bytes/workgroup (compile time only)
; SGPRBlocks: 6
; VGPRBlocks: 4
; NumSGPRsForWavesPerEU: 54
; NumVGPRsForWavesPerEU: 37
; Occupancy: 16
; WaveLimiterHint : 1
; COMPUTE_PGM_RSRC2:SCRATCH_EN: 1
; COMPUTE_PGM_RSRC2:USER_SGPR: 15
; COMPUTE_PGM_RSRC2:TRAP_HANDLER: 0
; COMPUTE_PGM_RSRC2:TGID_X_EN: 1
; COMPUTE_PGM_RSRC2:TGID_Y_EN: 0
; COMPUTE_PGM_RSRC2:TGID_Z_EN: 0
; COMPUTE_PGM_RSRC2:TIDIG_COMP_CNT: 0
	.section	.text._ZN9rocsparseL41csrgemm_numeric_fill_block_per_row_kernelILj1024ELj32ELj2048ELj137ELj64Ell21rocsparse_complex_numIdEEEvT5_PKS3_S5_NS_24const_host_device_scalarIT6_EEPKT4_S5_PKS7_SB_S5_SD_S8_SB_S5_SD_SB_S5_PS7_21rocsparse_index_base_SF_SF_SF_bbb,"axG",@progbits,_ZN9rocsparseL41csrgemm_numeric_fill_block_per_row_kernelILj1024ELj32ELj2048ELj137ELj64Ell21rocsparse_complex_numIdEEEvT5_PKS3_S5_NS_24const_host_device_scalarIT6_EEPKT4_S5_PKS7_SB_S5_SD_S8_SB_S5_SD_SB_S5_PS7_21rocsparse_index_base_SF_SF_SF_bbb,comdat
	.globl	_ZN9rocsparseL41csrgemm_numeric_fill_block_per_row_kernelILj1024ELj32ELj2048ELj137ELj64Ell21rocsparse_complex_numIdEEEvT5_PKS3_S5_NS_24const_host_device_scalarIT6_EEPKT4_S5_PKS7_SB_S5_SD_S8_SB_S5_SD_SB_S5_PS7_21rocsparse_index_base_SF_SF_SF_bbb ; -- Begin function _ZN9rocsparseL41csrgemm_numeric_fill_block_per_row_kernelILj1024ELj32ELj2048ELj137ELj64Ell21rocsparse_complex_numIdEEEvT5_PKS3_S5_NS_24const_host_device_scalarIT6_EEPKT4_S5_PKS7_SB_S5_SD_S8_SB_S5_SD_SB_S5_PS7_21rocsparse_index_base_SF_SF_SF_bbb
	.p2align	8
	.type	_ZN9rocsparseL41csrgemm_numeric_fill_block_per_row_kernelILj1024ELj32ELj2048ELj137ELj64Ell21rocsparse_complex_numIdEEEvT5_PKS3_S5_NS_24const_host_device_scalarIT6_EEPKT4_S5_PKS7_SB_S5_SD_S8_SB_S5_SD_SB_S5_PS7_21rocsparse_index_base_SF_SF_SF_bbb,@function
_ZN9rocsparseL41csrgemm_numeric_fill_block_per_row_kernelILj1024ELj32ELj2048ELj137ELj64Ell21rocsparse_complex_numIdEEEvT5_PKS3_S5_NS_24const_host_device_scalarIT6_EEPKT4_S5_PKS7_SB_S5_SD_S8_SB_S5_SD_SB_S5_PS7_21rocsparse_index_base_SF_SF_SF_bbb: ; @_ZN9rocsparseL41csrgemm_numeric_fill_block_per_row_kernelILj1024ELj32ELj2048ELj137ELj64Ell21rocsparse_complex_numIdEEEvT5_PKS3_S5_NS_24const_host_device_scalarIT6_EEPKT4_S5_PKS7_SB_S5_SD_S8_SB_S5_SD_SB_S5_PS7_21rocsparse_index_base_SF_SF_SF_bbb
; %bb.0:
	s_clause 0x3
	s_load_b32 s42, s[0:1], 0xa8
	s_load_b128 s[4:7], s[0:1], 0x18
	s_load_b128 s[28:31], s[0:1], 0x58
	;; [unrolled: 1-line block ×3, first 2 shown]
	v_mov_b32_e32 v1, 0
	v_mov_b32_e32 v2, 0
	s_mov_b32 s40, s15
	s_waitcnt lgkmcnt(0)
	s_bitcmp1_b32 s42, 0
	v_mov_b32_e32 v3, s4
	s_cselect_b32 s33, -1, 0
	s_bitcmp1_b32 s42, 16
	v_dual_mov_b32 v6, v2 :: v_dual_mov_b32 v5, v1
	s_cselect_b32 s2, -1, 0
	v_mov_b32_e32 v4, s5
	s_xor_b32 s41, s2, -1
	v_dual_mov_b32 v9, s28 :: v_dual_mov_b32 v10, s29
	v_cndmask_b32_e64 v7, 0, 1, s41
	s_bitcmp0_b32 s42, 0
	s_clause 0x1
	scratch_store_b64 off, v[3:4], off offset:16
	scratch_store_b64 off, v[9:10], off offset:24
	v_cmp_ne_u32_e32 vcc_lo, 1, v7
	v_dual_mov_b32 v8, v2 :: v_dual_mov_b32 v7, v1
	s_cbranch_scc1 .LBB149_3
; %bb.1:
	s_mov_b64 s[8:9], src_private_base
	s_and_b32 s3, s2, exec_lo
	s_cselect_b32 s3, s9, s5
	s_delay_alu instid0(SALU_CYCLE_1) | instskip(SKIP_2) | instid1(VALU_DEP_2)
	v_dual_mov_b32 v3, 16 :: v_dual_mov_b32 v4, s3
	v_dual_mov_b32 v8, s7 :: v_dual_mov_b32 v7, s6
	s_and_b32 vcc_lo, exec_lo, vcc_lo
	v_cndmask_b32_e64 v3, s4, v3, s2
	flat_load_b64 v[5:6], v[3:4]
	s_cbranch_vccnz .LBB149_3
; %bb.2:
	v_dual_mov_b32 v3, s4 :: v_dual_mov_b32 v4, s5
	flat_load_b64 v[7:8], v[3:4] offset:8
.LBB149_3:
	s_clause 0x4
	s_load_b64 s[34:35], s[0:1], 0x90
	s_load_b256 s[12:19], s[0:1], 0x68
	s_load_b128 s[24:27], s[0:1], 0x48
	s_load_b128 s[36:39], s[0:1], 0x8
	s_load_b256 s[4:11], s[0:1], 0x28
	s_bitcmp1_b32 s42, 8
	v_dual_mov_b32 v4, v2 :: v_dual_mov_b32 v3, v1
	s_cselect_b32 s3, -1, 0
	s_bfe_u32 s42, s42, 0x10008
	s_delay_alu instid0(SALU_CYCLE_1)
	s_cmp_eq_u32 s42, 0
	s_cbranch_scc1 .LBB149_6
; %bb.4:
	s_mov_b64 s[42:43], src_private_base
	s_and_b32 s42, s2, exec_lo
	s_cselect_b32 s42, s43, s29
	s_delay_alu instid0(SALU_CYCLE_1) | instskip(SKIP_1) | instid1(VALU_DEP_1)
	v_dual_mov_b32 v1, 24 :: v_dual_mov_b32 v2, s42
	s_and_not1_b32 vcc_lo, exec_lo, s41
	v_cndmask_b32_e64 v1, s28, v1, s2
	flat_load_b64 v[3:4], v[1:2]
	v_dual_mov_b32 v1, s30 :: v_dual_mov_b32 v2, s31
	s_cbranch_vccnz .LBB149_6
; %bb.5:
	v_dual_mov_b32 v1, s28 :: v_dual_mov_b32 v2, s29
	flat_load_b64 v[1:2], v[1:2] offset:8
.LBB149_6:
	s_load_b64 s[28:29], s[0:1], 0x0
	s_mov_b32 s0, 0
	v_or_b32_e32 v27, 0xfffffc00, v0
	s_mov_b32 s1, s0
	s_delay_alu instid0(SALU_CYCLE_1) | instskip(SKIP_3) | instid1(VALU_DEP_2)
	v_dual_mov_b32 v10, s1 :: v_dual_lshlrev_b32 v11, 4, v0
	v_lshl_add_u32 v28, v0, 3, 0
	s_mov_b32 s30, s0
	s_mov_b32 s31, s0
	v_add3_u32 v29, v11, 0, 0x4000
	v_dual_mov_b32 v11, s30 :: v_dual_mov_b32 v16, v27
	v_dual_mov_b32 v9, s0 :: v_dual_mov_b32 v12, s31
	v_mov_b32_e32 v15, v28
	s_delay_alu instid0(VALU_DEP_4)
	v_mov_b32_e32 v17, v29
	s_waitcnt lgkmcnt(0)
	v_dual_mov_b32 v13, s28 :: v_dual_mov_b32 v14, s29
.LBB149_7:                              ; =>This Inner Loop Header: Depth=1
	v_add_co_u32 v16, s1, 0x400, v16
	s_delay_alu instid0(VALU_DEP_1)
	s_xor_b32 s1, s1, -1
	ds_store_b64 v15, v[13:14]
	ds_store_2addr_b64 v17, v[9:10], v[11:12] offset1:1
	v_add_nc_u32_e32 v17, 0x4000, v17
	v_add_nc_u32_e32 v15, 0x2000, v15
	s_and_b32 s1, exec_lo, s1
	s_delay_alu instid0(SALU_CYCLE_1) | instskip(NEXT) | instid1(SALU_CYCLE_1)
	s_or_b32 s0, s1, s0
	s_and_not1_b32 exec_lo, exec_lo, s0
	s_cbranch_execnz .LBB149_7
; %bb.8:
	s_or_b32 exec_lo, exec_lo, s0
	s_waitcnt vmcnt(0) lgkmcnt(0)
	s_waitcnt_vscnt null, 0x0
	s_barrier
	buffer_gl0_inv
	s_load_b64 s[0:1], s[36:37], 0x0
	s_mov_b32 s41, 0
	s_waitcnt lgkmcnt(0)
	s_lshl_b64 s[0:1], s[0:1], 3
	s_delay_alu instid0(SALU_CYCLE_1) | instskip(SKIP_2) | instid1(SALU_CYCLE_1)
	s_add_u32 s2, s38, s0
	s_addc_u32 s30, s39, s1
	s_lshl_b64 s[0:1], s[40:41], 3
	s_add_u32 s0, s2, s0
	s_addc_u32 s1, s30, s1
	s_and_b32 vcc_lo, exec_lo, s33
	s_load_b64 s[30:31], s[0:1], 0x0
	s_cbranch_vccz .LBB149_36
; %bb.9:
	s_waitcnt lgkmcnt(0)
	s_lshl_b64 s[0:1], s[30:31], 3
	v_lshrrev_b32_e32 v9, 5, v0
	s_add_u32 s0, s4, s0
	s_addc_u32 s1, s5, s1
	s_mov_b32 s2, exec_lo
	s_load_b128 s[36:39], s[0:1], 0x0
	v_sub_co_u32 v9, s0, v9, s20
	s_delay_alu instid0(VALU_DEP_1) | instskip(SKIP_1) | instid1(VALU_DEP_2)
	v_sub_co_ci_u32_e64 v10, null, 0, 0, s0
	s_waitcnt lgkmcnt(0)
	v_add_co_u32 v9, vcc_lo, s36, v9
	s_delay_alu instid0(VALU_DEP_2)
	v_add_co_ci_u32_e32 v10, vcc_lo, s37, v10, vcc_lo
	s_sub_u32 s0, s38, s20
	s_subb_u32 s1, s39, 0
	s_delay_alu instid0(VALU_DEP_1) | instid1(SALU_CYCLE_1)
	v_cmpx_gt_i64_e64 s[0:1], v[9:10]
	s_cbranch_execz .LBB149_35
; %bb.10:
	v_and_b32_e32 v11, 31, v0
	s_mov_b32 s5, s21
	s_delay_alu instid0(VALU_DEP_1) | instskip(NEXT) | instid1(VALU_DEP_1)
	v_sub_co_u32 v30, s4, v11, s21
	v_sub_co_ci_u32_e64 v31, null, 0, 0, s4
	s_mov_b32 s4, 0
	s_branch .LBB149_12
.LBB149_11:                             ;   in Loop: Header=BB149_12 Depth=1
	s_or_b32 exec_lo, exec_lo, s21
	v_add_co_u32 v9, vcc_lo, v9, 32
	v_add_co_ci_u32_e32 v10, vcc_lo, 0, v10, vcc_lo
	s_delay_alu instid0(VALU_DEP_1) | instskip(SKIP_1) | instid1(SALU_CYCLE_1)
	v_cmp_le_i64_e32 vcc_lo, s[0:1], v[9:10]
	s_or_b32 s4, vcc_lo, s4
	s_and_not1_b32 exec_lo, exec_lo, s4
	s_cbranch_execz .LBB149_35
.LBB149_12:                             ; =>This Loop Header: Depth=1
                                        ;     Child Loop BB149_15 Depth 2
                                        ;       Child Loop BB149_17 Depth 3
                                        ;         Child Loop BB149_23 Depth 4
                                        ;         Child Loop BB149_25 Depth 4
	;; [unrolled: 1-line block ×4, first 2 shown]
	v_lshlrev_b64 v[11:12], 3, v[9:10]
	s_mov_b32 s21, exec_lo
	s_delay_alu instid0(VALU_DEP_1) | instskip(NEXT) | instid1(VALU_DEP_2)
	v_add_co_u32 v11, vcc_lo, s6, v11
	v_add_co_ci_u32_e32 v12, vcc_lo, s7, v12, vcc_lo
	global_load_b64 v[11:12], v[11:12], off
	s_waitcnt vmcnt(0)
	v_sub_co_u32 v11, vcc_lo, v11, s20
	v_subrev_co_ci_u32_e32 v12, vcc_lo, 0, v12, vcc_lo
	s_delay_alu instid0(VALU_DEP_1) | instskip(NEXT) | instid1(VALU_DEP_1)
	v_lshlrev_b64 v[11:12], 3, v[11:12]
	v_add_co_u32 v11, vcc_lo, s10, v11
	s_delay_alu instid0(VALU_DEP_2)
	v_add_co_ci_u32_e32 v12, vcc_lo, s11, v12, vcc_lo
	global_load_b128 v[13:16], v[11:12], off
	s_waitcnt vmcnt(0)
	v_sub_co_u32 v11, vcc_lo, v15, s5
	v_subrev_co_ci_u32_e32 v12, vcc_lo, 0, v16, vcc_lo
	v_add_co_u32 v13, vcc_lo, v13, v30
	v_add_co_ci_u32_e32 v14, vcc_lo, v14, v31, vcc_lo
	s_delay_alu instid0(VALU_DEP_1)
	v_cmpx_lt_i64_e64 v[13:14], v[11:12]
	s_cbranch_execz .LBB149_11
; %bb.13:                               ;   in Loop: Header=BB149_12 Depth=1
	v_lshlrev_b64 v[15:16], 4, v[9:10]
	s_mov_b32 s33, 0
	s_delay_alu instid0(VALU_DEP_1) | instskip(NEXT) | instid1(VALU_DEP_2)
	v_add_co_u32 v15, vcc_lo, s8, v15
	v_add_co_ci_u32_e32 v16, vcc_lo, s9, v16, vcc_lo
	global_load_b128 v[17:20], v[15:16], off
	s_waitcnt vmcnt(0)
	v_mul_f64 v[15:16], v[19:20], -v[7:8]
	v_mul_f64 v[19:20], v[5:6], v[19:20]
	s_delay_alu instid0(VALU_DEP_2) | instskip(NEXT) | instid1(VALU_DEP_2)
	v_fma_f64 v[15:16], v[5:6], v[17:18], v[15:16]
	v_fma_f64 v[17:18], v[7:8], v[17:18], v[19:20]
	s_branch .LBB149_15
.LBB149_14:                             ;   in Loop: Header=BB149_15 Depth=2
	s_or_b32 exec_lo, exec_lo, s36
	v_add_co_u32 v13, vcc_lo, v13, 32
	v_add_co_ci_u32_e32 v14, vcc_lo, 0, v14, vcc_lo
	s_delay_alu instid0(VALU_DEP_1) | instskip(SKIP_1) | instid1(SALU_CYCLE_1)
	v_cmp_ge_i64_e32 vcc_lo, v[13:14], v[11:12]
	s_or_b32 s33, vcc_lo, s33
	s_and_not1_b32 exec_lo, exec_lo, s33
	s_cbranch_execz .LBB149_11
.LBB149_15:                             ;   Parent Loop BB149_12 Depth=1
                                        ; =>  This Loop Header: Depth=2
                                        ;       Child Loop BB149_17 Depth 3
                                        ;         Child Loop BB149_23 Depth 4
                                        ;         Child Loop BB149_25 Depth 4
	;; [unrolled: 1-line block ×4, first 2 shown]
	v_lshlrev_b64 v[19:20], 4, v[13:14]
	s_mov_b32 s36, 0
	s_delay_alu instid0(VALU_DEP_1) | instskip(NEXT) | instid1(VALU_DEP_2)
	v_add_co_u32 v19, vcc_lo, s26, v19
	v_add_co_ci_u32_e32 v20, vcc_lo, s27, v20, vcc_lo
	global_load_b128 v[21:24], v[19:20], off
	v_lshlrev_b64 v[19:20], 3, v[13:14]
	s_delay_alu instid0(VALU_DEP_1) | instskip(NEXT) | instid1(VALU_DEP_2)
	v_add_co_u32 v19, vcc_lo, s24, v19
	v_add_co_ci_u32_e32 v20, vcc_lo, s25, v20, vcc_lo
	global_load_b64 v[25:26], v[19:20], off
	s_waitcnt vmcnt(1)
	v_mul_f64 v[19:20], v[23:24], -v[17:18]
	v_mul_f64 v[23:24], v[15:16], v[23:24]
	s_delay_alu instid0(VALU_DEP_2) | instskip(NEXT) | instid1(VALU_DEP_2)
	v_fma_f64 v[19:20], v[15:16], v[21:22], v[19:20]
	v_fma_f64 v[21:22], v[17:18], v[21:22], v[23:24]
	s_waitcnt vmcnt(0)
	v_sub_co_u32 v23, vcc_lo, v25, s5
	v_subrev_co_ci_u32_e32 v24, vcc_lo, 0, v26, vcc_lo
	s_delay_alu instid0(VALU_DEP_2) | instskip(NEXT) | instid1(VALU_DEP_1)
	v_mul_lo_u32 v25, 0x89, v23
	v_and_b32_e32 v32, 0x7ff, v25
	s_branch .LBB149_17
.LBB149_16:                             ;   in Loop: Header=BB149_17 Depth=3
	s_or_b32 exec_lo, exec_lo, s37
	s_xor_b32 s37, s38, -1
	s_delay_alu instid0(SALU_CYCLE_1) | instskip(NEXT) | instid1(SALU_CYCLE_1)
	s_and_b32 s37, exec_lo, s37
	s_or_b32 s36, s37, s36
	s_delay_alu instid0(SALU_CYCLE_1)
	s_and_not1_b32 exec_lo, exec_lo, s36
	s_cbranch_execz .LBB149_14
.LBB149_17:                             ;   Parent Loop BB149_12 Depth=1
                                        ;     Parent Loop BB149_15 Depth=2
                                        ; =>    This Loop Header: Depth=3
                                        ;         Child Loop BB149_23 Depth 4
                                        ;         Child Loop BB149_25 Depth 4
	;; [unrolled: 1-line block ×4, first 2 shown]
	s_delay_alu instid0(VALU_DEP_1)
	v_lshl_add_u32 v33, v32, 3, 0
	s_mov_b32 s37, exec_lo
                                        ; implicit-def: $sgpr38
	ds_load_b64 v[25:26], v33
	s_waitcnt lgkmcnt(0)
	v_cmpx_ne_u64_e64 v[25:26], v[23:24]
	s_xor_b32 s37, exec_lo, s37
	s_cbranch_execz .LBB149_29
; %bb.18:                               ;   in Loop: Header=BB149_17 Depth=3
	s_mov_b32 s39, exec_lo
                                        ; implicit-def: $sgpr38
	v_cmpx_ne_u64_e64 s[28:29], v[25:26]
	s_xor_b32 s39, exec_lo, s39
; %bb.19:                               ;   in Loop: Header=BB149_17 Depth=3
	v_add_nc_u32_e32 v25, 1, v32
	s_mov_b32 s38, -1
                                        ; implicit-def: $vgpr33
	s_delay_alu instid0(VALU_DEP_1)
	v_and_b32_e32 v32, 0x7ff, v25
; %bb.20:                               ;   in Loop: Header=BB149_17 Depth=3
	s_and_not1_saveexec_b32 s39, s39
	s_cbranch_execz .LBB149_28
; %bb.21:                               ;   in Loop: Header=BB149_17 Depth=3
	v_dual_mov_b32 v25, s28 :: v_dual_mov_b32 v26, s29
	s_mov_b32 s41, -1
	s_mov_b32 s40, exec_lo
	ds_cmpstore_rtn_b64 v[25:26], v33, v[23:24], v[25:26]
	s_waitcnt lgkmcnt(0)
	v_cmpx_eq_u64_e64 s[28:29], v[25:26]
	s_cbranch_execz .LBB149_27
; %bb.22:                               ;   in Loop: Header=BB149_17 Depth=3
	v_lshlrev_b32_e32 v25, 3, v32
	s_mov_b32 s41, 0
	s_delay_alu instid0(VALU_DEP_1)
	v_add_nc_u32_e32 v33, v33, v25
	ds_load_b64 v[25:26], v33 offset:16384
.LBB149_23:                             ;   Parent Loop BB149_12 Depth=1
                                        ;     Parent Loop BB149_15 Depth=2
                                        ;       Parent Loop BB149_17 Depth=3
                                        ; =>      This Inner Loop Header: Depth=4
	s_waitcnt lgkmcnt(0)
	v_add_f64 v[34:35], v[25:26], v[19:20]
	ds_cmpstore_rtn_b64 v[34:35], v33, v[34:35], v[25:26] offset:16384
	s_waitcnt lgkmcnt(0)
	v_cmp_eq_u64_e32 vcc_lo, v[34:35], v[25:26]
	v_dual_mov_b32 v25, v34 :: v_dual_mov_b32 v26, v35
	s_or_b32 s41, vcc_lo, s41
	s_delay_alu instid0(SALU_CYCLE_1)
	s_and_not1_b32 exec_lo, exec_lo, s41
	s_cbranch_execnz .LBB149_23
; %bb.24:                               ;   in Loop: Header=BB149_17 Depth=3
	s_or_b32 exec_lo, exec_lo, s41
	ds_load_b64 v[25:26], v33 offset:16392
	s_mov_b32 s41, 0
.LBB149_25:                             ;   Parent Loop BB149_12 Depth=1
                                        ;     Parent Loop BB149_15 Depth=2
                                        ;       Parent Loop BB149_17 Depth=3
                                        ; =>      This Inner Loop Header: Depth=4
	s_waitcnt lgkmcnt(0)
	v_add_f64 v[34:35], v[25:26], v[21:22]
	ds_cmpstore_rtn_b64 v[34:35], v33, v[34:35], v[25:26] offset:16392
	s_waitcnt lgkmcnt(0)
	v_cmp_eq_u64_e32 vcc_lo, v[34:35], v[25:26]
	v_dual_mov_b32 v25, v34 :: v_dual_mov_b32 v26, v35
	s_or_b32 s41, vcc_lo, s41
	s_delay_alu instid0(SALU_CYCLE_1)
	s_and_not1_b32 exec_lo, exec_lo, s41
	s_cbranch_execnz .LBB149_25
; %bb.26:                               ;   in Loop: Header=BB149_17 Depth=3
	s_or_b32 exec_lo, exec_lo, s41
	s_delay_alu instid0(SALU_CYCLE_1)
	s_xor_b32 s41, exec_lo, -1
.LBB149_27:                             ;   in Loop: Header=BB149_17 Depth=3
	s_or_b32 exec_lo, exec_lo, s40
	s_delay_alu instid0(SALU_CYCLE_1) | instskip(SKIP_1) | instid1(SALU_CYCLE_1)
	s_and_not1_b32 s38, s38, exec_lo
	s_and_b32 s40, s41, exec_lo
	s_or_b32 s38, s38, s40
.LBB149_28:                             ;   in Loop: Header=BB149_17 Depth=3
	s_or_b32 exec_lo, exec_lo, s39
	s_delay_alu instid0(SALU_CYCLE_1)
	s_and_b32 s38, s38, exec_lo
                                        ; implicit-def: $vgpr33
.LBB149_29:                             ;   in Loop: Header=BB149_17 Depth=3
	s_and_not1_saveexec_b32 s37, s37
	s_cbranch_execz .LBB149_16
; %bb.30:                               ;   in Loop: Header=BB149_17 Depth=3
	v_lshlrev_b32_e32 v25, 3, v32
	s_mov_b32 s39, 0
	s_delay_alu instid0(VALU_DEP_1)
	v_add_nc_u32_e32 v33, v33, v25
	ds_load_b64 v[25:26], v33 offset:16384
.LBB149_31:                             ;   Parent Loop BB149_12 Depth=1
                                        ;     Parent Loop BB149_15 Depth=2
                                        ;       Parent Loop BB149_17 Depth=3
                                        ; =>      This Inner Loop Header: Depth=4
	s_waitcnt lgkmcnt(0)
	v_add_f64 v[34:35], v[25:26], v[19:20]
	ds_cmpstore_rtn_b64 v[34:35], v33, v[34:35], v[25:26] offset:16384
	s_waitcnt lgkmcnt(0)
	v_cmp_eq_u64_e32 vcc_lo, v[34:35], v[25:26]
	v_dual_mov_b32 v25, v34 :: v_dual_mov_b32 v26, v35
	s_or_b32 s39, vcc_lo, s39
	s_delay_alu instid0(SALU_CYCLE_1)
	s_and_not1_b32 exec_lo, exec_lo, s39
	s_cbranch_execnz .LBB149_31
; %bb.32:                               ;   in Loop: Header=BB149_17 Depth=3
	s_or_b32 exec_lo, exec_lo, s39
	ds_load_b64 v[25:26], v33 offset:16392
	s_mov_b32 s39, 0
.LBB149_33:                             ;   Parent Loop BB149_12 Depth=1
                                        ;     Parent Loop BB149_15 Depth=2
                                        ;       Parent Loop BB149_17 Depth=3
                                        ; =>      This Inner Loop Header: Depth=4
	s_waitcnt lgkmcnt(0)
	v_add_f64 v[34:35], v[25:26], v[21:22]
	ds_cmpstore_rtn_b64 v[34:35], v33, v[34:35], v[25:26] offset:16392
	s_waitcnt lgkmcnt(0)
	v_cmp_eq_u64_e32 vcc_lo, v[34:35], v[25:26]
	v_dual_mov_b32 v25, v34 :: v_dual_mov_b32 v26, v35
	s_or_b32 s39, vcc_lo, s39
	s_delay_alu instid0(SALU_CYCLE_1)
	s_and_not1_b32 exec_lo, exec_lo, s39
	s_cbranch_execnz .LBB149_33
; %bb.34:                               ;   in Loop: Header=BB149_17 Depth=3
	s_or_b32 exec_lo, exec_lo, s39
	s_delay_alu instid0(SALU_CYCLE_1)
	s_and_not1_b32 s38, s38, exec_lo
	s_branch .LBB149_16
.LBB149_35:
	s_or_b32 exec_lo, exec_lo, s2
.LBB149_36:
	s_delay_alu instid0(SALU_CYCLE_1)
	s_and_not1_b32 vcc_lo, exec_lo, s3
	s_cbranch_vccnz .LBB149_61
; %bb.37:
	s_waitcnt lgkmcnt(0)
	s_lshl_b64 s[0:1], s[30:31], 3
	v_sub_co_u32 v5, s4, v0, s23
	s_add_u32 s0, s12, s0
	s_addc_u32 s1, s13, s1
	v_sub_co_ci_u32_e64 v6, null, 0, 0, s4
	s_load_b128 s[0:3], s[0:1], 0x0
	s_waitcnt lgkmcnt(0)
	v_add_co_u32 v5, vcc_lo, s0, v5
	s_delay_alu instid0(VALU_DEP_2)
	v_add_co_ci_u32_e32 v6, vcc_lo, s1, v6, vcc_lo
	s_sub_u32 s0, s2, s23
	s_subb_u32 s1, s3, 0
	s_mov_b32 s2, 0
	s_mov_b32 s3, exec_lo
	v_cmpx_gt_i64_e64 s[0:1], v[5:6]
	s_cbranch_execz .LBB149_60
; %bb.38:
	s_mov_b32 s4, s23
	s_branch .LBB149_40
.LBB149_39:                             ;   in Loop: Header=BB149_40 Depth=1
	s_or_b32 exec_lo, exec_lo, s5
	v_add_co_u32 v5, vcc_lo, 0x400, v5
	v_add_co_ci_u32_e32 v6, vcc_lo, 0, v6, vcc_lo
	s_delay_alu instid0(VALU_DEP_1) | instskip(SKIP_1) | instid1(SALU_CYCLE_1)
	v_cmp_le_i64_e32 vcc_lo, s[0:1], v[5:6]
	s_or_b32 s2, vcc_lo, s2
	s_and_not1_b32 exec_lo, exec_lo, s2
	s_cbranch_execz .LBB149_60
.LBB149_40:                             ; =>This Loop Header: Depth=1
                                        ;     Child Loop BB149_42 Depth 2
                                        ;       Child Loop BB149_48 Depth 3
                                        ;       Child Loop BB149_50 Depth 3
                                        ;       Child Loop BB149_56 Depth 3
                                        ;       Child Loop BB149_58 Depth 3
	v_lshlrev_b64 v[7:8], 4, v[5:6]
	s_mov_b32 s5, 0
	s_delay_alu instid0(VALU_DEP_1) | instskip(NEXT) | instid1(VALU_DEP_2)
	v_add_co_u32 v7, vcc_lo, s16, v7
	v_add_co_ci_u32_e32 v8, vcc_lo, s17, v8, vcc_lo
	global_load_b128 v[9:12], v[7:8], off
	v_lshlrev_b64 v[7:8], 3, v[5:6]
	s_delay_alu instid0(VALU_DEP_1) | instskip(NEXT) | instid1(VALU_DEP_2)
	v_add_co_u32 v7, vcc_lo, s14, v7
	v_add_co_ci_u32_e32 v8, vcc_lo, s15, v8, vcc_lo
	global_load_b64 v[13:14], v[7:8], off
	s_waitcnt vmcnt(1)
	v_mul_f64 v[7:8], v[11:12], -v[1:2]
	v_mul_f64 v[11:12], v[3:4], v[11:12]
	s_delay_alu instid0(VALU_DEP_2) | instskip(NEXT) | instid1(VALU_DEP_2)
	v_fma_f64 v[7:8], v[3:4], v[9:10], v[7:8]
	v_fma_f64 v[9:10], v[1:2], v[9:10], v[11:12]
	s_waitcnt vmcnt(0)
	v_sub_co_u32 v11, vcc_lo, v13, s4
	v_subrev_co_ci_u32_e32 v12, vcc_lo, 0, v14, vcc_lo
	s_delay_alu instid0(VALU_DEP_2) | instskip(NEXT) | instid1(VALU_DEP_1)
	v_mul_lo_u32 v13, 0x89, v11
	v_and_b32_e32 v15, 0x7ff, v13
	s_branch .LBB149_42
.LBB149_41:                             ;   in Loop: Header=BB149_42 Depth=2
	s_or_b32 exec_lo, exec_lo, s6
	s_xor_b32 s6, s7, -1
	s_delay_alu instid0(SALU_CYCLE_1) | instskip(NEXT) | instid1(SALU_CYCLE_1)
	s_and_b32 s6, exec_lo, s6
	s_or_b32 s5, s6, s5
	s_delay_alu instid0(SALU_CYCLE_1)
	s_and_not1_b32 exec_lo, exec_lo, s5
	s_cbranch_execz .LBB149_39
.LBB149_42:                             ;   Parent Loop BB149_40 Depth=1
                                        ; =>  This Loop Header: Depth=2
                                        ;       Child Loop BB149_48 Depth 3
                                        ;       Child Loop BB149_50 Depth 3
	;; [unrolled: 1-line block ×4, first 2 shown]
	s_delay_alu instid0(VALU_DEP_1)
	v_lshl_add_u32 v16, v15, 3, 0
	s_mov_b32 s6, exec_lo
                                        ; implicit-def: $sgpr7
	ds_load_b64 v[13:14], v16
	s_waitcnt lgkmcnt(0)
	v_cmpx_ne_u64_e64 v[13:14], v[11:12]
	s_xor_b32 s6, exec_lo, s6
	s_cbranch_execz .LBB149_54
; %bb.43:                               ;   in Loop: Header=BB149_42 Depth=2
	s_mov_b32 s8, exec_lo
                                        ; implicit-def: $sgpr7
	v_cmpx_ne_u64_e64 s[28:29], v[13:14]
	s_xor_b32 s8, exec_lo, s8
; %bb.44:                               ;   in Loop: Header=BB149_42 Depth=2
	v_add_nc_u32_e32 v13, 1, v15
	s_mov_b32 s7, -1
                                        ; implicit-def: $vgpr16
	s_delay_alu instid0(VALU_DEP_1)
	v_and_b32_e32 v15, 0x7ff, v13
; %bb.45:                               ;   in Loop: Header=BB149_42 Depth=2
	s_and_not1_saveexec_b32 s8, s8
	s_cbranch_execz .LBB149_53
; %bb.46:                               ;   in Loop: Header=BB149_42 Depth=2
	v_dual_mov_b32 v13, s28 :: v_dual_mov_b32 v14, s29
	s_mov_b32 s10, -1
	s_mov_b32 s9, exec_lo
	ds_cmpstore_rtn_b64 v[13:14], v16, v[11:12], v[13:14]
	s_waitcnt lgkmcnt(0)
	v_cmpx_eq_u64_e64 s[28:29], v[13:14]
	s_cbranch_execz .LBB149_52
; %bb.47:                               ;   in Loop: Header=BB149_42 Depth=2
	v_lshlrev_b32_e32 v13, 3, v15
	s_mov_b32 s10, 0
	s_delay_alu instid0(VALU_DEP_1)
	v_add_nc_u32_e32 v16, v16, v13
	ds_load_b64 v[13:14], v16 offset:16384
.LBB149_48:                             ;   Parent Loop BB149_40 Depth=1
                                        ;     Parent Loop BB149_42 Depth=2
                                        ; =>    This Inner Loop Header: Depth=3
	s_waitcnt lgkmcnt(0)
	v_add_f64 v[17:18], v[13:14], v[7:8]
	ds_cmpstore_rtn_b64 v[17:18], v16, v[17:18], v[13:14] offset:16384
	s_waitcnt lgkmcnt(0)
	v_cmp_eq_u64_e32 vcc_lo, v[17:18], v[13:14]
	v_dual_mov_b32 v13, v17 :: v_dual_mov_b32 v14, v18
	s_or_b32 s10, vcc_lo, s10
	s_delay_alu instid0(SALU_CYCLE_1)
	s_and_not1_b32 exec_lo, exec_lo, s10
	s_cbranch_execnz .LBB149_48
; %bb.49:                               ;   in Loop: Header=BB149_42 Depth=2
	s_or_b32 exec_lo, exec_lo, s10
	ds_load_b64 v[13:14], v16 offset:16392
	s_mov_b32 s10, 0
.LBB149_50:                             ;   Parent Loop BB149_40 Depth=1
                                        ;     Parent Loop BB149_42 Depth=2
                                        ; =>    This Inner Loop Header: Depth=3
	s_waitcnt lgkmcnt(0)
	v_add_f64 v[17:18], v[13:14], v[9:10]
	ds_cmpstore_rtn_b64 v[17:18], v16, v[17:18], v[13:14] offset:16392
	s_waitcnt lgkmcnt(0)
	v_cmp_eq_u64_e32 vcc_lo, v[17:18], v[13:14]
	v_dual_mov_b32 v13, v17 :: v_dual_mov_b32 v14, v18
	s_or_b32 s10, vcc_lo, s10
	s_delay_alu instid0(SALU_CYCLE_1)
	s_and_not1_b32 exec_lo, exec_lo, s10
	s_cbranch_execnz .LBB149_50
; %bb.51:                               ;   in Loop: Header=BB149_42 Depth=2
	s_or_b32 exec_lo, exec_lo, s10
	s_delay_alu instid0(SALU_CYCLE_1)
	s_xor_b32 s10, exec_lo, -1
.LBB149_52:                             ;   in Loop: Header=BB149_42 Depth=2
	s_or_b32 exec_lo, exec_lo, s9
	s_delay_alu instid0(SALU_CYCLE_1) | instskip(SKIP_1) | instid1(SALU_CYCLE_1)
	s_and_not1_b32 s7, s7, exec_lo
	s_and_b32 s9, s10, exec_lo
	s_or_b32 s7, s7, s9
.LBB149_53:                             ;   in Loop: Header=BB149_42 Depth=2
	s_or_b32 exec_lo, exec_lo, s8
	s_delay_alu instid0(SALU_CYCLE_1)
	s_and_b32 s7, s7, exec_lo
                                        ; implicit-def: $vgpr16
.LBB149_54:                             ;   in Loop: Header=BB149_42 Depth=2
	s_and_not1_saveexec_b32 s6, s6
	s_cbranch_execz .LBB149_41
; %bb.55:                               ;   in Loop: Header=BB149_42 Depth=2
	v_lshlrev_b32_e32 v13, 3, v15
	s_mov_b32 s8, 0
	s_delay_alu instid0(VALU_DEP_1)
	v_add_nc_u32_e32 v16, v16, v13
	ds_load_b64 v[13:14], v16 offset:16384
.LBB149_56:                             ;   Parent Loop BB149_40 Depth=1
                                        ;     Parent Loop BB149_42 Depth=2
                                        ; =>    This Inner Loop Header: Depth=3
	s_waitcnt lgkmcnt(0)
	v_add_f64 v[17:18], v[13:14], v[7:8]
	ds_cmpstore_rtn_b64 v[17:18], v16, v[17:18], v[13:14] offset:16384
	s_waitcnt lgkmcnt(0)
	v_cmp_eq_u64_e32 vcc_lo, v[17:18], v[13:14]
	v_dual_mov_b32 v13, v17 :: v_dual_mov_b32 v14, v18
	s_or_b32 s8, vcc_lo, s8
	s_delay_alu instid0(SALU_CYCLE_1)
	s_and_not1_b32 exec_lo, exec_lo, s8
	s_cbranch_execnz .LBB149_56
; %bb.57:                               ;   in Loop: Header=BB149_42 Depth=2
	s_or_b32 exec_lo, exec_lo, s8
	ds_load_b64 v[13:14], v16 offset:16392
	s_mov_b32 s8, 0
.LBB149_58:                             ;   Parent Loop BB149_40 Depth=1
                                        ;     Parent Loop BB149_42 Depth=2
                                        ; =>    This Inner Loop Header: Depth=3
	s_waitcnt lgkmcnt(0)
	v_add_f64 v[17:18], v[13:14], v[9:10]
	ds_cmpstore_rtn_b64 v[17:18], v16, v[17:18], v[13:14] offset:16392
	s_waitcnt lgkmcnt(0)
	v_cmp_eq_u64_e32 vcc_lo, v[17:18], v[13:14]
	v_dual_mov_b32 v13, v17 :: v_dual_mov_b32 v14, v18
	s_or_b32 s8, vcc_lo, s8
	s_delay_alu instid0(SALU_CYCLE_1)
	s_and_not1_b32 exec_lo, exec_lo, s8
	s_cbranch_execnz .LBB149_58
; %bb.59:                               ;   in Loop: Header=BB149_42 Depth=2
	s_or_b32 exec_lo, exec_lo, s8
	s_delay_alu instid0(SALU_CYCLE_1)
	s_and_not1_b32 s7, s7, exec_lo
	s_branch .LBB149_41
.LBB149_60:
	s_or_b32 exec_lo, exec_lo, s3
.LBB149_61:
	v_mbcnt_lo_u32_b32 v1, -1, 0
	v_lshrrev_b32_e32 v2, 3, v0
	v_cmp_eq_u32_e32 vcc_lo, 0x3ff, v0
	v_cmp_lt_u32_e64 s0, 63, v0
	v_cmp_lt_u32_e64 s1, 0x7f, v0
	v_xor_b32_e32 v1, 63, v1
	v_and_b32_e32 v3, 0x78, v2
	v_cmp_lt_u32_e64 s2, 0xbf, v0
	v_cmp_lt_u32_e64 s3, 0xff, v0
	;; [unrolled: 1-line block ×3, first 2 shown]
	v_lshrrev_b64 v[1:2], v1, -1
	v_add_nc_u32_e32 v10, 0, v3
	v_dual_mov_b32 v2, 0 :: v_dual_mov_b32 v5, 0
	v_cmp_lt_u32_e64 s5, 0x17f, v0
	v_cmp_lt_u32_e64 s6, 0x1bf, v0
	;; [unrolled: 1-line block ×10, first 2 shown]
	v_mov_b32_e32 v3, 0
	s_mov_b32 s16, 0
	s_waitcnt lgkmcnt(0)
	s_barrier
	buffer_gl0_inv
	s_branch .LBB149_63
.LBB149_62:                             ;   in Loop: Header=BB149_63 Depth=1
	s_or_b32 exec_lo, exec_lo, s15
	s_waitcnt lgkmcnt(0)
	s_barrier
	buffer_gl0_inv
	ds_load_b64 v[6:7], v5 offset:49272
	v_add_co_u32 v27, s15, 0x400, v27
	s_delay_alu instid0(VALU_DEP_1) | instskip(SKIP_4) | instid1(VALU_DEP_1)
	s_xor_b32 s17, s15, -1
	v_add_nc_u32_e32 v29, 0x4000, v29
	v_add_nc_u32_e32 v28, 0x2000, v28
	s_waitcnt lgkmcnt(0)
	v_add_co_u32 v2, s15, v6, v2
	v_add_co_ci_u32_e64 v3, s15, v7, v3, s15
	s_and_b32 s15, exec_lo, s17
	s_delay_alu instid0(SALU_CYCLE_1) | instskip(NEXT) | instid1(SALU_CYCLE_1)
	s_or_b32 s16, s15, s16
	s_and_not1_b32 exec_lo, exec_lo, s16
	s_cbranch_execz .LBB149_97
.LBB149_63:                             ; =>This Inner Loop Header: Depth=1
	ds_load_b64 v[6:7], v28
	ds_load_2addr_b64 v[11:14], v29 offset1:1
	s_waitcnt lgkmcnt(1)
	v_cmp_gt_i64_e64 s15, s[28:29], v[6:7]
	s_waitcnt lgkmcnt(0)
	scratch_store_b128 off, v[11:14], off
	s_waitcnt_vscnt null, 0x0
	s_barrier
	buffer_gl0_inv
	v_and_b32_e32 v8, s15, v1
	s_bcnt1_i32_b32 s17, s15
	s_delay_alu instid0(SALU_CYCLE_1) | instskip(NEXT) | instid1(VALU_DEP_2)
	v_mov_b32_e32 v4, s17
	v_bcnt_u32_b32 v8, v8, 0
	ds_store_b64 v10, v[4:5] offset:49152
	s_waitcnt lgkmcnt(0)
	s_barrier
	buffer_gl0_inv
	s_and_saveexec_b32 s17, s0
	s_cbranch_execnz .LBB149_80
; %bb.64:                               ;   in Loop: Header=BB149_63 Depth=1
	s_or_b32 exec_lo, exec_lo, s17
	s_and_saveexec_b32 s17, s1
	s_cbranch_execnz .LBB149_81
.LBB149_65:                             ;   in Loop: Header=BB149_63 Depth=1
	s_or_b32 exec_lo, exec_lo, s17
	s_and_saveexec_b32 s17, s2
	s_cbranch_execnz .LBB149_82
.LBB149_66:                             ;   in Loop: Header=BB149_63 Depth=1
	s_or_b32 exec_lo, exec_lo, s17
	s_and_saveexec_b32 s17, s3
	s_cbranch_execnz .LBB149_83
.LBB149_67:                             ;   in Loop: Header=BB149_63 Depth=1
	s_or_b32 exec_lo, exec_lo, s17
	s_and_saveexec_b32 s17, s4
	s_cbranch_execnz .LBB149_84
.LBB149_68:                             ;   in Loop: Header=BB149_63 Depth=1
	s_or_b32 exec_lo, exec_lo, s17
	s_and_saveexec_b32 s17, s5
	s_cbranch_execnz .LBB149_85
.LBB149_69:                             ;   in Loop: Header=BB149_63 Depth=1
	s_or_b32 exec_lo, exec_lo, s17
	s_and_saveexec_b32 s17, s6
	s_cbranch_execnz .LBB149_86
.LBB149_70:                             ;   in Loop: Header=BB149_63 Depth=1
	s_or_b32 exec_lo, exec_lo, s17
	s_and_saveexec_b32 s17, s7
	s_cbranch_execnz .LBB149_87
.LBB149_71:                             ;   in Loop: Header=BB149_63 Depth=1
	s_or_b32 exec_lo, exec_lo, s17
	s_and_saveexec_b32 s17, s8
	s_cbranch_execnz .LBB149_88
.LBB149_72:                             ;   in Loop: Header=BB149_63 Depth=1
	s_or_b32 exec_lo, exec_lo, s17
	s_and_saveexec_b32 s17, s9
	s_cbranch_execnz .LBB149_89
.LBB149_73:                             ;   in Loop: Header=BB149_63 Depth=1
	s_or_b32 exec_lo, exec_lo, s17
	s_and_saveexec_b32 s17, s10
	s_cbranch_execnz .LBB149_90
.LBB149_74:                             ;   in Loop: Header=BB149_63 Depth=1
	s_or_b32 exec_lo, exec_lo, s17
	s_and_saveexec_b32 s17, s11
	s_cbranch_execnz .LBB149_91
.LBB149_75:                             ;   in Loop: Header=BB149_63 Depth=1
	s_or_b32 exec_lo, exec_lo, s17
	s_and_saveexec_b32 s17, s12
	s_cbranch_execnz .LBB149_92
.LBB149_76:                             ;   in Loop: Header=BB149_63 Depth=1
	s_or_b32 exec_lo, exec_lo, s17
	s_and_saveexec_b32 s17, s13
	s_cbranch_execnz .LBB149_93
.LBB149_77:                             ;   in Loop: Header=BB149_63 Depth=1
	s_or_b32 exec_lo, exec_lo, s17
	s_and_saveexec_b32 s17, s14
	s_cbranch_execnz .LBB149_94
.LBB149_78:                             ;   in Loop: Header=BB149_63 Depth=1
	s_or_b32 exec_lo, exec_lo, s17
	v_ashrrev_i32_e32 v9, 31, v8
	s_and_saveexec_b32 s17, s15
	s_cbranch_execnz .LBB149_95
.LBB149_79:                             ;   in Loop: Header=BB149_63 Depth=1
	s_or_b32 exec_lo, exec_lo, s17
	s_and_saveexec_b32 s15, vcc_lo
	s_cbranch_execz .LBB149_62
	s_branch .LBB149_96
.LBB149_80:                             ;   in Loop: Header=BB149_63 Depth=1
	ds_load_b32 v4, v5 offset:49152
	s_waitcnt lgkmcnt(0)
	v_add_nc_u32_e32 v8, v4, v8
	s_or_b32 exec_lo, exec_lo, s17
	s_and_saveexec_b32 s17, s1
	s_cbranch_execz .LBB149_65
.LBB149_81:                             ;   in Loop: Header=BB149_63 Depth=1
	ds_load_b32 v4, v5 offset:49160
	s_waitcnt lgkmcnt(0)
	v_add_nc_u32_e32 v8, v8, v4
	s_or_b32 exec_lo, exec_lo, s17
	s_and_saveexec_b32 s17, s2
	s_cbranch_execz .LBB149_66
.LBB149_82:                             ;   in Loop: Header=BB149_63 Depth=1
	ds_load_b32 v4, v5 offset:49168
	s_waitcnt lgkmcnt(0)
	v_add_nc_u32_e32 v8, v8, v4
	s_or_b32 exec_lo, exec_lo, s17
	s_and_saveexec_b32 s17, s3
	s_cbranch_execz .LBB149_67
.LBB149_83:                             ;   in Loop: Header=BB149_63 Depth=1
	ds_load_b32 v4, v5 offset:49176
	s_waitcnt lgkmcnt(0)
	v_add_nc_u32_e32 v8, v8, v4
	s_or_b32 exec_lo, exec_lo, s17
	s_and_saveexec_b32 s17, s4
	s_cbranch_execz .LBB149_68
.LBB149_84:                             ;   in Loop: Header=BB149_63 Depth=1
	ds_load_b32 v4, v5 offset:49184
	s_waitcnt lgkmcnt(0)
	v_add_nc_u32_e32 v8, v8, v4
	s_or_b32 exec_lo, exec_lo, s17
	s_and_saveexec_b32 s17, s5
	s_cbranch_execz .LBB149_69
.LBB149_85:                             ;   in Loop: Header=BB149_63 Depth=1
	ds_load_b32 v4, v5 offset:49192
	s_waitcnt lgkmcnt(0)
	v_add_nc_u32_e32 v8, v8, v4
	s_or_b32 exec_lo, exec_lo, s17
	s_and_saveexec_b32 s17, s6
	s_cbranch_execz .LBB149_70
.LBB149_86:                             ;   in Loop: Header=BB149_63 Depth=1
	ds_load_b32 v4, v5 offset:49200
	s_waitcnt lgkmcnt(0)
	v_add_nc_u32_e32 v8, v8, v4
	s_or_b32 exec_lo, exec_lo, s17
	s_and_saveexec_b32 s17, s7
	s_cbranch_execz .LBB149_71
.LBB149_87:                             ;   in Loop: Header=BB149_63 Depth=1
	ds_load_b32 v4, v5 offset:49208
	s_waitcnt lgkmcnt(0)
	v_add_nc_u32_e32 v8, v8, v4
	s_or_b32 exec_lo, exec_lo, s17
	s_and_saveexec_b32 s17, s8
	s_cbranch_execz .LBB149_72
.LBB149_88:                             ;   in Loop: Header=BB149_63 Depth=1
	ds_load_b32 v4, v5 offset:49216
	s_waitcnt lgkmcnt(0)
	v_add_nc_u32_e32 v8, v8, v4
	s_or_b32 exec_lo, exec_lo, s17
	s_and_saveexec_b32 s17, s9
	s_cbranch_execz .LBB149_73
.LBB149_89:                             ;   in Loop: Header=BB149_63 Depth=1
	ds_load_b32 v4, v5 offset:49224
	s_waitcnt lgkmcnt(0)
	v_add_nc_u32_e32 v8, v8, v4
	s_or_b32 exec_lo, exec_lo, s17
	s_and_saveexec_b32 s17, s10
	s_cbranch_execz .LBB149_74
.LBB149_90:                             ;   in Loop: Header=BB149_63 Depth=1
	ds_load_b32 v4, v5 offset:49232
	s_waitcnt lgkmcnt(0)
	v_add_nc_u32_e32 v8, v8, v4
	s_or_b32 exec_lo, exec_lo, s17
	s_and_saveexec_b32 s17, s11
	s_cbranch_execz .LBB149_75
.LBB149_91:                             ;   in Loop: Header=BB149_63 Depth=1
	ds_load_b32 v4, v5 offset:49240
	s_waitcnt lgkmcnt(0)
	v_add_nc_u32_e32 v8, v8, v4
	s_or_b32 exec_lo, exec_lo, s17
	s_and_saveexec_b32 s17, s12
	s_cbranch_execz .LBB149_76
.LBB149_92:                             ;   in Loop: Header=BB149_63 Depth=1
	ds_load_b32 v4, v5 offset:49248
	s_waitcnt lgkmcnt(0)
	v_add_nc_u32_e32 v8, v8, v4
	s_or_b32 exec_lo, exec_lo, s17
	s_and_saveexec_b32 s17, s13
	s_cbranch_execz .LBB149_77
.LBB149_93:                             ;   in Loop: Header=BB149_63 Depth=1
	ds_load_b32 v4, v5 offset:49256
	s_waitcnt lgkmcnt(0)
	v_add_nc_u32_e32 v8, v8, v4
	s_or_b32 exec_lo, exec_lo, s17
	s_and_saveexec_b32 s17, s14
	s_cbranch_execz .LBB149_78
.LBB149_94:                             ;   in Loop: Header=BB149_63 Depth=1
	ds_load_b32 v4, v5 offset:49264
	s_waitcnt lgkmcnt(0)
	v_add_nc_u32_e32 v8, v8, v4
	s_or_b32 exec_lo, exec_lo, s17
	s_delay_alu instid0(VALU_DEP_1)
	v_ashrrev_i32_e32 v9, 31, v8
	s_and_saveexec_b32 s17, s15
	s_cbranch_execz .LBB149_79
.LBB149_95:                             ;   in Loop: Header=BB149_63 Depth=1
	scratch_load_b128 v[11:14], off, off
	v_add3_u32 v4, v2, -1, v8
	s_delay_alu instid0(VALU_DEP_1) | instskip(SKIP_1) | instid1(VALU_DEP_2)
	v_lshlrev_b32_e32 v15, 4, v4
	v_lshl_add_u32 v4, v4, 3, 0
	v_add3_u32 v15, 0, v15, 0x4000
	ds_store_b64 v4, v[6:7]
	s_waitcnt vmcnt(0)
	ds_store_2addr_b64 v15, v[11:12], v[13:14] offset1:1
	s_or_b32 exec_lo, exec_lo, s17
	s_and_saveexec_b32 s15, vcc_lo
	s_cbranch_execz .LBB149_62
.LBB149_96:                             ;   in Loop: Header=BB149_63 Depth=1
	ds_store_b64 v5, v[8:9] offset:49272
	s_branch .LBB149_62
.LBB149_97:
	s_or_b32 exec_lo, exec_lo, s16
	s_lshl_b64 s[0:1], s[30:31], 3
	v_mov_b32_e32 v1, 0
	s_add_u32 s0, s18, s0
	s_addc_u32 s1, s19, s1
	s_mov_b32 s6, exec_lo
	s_load_b128 s[0:3], s[0:1], 0x0
	s_waitcnt lgkmcnt(0)
	s_sub_u32 s4, s2, s0
	s_subb_u32 s5, s3, s1
	s_delay_alu instid0(SALU_CYCLE_1)
	v_cmpx_gt_i64_e64 s[4:5], v[0:1]
	s_cbranch_execz .LBB149_107
; %bb.98:
	s_sub_u32 s8, s0, s22
	s_subb_u32 s9, s1, 0
	s_and_b32 s6, s4, 7
	s_sub_u32 s0, s0, s2
	s_subb_u32 s1, s1, s3
	s_mov_b32 s7, 0
	v_cmp_lt_u64_e64 s12, s[0:1], -7
	s_and_b32 s2, s4, -8
	s_cmp_lg_u64 s[6:7], 0
	s_mov_b32 s3, s5
	s_cselect_b32 s13, -1, 0
	s_mov_b32 s14, s7
	s_branch .LBB149_100
.LBB149_99:                             ;   in Loop: Header=BB149_100 Depth=1
	s_waitcnt lgkmcnt(0)
	v_lshlrev_b32_e32 v2, 3, v0
	v_add_co_u32 v0, vcc_lo, 0x400, v0
	v_add_co_ci_u32_e32 v1, vcc_lo, 0, v1, vcc_lo
	s_delay_alu instid0(VALU_DEP_3) | instskip(NEXT) | instid1(VALU_DEP_2)
	v_add3_u32 v2, v6, v2, 0x4000
	v_cmp_le_i64_e32 vcc_lo, s[4:5], v[0:1]
	ds_load_2addr_b64 v[6:9], v2 offset1:1
	v_lshlrev_b64 v[2:3], 4, v[4:5]
	s_or_b32 s14, vcc_lo, s14
	s_delay_alu instid0(VALU_DEP_1) | instskip(NEXT) | instid1(VALU_DEP_1)
	v_add_co_u32 v2, s0, s34, v2
	v_add_co_ci_u32_e64 v3, s0, s35, v3, s0
	s_waitcnt lgkmcnt(0)
	global_store_b128 v[2:3], v[6:9], off
	s_and_not1_b32 exec_lo, exec_lo, s14
	s_cbranch_execz .LBB149_107
.LBB149_100:                            ; =>This Loop Header: Depth=1
                                        ;     Child Loop BB149_102 Depth 2
                                        ;     Child Loop BB149_106 Depth 2
	v_lshl_add_u32 v6, v0, 3, 0
	v_dual_mov_b32 v4, s8 :: v_dual_mov_b32 v5, s9
	s_and_not1_b32 vcc_lo, exec_lo, s12
	s_mov_b64 s[0:1], 0
	ds_load_b64 v[2:3], v6
	s_cbranch_vccnz .LBB149_104
; %bb.101:                              ;   in Loop: Header=BB149_100 Depth=1
	v_dual_mov_b32 v4, s8 :: v_dual_mov_b32 v5, s9
	s_mov_b64 s[10:11], 0
	s_mov_b32 s1, 0
.LBB149_102:                            ;   Parent Loop BB149_100 Depth=1
                                        ; =>  This Inner Loop Header: Depth=2
	s_delay_alu instid0(SALU_CYCLE_1)
	v_mov_b32_e32 v19, s1
	s_add_u32 s10, s10, 8
	s_addc_u32 s11, s11, 0
	s_add_i32 s1, s1, 64
	s_cmp_eq_u64 s[2:3], s[10:11]
	ds_load_2addr_b64 v[7:10], v19 offset1:1
	ds_load_2addr_b64 v[11:14], v19 offset0:2 offset1:3
	ds_load_2addr_b64 v[15:18], v19 offset0:4 offset1:5
	ds_load_2addr_b64 v[19:22], v19 offset0:6 offset1:7
	s_waitcnt lgkmcnt(3)
	v_cmp_gt_i64_e32 vcc_lo, v[2:3], v[7:8]
	v_cndmask_b32_e64 v7, 0, 1, vcc_lo
	v_cmp_gt_i64_e32 vcc_lo, v[2:3], v[9:10]
	v_cndmask_b32_e64 v8, 0, 1, vcc_lo
	s_waitcnt lgkmcnt(2)
	v_cmp_gt_i64_e32 vcc_lo, v[2:3], v[11:12]
	v_cndmask_b32_e64 v9, 0, 1, vcc_lo
	v_cmp_gt_i64_e32 vcc_lo, v[2:3], v[13:14]
	v_cndmask_b32_e64 v10, 0, 1, vcc_lo
	s_waitcnt lgkmcnt(1)
	v_cmp_gt_i64_e32 vcc_lo, v[2:3], v[15:16]
	v_cndmask_b32_e64 v11, 0, 1, vcc_lo
	v_add_co_u32 v4, vcc_lo, v4, v7
	v_add_co_ci_u32_e32 v5, vcc_lo, 0, v5, vcc_lo
	v_cmp_gt_i64_e32 vcc_lo, v[2:3], v[17:18]
	s_delay_alu instid0(VALU_DEP_3) | instskip(NEXT) | instid1(VALU_DEP_1)
	v_add_co_u32 v4, s0, v4, v8
	v_add_co_ci_u32_e64 v5, s0, 0, v5, s0
	v_cndmask_b32_e64 v7, 0, 1, vcc_lo
	s_delay_alu instid0(VALU_DEP_3) | instskip(NEXT) | instid1(VALU_DEP_3)
	v_add_co_u32 v4, vcc_lo, v4, v9
	v_add_co_ci_u32_e32 v5, vcc_lo, 0, v5, vcc_lo
	s_waitcnt lgkmcnt(0)
	v_cmp_gt_i64_e32 vcc_lo, v[2:3], v[19:20]
	s_delay_alu instid0(VALU_DEP_3) | instskip(NEXT) | instid1(VALU_DEP_1)
	v_add_co_u32 v4, s0, v4, v10
	v_add_co_ci_u32_e64 v5, s0, 0, v5, s0
	v_cndmask_b32_e64 v8, 0, 1, vcc_lo
	s_delay_alu instid0(VALU_DEP_3) | instskip(NEXT) | instid1(VALU_DEP_3)
	v_add_co_u32 v4, vcc_lo, v4, v11
	v_add_co_ci_u32_e32 v5, vcc_lo, 0, v5, vcc_lo
	v_cmp_gt_i64_e32 vcc_lo, v[2:3], v[21:22]
	s_delay_alu instid0(VALU_DEP_3) | instskip(NEXT) | instid1(VALU_DEP_1)
	v_add_co_u32 v4, s0, v4, v7
	v_add_co_ci_u32_e64 v5, s0, 0, v5, s0
	v_cndmask_b32_e64 v7, 0, 1, vcc_lo
	s_delay_alu instid0(VALU_DEP_3) | instskip(NEXT) | instid1(VALU_DEP_3)
	v_add_co_u32 v4, vcc_lo, v4, v8
	v_add_co_ci_u32_e32 v5, vcc_lo, 0, v5, vcc_lo
	s_delay_alu instid0(VALU_DEP_2) | instskip(NEXT) | instid1(VALU_DEP_2)
	v_add_co_u32 v4, vcc_lo, v4, v7
	v_add_co_ci_u32_e32 v5, vcc_lo, 0, v5, vcc_lo
	s_cbranch_scc0 .LBB149_102
; %bb.103:                              ;   in Loop: Header=BB149_100 Depth=1
	s_mov_b64 s[0:1], s[2:3]
.LBB149_104:                            ;   in Loop: Header=BB149_100 Depth=1
	s_and_not1_b32 vcc_lo, exec_lo, s13
	s_cbranch_vccnz .LBB149_99
; %bb.105:                              ;   in Loop: Header=BB149_100 Depth=1
	s_lshl_b32 s0, s0, 3
	s_delay_alu instid0(SALU_CYCLE_1)
	s_add_i32 s10, s0, 0
	s_mov_b64 s[0:1], s[6:7]
.LBB149_106:                            ;   Parent Loop BB149_100 Depth=1
                                        ; =>  This Inner Loop Header: Depth=2
	v_mov_b32_e32 v7, s10
	s_add_i32 s10, s10, 8
	s_add_u32 s0, s0, -1
	s_addc_u32 s1, s1, -1
	s_delay_alu instid0(SALU_CYCLE_1) | instskip(SKIP_4) | instid1(VALU_DEP_1)
	s_cmp_lg_u64 s[0:1], 0
	ds_load_b64 v[7:8], v7
	s_waitcnt lgkmcnt(0)
	v_cmp_gt_i64_e32 vcc_lo, v[2:3], v[7:8]
	v_cndmask_b32_e64 v7, 0, 1, vcc_lo
	v_add_co_u32 v4, vcc_lo, v4, v7
	v_add_co_ci_u32_e32 v5, vcc_lo, 0, v5, vcc_lo
	s_cbranch_scc1 .LBB149_106
	s_branch .LBB149_99
.LBB149_107:
	s_nop 0
	s_sendmsg sendmsg(MSG_DEALLOC_VGPRS)
	s_endpgm
	.section	.rodata,"a",@progbits
	.p2align	6, 0x0
	.amdhsa_kernel _ZN9rocsparseL41csrgemm_numeric_fill_block_per_row_kernelILj1024ELj32ELj2048ELj137ELj64Ell21rocsparse_complex_numIdEEEvT5_PKS3_S5_NS_24const_host_device_scalarIT6_EEPKT4_S5_PKS7_SB_S5_SD_S8_SB_S5_SD_SB_S5_PS7_21rocsparse_index_base_SF_SF_SF_bbb
		.amdhsa_group_segment_fixed_size 0
		.amdhsa_private_segment_fixed_size 40
		.amdhsa_kernarg_size 172
		.amdhsa_user_sgpr_count 15
		.amdhsa_user_sgpr_dispatch_ptr 0
		.amdhsa_user_sgpr_queue_ptr 0
		.amdhsa_user_sgpr_kernarg_segment_ptr 1
		.amdhsa_user_sgpr_dispatch_id 0
		.amdhsa_user_sgpr_private_segment_size 0
		.amdhsa_wavefront_size32 1
		.amdhsa_uses_dynamic_stack 0
		.amdhsa_enable_private_segment 1
		.amdhsa_system_sgpr_workgroup_id_x 1
		.amdhsa_system_sgpr_workgroup_id_y 0
		.amdhsa_system_sgpr_workgroup_id_z 0
		.amdhsa_system_sgpr_workgroup_info 0
		.amdhsa_system_vgpr_workitem_id 0
		.amdhsa_next_free_vgpr 36
		.amdhsa_next_free_sgpr 44
		.amdhsa_reserve_vcc 1
		.amdhsa_float_round_mode_32 0
		.amdhsa_float_round_mode_16_64 0
		.amdhsa_float_denorm_mode_32 3
		.amdhsa_float_denorm_mode_16_64 3
		.amdhsa_dx10_clamp 1
		.amdhsa_ieee_mode 1
		.amdhsa_fp16_overflow 0
		.amdhsa_workgroup_processor_mode 1
		.amdhsa_memory_ordered 1
		.amdhsa_forward_progress 0
		.amdhsa_shared_vgpr_count 0
		.amdhsa_exception_fp_ieee_invalid_op 0
		.amdhsa_exception_fp_denorm_src 0
		.amdhsa_exception_fp_ieee_div_zero 0
		.amdhsa_exception_fp_ieee_overflow 0
		.amdhsa_exception_fp_ieee_underflow 0
		.amdhsa_exception_fp_ieee_inexact 0
		.amdhsa_exception_int_div_zero 0
	.end_amdhsa_kernel
	.section	.text._ZN9rocsparseL41csrgemm_numeric_fill_block_per_row_kernelILj1024ELj32ELj2048ELj137ELj64Ell21rocsparse_complex_numIdEEEvT5_PKS3_S5_NS_24const_host_device_scalarIT6_EEPKT4_S5_PKS7_SB_S5_SD_S8_SB_S5_SD_SB_S5_PS7_21rocsparse_index_base_SF_SF_SF_bbb,"axG",@progbits,_ZN9rocsparseL41csrgemm_numeric_fill_block_per_row_kernelILj1024ELj32ELj2048ELj137ELj64Ell21rocsparse_complex_numIdEEEvT5_PKS3_S5_NS_24const_host_device_scalarIT6_EEPKT4_S5_PKS7_SB_S5_SD_S8_SB_S5_SD_SB_S5_PS7_21rocsparse_index_base_SF_SF_SF_bbb,comdat
.Lfunc_end149:
	.size	_ZN9rocsparseL41csrgemm_numeric_fill_block_per_row_kernelILj1024ELj32ELj2048ELj137ELj64Ell21rocsparse_complex_numIdEEEvT5_PKS3_S5_NS_24const_host_device_scalarIT6_EEPKT4_S5_PKS7_SB_S5_SD_S8_SB_S5_SD_SB_S5_PS7_21rocsparse_index_base_SF_SF_SF_bbb, .Lfunc_end149-_ZN9rocsparseL41csrgemm_numeric_fill_block_per_row_kernelILj1024ELj32ELj2048ELj137ELj64Ell21rocsparse_complex_numIdEEEvT5_PKS3_S5_NS_24const_host_device_scalarIT6_EEPKT4_S5_PKS7_SB_S5_SD_S8_SB_S5_SD_SB_S5_PS7_21rocsparse_index_base_SF_SF_SF_bbb
                                        ; -- End function
	.section	.AMDGPU.csdata,"",@progbits
; Kernel info:
; codeLenInByte = 4412
; NumSgprs: 46
; NumVgprs: 36
; ScratchSize: 40
; MemoryBound: 0
; FloatMode: 240
; IeeeMode: 1
; LDSByteSize: 0 bytes/workgroup (compile time only)
; SGPRBlocks: 5
; VGPRBlocks: 4
; NumSGPRsForWavesPerEU: 46
; NumVGPRsForWavesPerEU: 36
; Occupancy: 16
; WaveLimiterHint : 1
; COMPUTE_PGM_RSRC2:SCRATCH_EN: 1
; COMPUTE_PGM_RSRC2:USER_SGPR: 15
; COMPUTE_PGM_RSRC2:TRAP_HANDLER: 0
; COMPUTE_PGM_RSRC2:TGID_X_EN: 1
; COMPUTE_PGM_RSRC2:TGID_Y_EN: 0
; COMPUTE_PGM_RSRC2:TGID_Z_EN: 0
; COMPUTE_PGM_RSRC2:TIDIG_COMP_CNT: 0
	.section	.text._ZN9rocsparseL41csrgemm_numeric_fill_block_per_row_kernelILj1024ELj64ELj4096ELj137ELj32Ell21rocsparse_complex_numIdEEEvT5_PKS3_S5_NS_24const_host_device_scalarIT6_EEPKT4_S5_PKS7_SB_S5_SD_S8_SB_S5_SD_SB_S5_PS7_21rocsparse_index_base_SF_SF_SF_bbb,"axG",@progbits,_ZN9rocsparseL41csrgemm_numeric_fill_block_per_row_kernelILj1024ELj64ELj4096ELj137ELj32Ell21rocsparse_complex_numIdEEEvT5_PKS3_S5_NS_24const_host_device_scalarIT6_EEPKT4_S5_PKS7_SB_S5_SD_S8_SB_S5_SD_SB_S5_PS7_21rocsparse_index_base_SF_SF_SF_bbb,comdat
	.globl	_ZN9rocsparseL41csrgemm_numeric_fill_block_per_row_kernelILj1024ELj64ELj4096ELj137ELj32Ell21rocsparse_complex_numIdEEEvT5_PKS3_S5_NS_24const_host_device_scalarIT6_EEPKT4_S5_PKS7_SB_S5_SD_S8_SB_S5_SD_SB_S5_PS7_21rocsparse_index_base_SF_SF_SF_bbb ; -- Begin function _ZN9rocsparseL41csrgemm_numeric_fill_block_per_row_kernelILj1024ELj64ELj4096ELj137ELj32Ell21rocsparse_complex_numIdEEEvT5_PKS3_S5_NS_24const_host_device_scalarIT6_EEPKT4_S5_PKS7_SB_S5_SD_S8_SB_S5_SD_SB_S5_PS7_21rocsparse_index_base_SF_SF_SF_bbb
	.p2align	8
	.type	_ZN9rocsparseL41csrgemm_numeric_fill_block_per_row_kernelILj1024ELj64ELj4096ELj137ELj32Ell21rocsparse_complex_numIdEEEvT5_PKS3_S5_NS_24const_host_device_scalarIT6_EEPKT4_S5_PKS7_SB_S5_SD_S8_SB_S5_SD_SB_S5_PS7_21rocsparse_index_base_SF_SF_SF_bbb,@function
_ZN9rocsparseL41csrgemm_numeric_fill_block_per_row_kernelILj1024ELj64ELj4096ELj137ELj32Ell21rocsparse_complex_numIdEEEvT5_PKS3_S5_NS_24const_host_device_scalarIT6_EEPKT4_S5_PKS7_SB_S5_SD_S8_SB_S5_SD_SB_S5_PS7_21rocsparse_index_base_SF_SF_SF_bbb: ; @_ZN9rocsparseL41csrgemm_numeric_fill_block_per_row_kernelILj1024ELj64ELj4096ELj137ELj32Ell21rocsparse_complex_numIdEEEvT5_PKS3_S5_NS_24const_host_device_scalarIT6_EEPKT4_S5_PKS7_SB_S5_SD_S8_SB_S5_SD_SB_S5_PS7_21rocsparse_index_base_SF_SF_SF_bbb
; %bb.0:
	s_clause 0x3
	s_load_b32 s27, s[0:1], 0xa8
	s_load_b128 s[4:7], s[0:1], 0x18
	s_load_b128 s[16:19], s[0:1], 0x58
	s_load_b128 s[44:47], s[0:1], 0x98
	v_mov_b32_e32 v1, 0
	v_mov_b32_e32 v2, 0
	s_mov_b32 s24, s15
	s_waitcnt lgkmcnt(0)
	s_bitcmp1_b32 s27, 0
	v_mov_b32_e32 v3, s4
	s_cselect_b32 s26, -1, 0
	s_bitcmp1_b32 s27, 16
	v_dual_mov_b32 v6, v2 :: v_dual_mov_b32 v5, v1
	s_cselect_b32 s2, -1, 0
	v_mov_b32_e32 v4, s5
	s_xor_b32 s25, s2, -1
	v_dual_mov_b32 v9, s16 :: v_dual_mov_b32 v10, s17
	v_cndmask_b32_e64 v7, 0, 1, s25
	s_bitcmp0_b32 s27, 0
	s_clause 0x1
	scratch_store_b64 off, v[3:4], off offset:16
	scratch_store_b64 off, v[9:10], off offset:24
	v_cmp_ne_u32_e32 vcc_lo, 1, v7
	v_dual_mov_b32 v8, v2 :: v_dual_mov_b32 v7, v1
	s_cbranch_scc1 .LBB150_3
; %bb.1:
	s_mov_b64 s[8:9], src_private_base
	s_and_b32 s3, s2, exec_lo
	s_cselect_b32 s3, s9, s5
	s_delay_alu instid0(SALU_CYCLE_1) | instskip(SKIP_2) | instid1(VALU_DEP_2)
	v_dual_mov_b32 v3, 16 :: v_dual_mov_b32 v4, s3
	v_dual_mov_b32 v8, s7 :: v_dual_mov_b32 v7, s6
	s_and_b32 vcc_lo, exec_lo, vcc_lo
	v_cndmask_b32_e64 v3, s4, v3, s2
	flat_load_b64 v[5:6], v[3:4]
	s_cbranch_vccnz .LBB150_3
; %bb.2:
	v_dual_mov_b32 v3, s4 :: v_dual_mov_b32 v4, s5
	flat_load_b64 v[7:8], v[3:4] offset:8
.LBB150_3:
	s_clause 0x4
	s_load_b64 s[34:35], s[0:1], 0x90
	s_load_b256 s[36:43], s[0:1], 0x68
	s_load_b128 s[12:15], s[0:1], 0x48
	s_load_b128 s[20:23], s[0:1], 0x8
	s_load_b256 s[4:11], s[0:1], 0x28
	s_bitcmp1_b32 s27, 8
	v_dual_mov_b32 v4, v2 :: v_dual_mov_b32 v3, v1
	s_cselect_b32 s3, -1, 0
	s_bfe_u32 s27, s27, 0x10008
	s_delay_alu instid0(SALU_CYCLE_1)
	s_cmp_eq_u32 s27, 0
	s_cbranch_scc1 .LBB150_6
; %bb.4:
	s_mov_b64 s[28:29], src_private_base
	s_and_b32 s27, s2, exec_lo
	s_cselect_b32 s27, s29, s17
	s_delay_alu instid0(SALU_CYCLE_1) | instskip(SKIP_1) | instid1(VALU_DEP_1)
	v_dual_mov_b32 v1, 24 :: v_dual_mov_b32 v2, s27
	s_and_not1_b32 vcc_lo, exec_lo, s25
	v_cndmask_b32_e64 v1, s16, v1, s2
	flat_load_b64 v[3:4], v[1:2]
	v_dual_mov_b32 v1, s18 :: v_dual_mov_b32 v2, s19
	s_cbranch_vccnz .LBB150_6
; %bb.5:
	v_dual_mov_b32 v1, s16 :: v_dual_mov_b32 v2, s17
	flat_load_b64 v[1:2], v[1:2] offset:8
.LBB150_6:
	s_load_b64 s[48:49], s[0:1], 0x0
	s_mov_b32 s0, 0
	v_or_b32_e32 v27, 0xfffffc00, v0
	s_mov_b32 s1, s0
	s_delay_alu instid0(SALU_CYCLE_1) | instskip(SKIP_3) | instid1(VALU_DEP_2)
	v_dual_mov_b32 v10, s1 :: v_dual_lshlrev_b32 v11, 4, v0
	v_lshl_add_u32 v28, v0, 3, 0
	s_mov_b32 s16, s0
	s_mov_b32 s17, s0
	v_add3_u32 v29, v11, 0, 0x8000
	v_dual_mov_b32 v11, s16 :: v_dual_mov_b32 v16, v27
	v_dual_mov_b32 v9, s0 :: v_dual_mov_b32 v12, s17
	v_mov_b32_e32 v15, v28
	s_delay_alu instid0(VALU_DEP_4)
	v_mov_b32_e32 v17, v29
	s_waitcnt lgkmcnt(0)
	v_dual_mov_b32 v13, s48 :: v_dual_mov_b32 v14, s49
.LBB150_7:                              ; =>This Inner Loop Header: Depth=1
	v_add_nc_u32_e32 v16, 0x400, v16
	ds_store_b64 v15, v[13:14]
	ds_store_2addr_b64 v17, v[9:10], v[11:12] offset1:1
	v_add_nc_u32_e32 v17, 0x4000, v17
	v_add_nc_u32_e32 v15, 0x2000, v15
	v_cmp_lt_u32_e32 vcc_lo, 0xbff, v16
	s_or_b32 s0, vcc_lo, s0
	s_delay_alu instid0(SALU_CYCLE_1)
	s_and_not1_b32 exec_lo, exec_lo, s0
	s_cbranch_execnz .LBB150_7
; %bb.8:
	s_or_b32 exec_lo, exec_lo, s0
	s_waitcnt vmcnt(0) lgkmcnt(0)
	s_waitcnt_vscnt null, 0x0
	s_barrier
	buffer_gl0_inv
	s_load_b64 s[0:1], s[20:21], 0x0
	s_mov_b32 s25, 0
	s_waitcnt lgkmcnt(0)
	s_lshl_b64 s[0:1], s[0:1], 3
	s_delay_alu instid0(SALU_CYCLE_1) | instskip(SKIP_2) | instid1(SALU_CYCLE_1)
	s_add_u32 s2, s22, s0
	s_addc_u32 s16, s23, s1
	s_lshl_b64 s[0:1], s[24:25], 3
	s_add_u32 s0, s2, s0
	s_addc_u32 s1, s16, s1
	s_and_b32 vcc_lo, exec_lo, s26
	s_load_b64 s[50:51], s[0:1], 0x0
	s_cbranch_vccz .LBB150_36
; %bb.9:
	s_waitcnt lgkmcnt(0)
	s_lshl_b64 s[0:1], s[50:51], 3
	v_lshrrev_b32_e32 v9, 6, v0
	s_add_u32 s0, s4, s0
	s_addc_u32 s1, s5, s1
	s_mov_b32 s2, exec_lo
	s_load_b128 s[16:19], s[0:1], 0x0
	v_sub_co_u32 v9, s0, v9, s44
	s_delay_alu instid0(VALU_DEP_1) | instskip(SKIP_1) | instid1(VALU_DEP_2)
	v_sub_co_ci_u32_e64 v10, null, 0, 0, s0
	s_waitcnt lgkmcnt(0)
	v_add_co_u32 v9, vcc_lo, s16, v9
	s_delay_alu instid0(VALU_DEP_2)
	v_add_co_ci_u32_e32 v10, vcc_lo, s17, v10, vcc_lo
	s_sub_u32 s0, s18, s44
	s_subb_u32 s1, s19, 0
	s_delay_alu instid0(VALU_DEP_1) | instid1(SALU_CYCLE_1)
	v_cmpx_gt_i64_e64 s[0:1], v[9:10]
	s_cbranch_execz .LBB150_35
; %bb.10:
	v_and_b32_e32 v11, 63, v0
	s_mov_b32 s5, s45
	s_delay_alu instid0(VALU_DEP_1) | instskip(NEXT) | instid1(VALU_DEP_1)
	v_sub_co_u32 v30, s4, v11, s45
	v_sub_co_ci_u32_e64 v31, null, 0, 0, s4
	s_mov_b32 s4, 0
	s_branch .LBB150_12
.LBB150_11:                             ;   in Loop: Header=BB150_12 Depth=1
	s_or_b32 exec_lo, exec_lo, s16
	v_add_co_u32 v9, vcc_lo, v9, 16
	v_add_co_ci_u32_e32 v10, vcc_lo, 0, v10, vcc_lo
	s_delay_alu instid0(VALU_DEP_1) | instskip(SKIP_1) | instid1(SALU_CYCLE_1)
	v_cmp_le_i64_e32 vcc_lo, s[0:1], v[9:10]
	s_or_b32 s4, vcc_lo, s4
	s_and_not1_b32 exec_lo, exec_lo, s4
	s_cbranch_execz .LBB150_35
.LBB150_12:                             ; =>This Loop Header: Depth=1
                                        ;     Child Loop BB150_15 Depth 2
                                        ;       Child Loop BB150_17 Depth 3
                                        ;         Child Loop BB150_23 Depth 4
                                        ;         Child Loop BB150_25 Depth 4
	;; [unrolled: 1-line block ×4, first 2 shown]
	v_lshlrev_b64 v[11:12], 3, v[9:10]
	s_mov_b32 s16, exec_lo
	s_delay_alu instid0(VALU_DEP_1) | instskip(NEXT) | instid1(VALU_DEP_2)
	v_add_co_u32 v11, vcc_lo, s6, v11
	v_add_co_ci_u32_e32 v12, vcc_lo, s7, v12, vcc_lo
	global_load_b64 v[11:12], v[11:12], off
	s_waitcnt vmcnt(0)
	v_sub_co_u32 v11, vcc_lo, v11, s44
	v_subrev_co_ci_u32_e32 v12, vcc_lo, 0, v12, vcc_lo
	s_delay_alu instid0(VALU_DEP_1) | instskip(NEXT) | instid1(VALU_DEP_1)
	v_lshlrev_b64 v[11:12], 3, v[11:12]
	v_add_co_u32 v11, vcc_lo, s10, v11
	s_delay_alu instid0(VALU_DEP_2)
	v_add_co_ci_u32_e32 v12, vcc_lo, s11, v12, vcc_lo
	global_load_b128 v[13:16], v[11:12], off
	s_waitcnt vmcnt(0)
	v_sub_co_u32 v11, vcc_lo, v15, s5
	v_subrev_co_ci_u32_e32 v12, vcc_lo, 0, v16, vcc_lo
	v_add_co_u32 v13, vcc_lo, v13, v30
	v_add_co_ci_u32_e32 v14, vcc_lo, v14, v31, vcc_lo
	s_delay_alu instid0(VALU_DEP_1)
	v_cmpx_lt_i64_e64 v[13:14], v[11:12]
	s_cbranch_execz .LBB150_11
; %bb.13:                               ;   in Loop: Header=BB150_12 Depth=1
	v_lshlrev_b64 v[15:16], 4, v[9:10]
	s_mov_b32 s17, 0
	s_delay_alu instid0(VALU_DEP_1) | instskip(NEXT) | instid1(VALU_DEP_2)
	v_add_co_u32 v15, vcc_lo, s8, v15
	v_add_co_ci_u32_e32 v16, vcc_lo, s9, v16, vcc_lo
	global_load_b128 v[17:20], v[15:16], off
	s_waitcnt vmcnt(0)
	v_mul_f64 v[15:16], v[19:20], -v[7:8]
	v_mul_f64 v[19:20], v[5:6], v[19:20]
	s_delay_alu instid0(VALU_DEP_2) | instskip(NEXT) | instid1(VALU_DEP_2)
	v_fma_f64 v[15:16], v[5:6], v[17:18], v[15:16]
	v_fma_f64 v[17:18], v[7:8], v[17:18], v[19:20]
	s_branch .LBB150_15
.LBB150_14:                             ;   in Loop: Header=BB150_15 Depth=2
	s_or_b32 exec_lo, exec_lo, s18
	v_add_co_u32 v13, vcc_lo, v13, 64
	v_add_co_ci_u32_e32 v14, vcc_lo, 0, v14, vcc_lo
	s_delay_alu instid0(VALU_DEP_1) | instskip(SKIP_1) | instid1(SALU_CYCLE_1)
	v_cmp_ge_i64_e32 vcc_lo, v[13:14], v[11:12]
	s_or_b32 s17, vcc_lo, s17
	s_and_not1_b32 exec_lo, exec_lo, s17
	s_cbranch_execz .LBB150_11
.LBB150_15:                             ;   Parent Loop BB150_12 Depth=1
                                        ; =>  This Loop Header: Depth=2
                                        ;       Child Loop BB150_17 Depth 3
                                        ;         Child Loop BB150_23 Depth 4
                                        ;         Child Loop BB150_25 Depth 4
	;; [unrolled: 1-line block ×4, first 2 shown]
	v_lshlrev_b64 v[19:20], 4, v[13:14]
	s_mov_b32 s18, 0
	s_delay_alu instid0(VALU_DEP_1) | instskip(NEXT) | instid1(VALU_DEP_2)
	v_add_co_u32 v19, vcc_lo, s14, v19
	v_add_co_ci_u32_e32 v20, vcc_lo, s15, v20, vcc_lo
	global_load_b128 v[21:24], v[19:20], off
	v_lshlrev_b64 v[19:20], 3, v[13:14]
	s_delay_alu instid0(VALU_DEP_1) | instskip(NEXT) | instid1(VALU_DEP_2)
	v_add_co_u32 v19, vcc_lo, s12, v19
	v_add_co_ci_u32_e32 v20, vcc_lo, s13, v20, vcc_lo
	global_load_b64 v[25:26], v[19:20], off
	s_waitcnt vmcnt(1)
	v_mul_f64 v[19:20], v[23:24], -v[17:18]
	v_mul_f64 v[23:24], v[15:16], v[23:24]
	s_delay_alu instid0(VALU_DEP_2) | instskip(NEXT) | instid1(VALU_DEP_2)
	v_fma_f64 v[19:20], v[15:16], v[21:22], v[19:20]
	v_fma_f64 v[21:22], v[17:18], v[21:22], v[23:24]
	s_waitcnt vmcnt(0)
	v_sub_co_u32 v23, vcc_lo, v25, s5
	v_subrev_co_ci_u32_e32 v24, vcc_lo, 0, v26, vcc_lo
	s_delay_alu instid0(VALU_DEP_2) | instskip(NEXT) | instid1(VALU_DEP_1)
	v_mul_lo_u32 v25, 0x89, v23
	v_and_b32_e32 v32, 0xfff, v25
	s_branch .LBB150_17
.LBB150_16:                             ;   in Loop: Header=BB150_17 Depth=3
	s_or_b32 exec_lo, exec_lo, s19
	s_xor_b32 s19, s20, -1
	s_delay_alu instid0(SALU_CYCLE_1) | instskip(NEXT) | instid1(SALU_CYCLE_1)
	s_and_b32 s19, exec_lo, s19
	s_or_b32 s18, s19, s18
	s_delay_alu instid0(SALU_CYCLE_1)
	s_and_not1_b32 exec_lo, exec_lo, s18
	s_cbranch_execz .LBB150_14
.LBB150_17:                             ;   Parent Loop BB150_12 Depth=1
                                        ;     Parent Loop BB150_15 Depth=2
                                        ; =>    This Loop Header: Depth=3
                                        ;         Child Loop BB150_23 Depth 4
                                        ;         Child Loop BB150_25 Depth 4
	;; [unrolled: 1-line block ×4, first 2 shown]
	s_delay_alu instid0(VALU_DEP_1)
	v_lshl_add_u32 v33, v32, 3, 0
	s_mov_b32 s19, exec_lo
                                        ; implicit-def: $sgpr20
	ds_load_b64 v[25:26], v33
	s_waitcnt lgkmcnt(0)
	v_cmpx_ne_u64_e64 v[25:26], v[23:24]
	s_xor_b32 s19, exec_lo, s19
	s_cbranch_execz .LBB150_29
; %bb.18:                               ;   in Loop: Header=BB150_17 Depth=3
	s_mov_b32 s21, exec_lo
                                        ; implicit-def: $sgpr20
	v_cmpx_ne_u64_e64 s[48:49], v[25:26]
	s_xor_b32 s21, exec_lo, s21
; %bb.19:                               ;   in Loop: Header=BB150_17 Depth=3
	v_add_nc_u32_e32 v25, 1, v32
	s_mov_b32 s20, -1
                                        ; implicit-def: $vgpr33
	s_delay_alu instid0(VALU_DEP_1)
	v_and_b32_e32 v32, 0xfff, v25
; %bb.20:                               ;   in Loop: Header=BB150_17 Depth=3
	s_and_not1_saveexec_b32 s21, s21
	s_cbranch_execz .LBB150_28
; %bb.21:                               ;   in Loop: Header=BB150_17 Depth=3
	v_dual_mov_b32 v25, s48 :: v_dual_mov_b32 v26, s49
	s_mov_b32 s23, -1
	s_mov_b32 s22, exec_lo
	ds_cmpstore_rtn_b64 v[25:26], v33, v[23:24], v[25:26]
	s_waitcnt lgkmcnt(0)
	v_cmpx_eq_u64_e64 s[48:49], v[25:26]
	s_cbranch_execz .LBB150_27
; %bb.22:                               ;   in Loop: Header=BB150_17 Depth=3
	v_lshlrev_b32_e32 v25, 3, v32
	s_mov_b32 s23, 0
	s_delay_alu instid0(VALU_DEP_1)
	v_add_nc_u32_e32 v33, v33, v25
	ds_load_b64 v[25:26], v33 offset:32768
.LBB150_23:                             ;   Parent Loop BB150_12 Depth=1
                                        ;     Parent Loop BB150_15 Depth=2
                                        ;       Parent Loop BB150_17 Depth=3
                                        ; =>      This Inner Loop Header: Depth=4
	s_waitcnt lgkmcnt(0)
	v_add_f64 v[34:35], v[25:26], v[19:20]
	ds_cmpstore_rtn_b64 v[34:35], v33, v[34:35], v[25:26] offset:32768
	s_waitcnt lgkmcnt(0)
	v_cmp_eq_u64_e32 vcc_lo, v[34:35], v[25:26]
	v_dual_mov_b32 v25, v34 :: v_dual_mov_b32 v26, v35
	s_or_b32 s23, vcc_lo, s23
	s_delay_alu instid0(SALU_CYCLE_1)
	s_and_not1_b32 exec_lo, exec_lo, s23
	s_cbranch_execnz .LBB150_23
; %bb.24:                               ;   in Loop: Header=BB150_17 Depth=3
	s_or_b32 exec_lo, exec_lo, s23
	ds_load_b64 v[25:26], v33 offset:32776
	s_mov_b32 s23, 0
.LBB150_25:                             ;   Parent Loop BB150_12 Depth=1
                                        ;     Parent Loop BB150_15 Depth=2
                                        ;       Parent Loop BB150_17 Depth=3
                                        ; =>      This Inner Loop Header: Depth=4
	s_waitcnt lgkmcnt(0)
	v_add_f64 v[34:35], v[25:26], v[21:22]
	ds_cmpstore_rtn_b64 v[34:35], v33, v[34:35], v[25:26] offset:32776
	s_waitcnt lgkmcnt(0)
	v_cmp_eq_u64_e32 vcc_lo, v[34:35], v[25:26]
	v_dual_mov_b32 v25, v34 :: v_dual_mov_b32 v26, v35
	s_or_b32 s23, vcc_lo, s23
	s_delay_alu instid0(SALU_CYCLE_1)
	s_and_not1_b32 exec_lo, exec_lo, s23
	s_cbranch_execnz .LBB150_25
; %bb.26:                               ;   in Loop: Header=BB150_17 Depth=3
	s_or_b32 exec_lo, exec_lo, s23
	s_delay_alu instid0(SALU_CYCLE_1)
	s_xor_b32 s23, exec_lo, -1
.LBB150_27:                             ;   in Loop: Header=BB150_17 Depth=3
	s_or_b32 exec_lo, exec_lo, s22
	s_delay_alu instid0(SALU_CYCLE_1) | instskip(SKIP_1) | instid1(SALU_CYCLE_1)
	s_and_not1_b32 s20, s20, exec_lo
	s_and_b32 s22, s23, exec_lo
	s_or_b32 s20, s20, s22
.LBB150_28:                             ;   in Loop: Header=BB150_17 Depth=3
	s_or_b32 exec_lo, exec_lo, s21
	s_delay_alu instid0(SALU_CYCLE_1)
	s_and_b32 s20, s20, exec_lo
                                        ; implicit-def: $vgpr33
.LBB150_29:                             ;   in Loop: Header=BB150_17 Depth=3
	s_and_not1_saveexec_b32 s19, s19
	s_cbranch_execz .LBB150_16
; %bb.30:                               ;   in Loop: Header=BB150_17 Depth=3
	v_lshlrev_b32_e32 v25, 3, v32
	s_mov_b32 s21, 0
	s_delay_alu instid0(VALU_DEP_1)
	v_add_nc_u32_e32 v33, v33, v25
	ds_load_b64 v[25:26], v33 offset:32768
.LBB150_31:                             ;   Parent Loop BB150_12 Depth=1
                                        ;     Parent Loop BB150_15 Depth=2
                                        ;       Parent Loop BB150_17 Depth=3
                                        ; =>      This Inner Loop Header: Depth=4
	s_waitcnt lgkmcnt(0)
	v_add_f64 v[34:35], v[25:26], v[19:20]
	ds_cmpstore_rtn_b64 v[34:35], v33, v[34:35], v[25:26] offset:32768
	s_waitcnt lgkmcnt(0)
	v_cmp_eq_u64_e32 vcc_lo, v[34:35], v[25:26]
	v_dual_mov_b32 v25, v34 :: v_dual_mov_b32 v26, v35
	s_or_b32 s21, vcc_lo, s21
	s_delay_alu instid0(SALU_CYCLE_1)
	s_and_not1_b32 exec_lo, exec_lo, s21
	s_cbranch_execnz .LBB150_31
; %bb.32:                               ;   in Loop: Header=BB150_17 Depth=3
	s_or_b32 exec_lo, exec_lo, s21
	ds_load_b64 v[25:26], v33 offset:32776
	s_mov_b32 s21, 0
.LBB150_33:                             ;   Parent Loop BB150_12 Depth=1
                                        ;     Parent Loop BB150_15 Depth=2
                                        ;       Parent Loop BB150_17 Depth=3
                                        ; =>      This Inner Loop Header: Depth=4
	s_waitcnt lgkmcnt(0)
	v_add_f64 v[34:35], v[25:26], v[21:22]
	ds_cmpstore_rtn_b64 v[34:35], v33, v[34:35], v[25:26] offset:32776
	s_waitcnt lgkmcnt(0)
	v_cmp_eq_u64_e32 vcc_lo, v[34:35], v[25:26]
	v_dual_mov_b32 v25, v34 :: v_dual_mov_b32 v26, v35
	s_or_b32 s21, vcc_lo, s21
	s_delay_alu instid0(SALU_CYCLE_1)
	s_and_not1_b32 exec_lo, exec_lo, s21
	s_cbranch_execnz .LBB150_33
; %bb.34:                               ;   in Loop: Header=BB150_17 Depth=3
	s_or_b32 exec_lo, exec_lo, s21
	s_delay_alu instid0(SALU_CYCLE_1)
	s_and_not1_b32 s20, s20, exec_lo
	s_branch .LBB150_16
.LBB150_35:
	s_or_b32 exec_lo, exec_lo, s2
.LBB150_36:
	s_delay_alu instid0(SALU_CYCLE_1)
	s_and_not1_b32 vcc_lo, exec_lo, s3
	s_cbranch_vccnz .LBB150_61
; %bb.37:
	s_waitcnt lgkmcnt(0)
	s_lshl_b64 s[0:1], s[50:51], 3
	v_sub_co_u32 v5, s4, v0, s47
	s_add_u32 s0, s36, s0
	s_addc_u32 s1, s37, s1
	v_sub_co_ci_u32_e64 v6, null, 0, 0, s4
	s_load_b128 s[0:3], s[0:1], 0x0
	s_waitcnt lgkmcnt(0)
	v_add_co_u32 v5, vcc_lo, s0, v5
	s_delay_alu instid0(VALU_DEP_2)
	v_add_co_ci_u32_e32 v6, vcc_lo, s1, v6, vcc_lo
	s_sub_u32 s0, s2, s47
	s_subb_u32 s1, s3, 0
	s_mov_b32 s2, 0
	s_mov_b32 s3, exec_lo
	v_cmpx_gt_i64_e64 s[0:1], v[5:6]
	s_cbranch_execz .LBB150_60
; %bb.38:
	s_mov_b32 s4, s47
	s_branch .LBB150_40
.LBB150_39:                             ;   in Loop: Header=BB150_40 Depth=1
	s_or_b32 exec_lo, exec_lo, s5
	v_add_co_u32 v5, vcc_lo, 0x400, v5
	v_add_co_ci_u32_e32 v6, vcc_lo, 0, v6, vcc_lo
	s_delay_alu instid0(VALU_DEP_1) | instskip(SKIP_1) | instid1(SALU_CYCLE_1)
	v_cmp_le_i64_e32 vcc_lo, s[0:1], v[5:6]
	s_or_b32 s2, vcc_lo, s2
	s_and_not1_b32 exec_lo, exec_lo, s2
	s_cbranch_execz .LBB150_60
.LBB150_40:                             ; =>This Loop Header: Depth=1
                                        ;     Child Loop BB150_42 Depth 2
                                        ;       Child Loop BB150_48 Depth 3
                                        ;       Child Loop BB150_50 Depth 3
	;; [unrolled: 1-line block ×4, first 2 shown]
	v_lshlrev_b64 v[7:8], 4, v[5:6]
	s_mov_b32 s5, 0
	s_delay_alu instid0(VALU_DEP_1) | instskip(NEXT) | instid1(VALU_DEP_2)
	v_add_co_u32 v7, vcc_lo, s40, v7
	v_add_co_ci_u32_e32 v8, vcc_lo, s41, v8, vcc_lo
	global_load_b128 v[9:12], v[7:8], off
	v_lshlrev_b64 v[7:8], 3, v[5:6]
	s_delay_alu instid0(VALU_DEP_1) | instskip(NEXT) | instid1(VALU_DEP_2)
	v_add_co_u32 v7, vcc_lo, s38, v7
	v_add_co_ci_u32_e32 v8, vcc_lo, s39, v8, vcc_lo
	global_load_b64 v[13:14], v[7:8], off
	s_waitcnt vmcnt(1)
	v_mul_f64 v[7:8], v[11:12], -v[1:2]
	v_mul_f64 v[11:12], v[3:4], v[11:12]
	s_delay_alu instid0(VALU_DEP_2) | instskip(NEXT) | instid1(VALU_DEP_2)
	v_fma_f64 v[7:8], v[3:4], v[9:10], v[7:8]
	v_fma_f64 v[9:10], v[1:2], v[9:10], v[11:12]
	s_waitcnt vmcnt(0)
	v_sub_co_u32 v11, vcc_lo, v13, s4
	v_subrev_co_ci_u32_e32 v12, vcc_lo, 0, v14, vcc_lo
	s_delay_alu instid0(VALU_DEP_2) | instskip(NEXT) | instid1(VALU_DEP_1)
	v_mul_lo_u32 v13, 0x89, v11
	v_and_b32_e32 v15, 0xfff, v13
	s_branch .LBB150_42
.LBB150_41:                             ;   in Loop: Header=BB150_42 Depth=2
	s_or_b32 exec_lo, exec_lo, s6
	s_xor_b32 s6, s7, -1
	s_delay_alu instid0(SALU_CYCLE_1) | instskip(NEXT) | instid1(SALU_CYCLE_1)
	s_and_b32 s6, exec_lo, s6
	s_or_b32 s5, s6, s5
	s_delay_alu instid0(SALU_CYCLE_1)
	s_and_not1_b32 exec_lo, exec_lo, s5
	s_cbranch_execz .LBB150_39
.LBB150_42:                             ;   Parent Loop BB150_40 Depth=1
                                        ; =>  This Loop Header: Depth=2
                                        ;       Child Loop BB150_48 Depth 3
                                        ;       Child Loop BB150_50 Depth 3
	;; [unrolled: 1-line block ×4, first 2 shown]
	s_delay_alu instid0(VALU_DEP_1)
	v_lshl_add_u32 v16, v15, 3, 0
	s_mov_b32 s6, exec_lo
                                        ; implicit-def: $sgpr7
	ds_load_b64 v[13:14], v16
	s_waitcnt lgkmcnt(0)
	v_cmpx_ne_u64_e64 v[13:14], v[11:12]
	s_xor_b32 s6, exec_lo, s6
	s_cbranch_execz .LBB150_54
; %bb.43:                               ;   in Loop: Header=BB150_42 Depth=2
	s_mov_b32 s8, exec_lo
                                        ; implicit-def: $sgpr7
	v_cmpx_ne_u64_e64 s[48:49], v[13:14]
	s_xor_b32 s8, exec_lo, s8
; %bb.44:                               ;   in Loop: Header=BB150_42 Depth=2
	v_add_nc_u32_e32 v13, 1, v15
	s_mov_b32 s7, -1
                                        ; implicit-def: $vgpr16
	s_delay_alu instid0(VALU_DEP_1)
	v_and_b32_e32 v15, 0xfff, v13
; %bb.45:                               ;   in Loop: Header=BB150_42 Depth=2
	s_and_not1_saveexec_b32 s8, s8
	s_cbranch_execz .LBB150_53
; %bb.46:                               ;   in Loop: Header=BB150_42 Depth=2
	v_dual_mov_b32 v13, s48 :: v_dual_mov_b32 v14, s49
	s_mov_b32 s10, -1
	s_mov_b32 s9, exec_lo
	ds_cmpstore_rtn_b64 v[13:14], v16, v[11:12], v[13:14]
	s_waitcnt lgkmcnt(0)
	v_cmpx_eq_u64_e64 s[48:49], v[13:14]
	s_cbranch_execz .LBB150_52
; %bb.47:                               ;   in Loop: Header=BB150_42 Depth=2
	v_lshlrev_b32_e32 v13, 3, v15
	s_mov_b32 s10, 0
	s_delay_alu instid0(VALU_DEP_1)
	v_add_nc_u32_e32 v16, v16, v13
	ds_load_b64 v[13:14], v16 offset:32768
.LBB150_48:                             ;   Parent Loop BB150_40 Depth=1
                                        ;     Parent Loop BB150_42 Depth=2
                                        ; =>    This Inner Loop Header: Depth=3
	s_waitcnt lgkmcnt(0)
	v_add_f64 v[17:18], v[13:14], v[7:8]
	ds_cmpstore_rtn_b64 v[17:18], v16, v[17:18], v[13:14] offset:32768
	s_waitcnt lgkmcnt(0)
	v_cmp_eq_u64_e32 vcc_lo, v[17:18], v[13:14]
	v_dual_mov_b32 v13, v17 :: v_dual_mov_b32 v14, v18
	s_or_b32 s10, vcc_lo, s10
	s_delay_alu instid0(SALU_CYCLE_1)
	s_and_not1_b32 exec_lo, exec_lo, s10
	s_cbranch_execnz .LBB150_48
; %bb.49:                               ;   in Loop: Header=BB150_42 Depth=2
	s_or_b32 exec_lo, exec_lo, s10
	ds_load_b64 v[13:14], v16 offset:32776
	s_mov_b32 s10, 0
.LBB150_50:                             ;   Parent Loop BB150_40 Depth=1
                                        ;     Parent Loop BB150_42 Depth=2
                                        ; =>    This Inner Loop Header: Depth=3
	s_waitcnt lgkmcnt(0)
	v_add_f64 v[17:18], v[13:14], v[9:10]
	ds_cmpstore_rtn_b64 v[17:18], v16, v[17:18], v[13:14] offset:32776
	s_waitcnt lgkmcnt(0)
	v_cmp_eq_u64_e32 vcc_lo, v[17:18], v[13:14]
	v_dual_mov_b32 v13, v17 :: v_dual_mov_b32 v14, v18
	s_or_b32 s10, vcc_lo, s10
	s_delay_alu instid0(SALU_CYCLE_1)
	s_and_not1_b32 exec_lo, exec_lo, s10
	s_cbranch_execnz .LBB150_50
; %bb.51:                               ;   in Loop: Header=BB150_42 Depth=2
	s_or_b32 exec_lo, exec_lo, s10
	s_delay_alu instid0(SALU_CYCLE_1)
	s_xor_b32 s10, exec_lo, -1
.LBB150_52:                             ;   in Loop: Header=BB150_42 Depth=2
	s_or_b32 exec_lo, exec_lo, s9
	s_delay_alu instid0(SALU_CYCLE_1) | instskip(SKIP_1) | instid1(SALU_CYCLE_1)
	s_and_not1_b32 s7, s7, exec_lo
	s_and_b32 s9, s10, exec_lo
	s_or_b32 s7, s7, s9
.LBB150_53:                             ;   in Loop: Header=BB150_42 Depth=2
	s_or_b32 exec_lo, exec_lo, s8
	s_delay_alu instid0(SALU_CYCLE_1)
	s_and_b32 s7, s7, exec_lo
                                        ; implicit-def: $vgpr16
.LBB150_54:                             ;   in Loop: Header=BB150_42 Depth=2
	s_and_not1_saveexec_b32 s6, s6
	s_cbranch_execz .LBB150_41
; %bb.55:                               ;   in Loop: Header=BB150_42 Depth=2
	v_lshlrev_b32_e32 v13, 3, v15
	s_mov_b32 s8, 0
	s_delay_alu instid0(VALU_DEP_1)
	v_add_nc_u32_e32 v16, v16, v13
	ds_load_b64 v[13:14], v16 offset:32768
.LBB150_56:                             ;   Parent Loop BB150_40 Depth=1
                                        ;     Parent Loop BB150_42 Depth=2
                                        ; =>    This Inner Loop Header: Depth=3
	s_waitcnt lgkmcnt(0)
	v_add_f64 v[17:18], v[13:14], v[7:8]
	ds_cmpstore_rtn_b64 v[17:18], v16, v[17:18], v[13:14] offset:32768
	s_waitcnt lgkmcnt(0)
	v_cmp_eq_u64_e32 vcc_lo, v[17:18], v[13:14]
	v_dual_mov_b32 v13, v17 :: v_dual_mov_b32 v14, v18
	s_or_b32 s8, vcc_lo, s8
	s_delay_alu instid0(SALU_CYCLE_1)
	s_and_not1_b32 exec_lo, exec_lo, s8
	s_cbranch_execnz .LBB150_56
; %bb.57:                               ;   in Loop: Header=BB150_42 Depth=2
	s_or_b32 exec_lo, exec_lo, s8
	ds_load_b64 v[13:14], v16 offset:32776
	s_mov_b32 s8, 0
.LBB150_58:                             ;   Parent Loop BB150_40 Depth=1
                                        ;     Parent Loop BB150_42 Depth=2
                                        ; =>    This Inner Loop Header: Depth=3
	s_waitcnt lgkmcnt(0)
	v_add_f64 v[17:18], v[13:14], v[9:10]
	ds_cmpstore_rtn_b64 v[17:18], v16, v[17:18], v[13:14] offset:32776
	s_waitcnt lgkmcnt(0)
	v_cmp_eq_u64_e32 vcc_lo, v[17:18], v[13:14]
	v_dual_mov_b32 v13, v17 :: v_dual_mov_b32 v14, v18
	s_or_b32 s8, vcc_lo, s8
	s_delay_alu instid0(SALU_CYCLE_1)
	s_and_not1_b32 exec_lo, exec_lo, s8
	s_cbranch_execnz .LBB150_58
; %bb.59:                               ;   in Loop: Header=BB150_42 Depth=2
	s_or_b32 exec_lo, exec_lo, s8
	s_delay_alu instid0(SALU_CYCLE_1)
	s_and_not1_b32 s7, s7, exec_lo
	s_branch .LBB150_41
.LBB150_60:
	s_or_b32 exec_lo, exec_lo, s3
.LBB150_61:
	v_mbcnt_lo_u32_b32 v1, -1, 0
	v_lshrrev_b32_e32 v2, 2, v0
	s_add_i32 s71, 0, 0x180f8
	v_cmp_eq_u32_e32 vcc_lo, 0x3ff, v0
	v_cmp_lt_u32_e64 s0, 31, v0
	v_xor_b32_e32 v1, 63, v1
	v_and_b32_e32 v3, 0xf8, v2
	v_cmp_lt_u32_e64 s1, 63, v0
	v_cmp_lt_u32_e64 s2, 0x5f, v0
	;; [unrolled: 1-line block ×3, first 2 shown]
	v_lshrrev_b64 v[1:2], v1, -1
	v_add3_u32 v10, 0, 0x18000, v3
	v_dual_mov_b32 v2, 0 :: v_dual_mov_b32 v5, 0
	v_cmp_lt_u32_e64 s4, 0x9f, v0
	v_cmp_lt_u32_e64 s5, 0xbf, v0
	;; [unrolled: 1-line block ×27, first 2 shown]
	v_mov_b32_e32 v3, 0
	v_mov_b32_e32 v11, s71
	s_mov_b32 s36, 0
	s_add_i32 s37, 0, 0x18000
	s_add_i32 s38, 0, 0x18008
	;; [unrolled: 1-line block ×31, first 2 shown]
	s_waitcnt lgkmcnt(0)
	s_barrier
	buffer_gl0_inv
	s_branch .LBB150_63
.LBB150_62:                             ;   in Loop: Header=BB150_63 Depth=1
	s_or_b32 exec_lo, exec_lo, s31
	s_waitcnt lgkmcnt(0)
	s_barrier
	buffer_gl0_inv
	ds_load_b64 v[6:7], v11
	v_add_nc_u32_e32 v27, 0x400, v27
	v_add_nc_u32_e32 v29, 0x4000, v29
	;; [unrolled: 1-line block ×3, first 2 shown]
	s_delay_alu instid0(VALU_DEP_3) | instskip(NEXT) | instid1(VALU_DEP_1)
	v_cmp_lt_u32_e64 s31, 0xbff, v27
	s_or_b32 s36, s31, s36
	s_waitcnt lgkmcnt(0)
	v_add_co_u32 v2, s33, v6, v2
	s_delay_alu instid0(VALU_DEP_1)
	v_add_co_ci_u32_e64 v3, s33, v7, v3, s33
	s_and_not1_b32 exec_lo, exec_lo, s36
	s_cbranch_execz .LBB150_129
.LBB150_63:                             ; =>This Inner Loop Header: Depth=1
	ds_load_b64 v[6:7], v28
	ds_load_2addr_b64 v[12:15], v29 offset1:1
	s_waitcnt lgkmcnt(1)
	v_cmp_gt_i64_e64 s31, s[48:49], v[6:7]
	s_waitcnt lgkmcnt(0)
	scratch_store_b128 off, v[12:15], off
	s_waitcnt_vscnt null, 0x0
	s_barrier
	buffer_gl0_inv
	v_and_b32_e32 v8, s31, v1
	s_bcnt1_i32_b32 s33, s31
	s_delay_alu instid0(SALU_CYCLE_1) | instskip(NEXT) | instid1(VALU_DEP_2)
	v_mov_b32_e32 v4, s33
	v_bcnt_u32_b32 v8, v8, 0
	ds_store_b64 v10, v[4:5]
	s_waitcnt lgkmcnt(0)
	s_barrier
	buffer_gl0_inv
	s_and_saveexec_b32 s33, s0
	s_cbranch_execnz .LBB150_96
; %bb.64:                               ;   in Loop: Header=BB150_63 Depth=1
	s_or_b32 exec_lo, exec_lo, s33
	s_and_saveexec_b32 s33, s1
	s_cbranch_execnz .LBB150_97
.LBB150_65:                             ;   in Loop: Header=BB150_63 Depth=1
	s_or_b32 exec_lo, exec_lo, s33
	s_and_saveexec_b32 s33, s2
	s_cbranch_execnz .LBB150_98
.LBB150_66:                             ;   in Loop: Header=BB150_63 Depth=1
	s_or_b32 exec_lo, exec_lo, s33
	s_and_saveexec_b32 s33, s3
	s_cbranch_execnz .LBB150_99
.LBB150_67:                             ;   in Loop: Header=BB150_63 Depth=1
	s_or_b32 exec_lo, exec_lo, s33
	s_and_saveexec_b32 s33, s4
	s_cbranch_execnz .LBB150_100
.LBB150_68:                             ;   in Loop: Header=BB150_63 Depth=1
	s_or_b32 exec_lo, exec_lo, s33
	s_and_saveexec_b32 s33, s5
	s_cbranch_execnz .LBB150_101
.LBB150_69:                             ;   in Loop: Header=BB150_63 Depth=1
	s_or_b32 exec_lo, exec_lo, s33
	s_and_saveexec_b32 s33, s6
	s_cbranch_execnz .LBB150_102
.LBB150_70:                             ;   in Loop: Header=BB150_63 Depth=1
	s_or_b32 exec_lo, exec_lo, s33
	s_and_saveexec_b32 s33, s7
	s_cbranch_execnz .LBB150_103
.LBB150_71:                             ;   in Loop: Header=BB150_63 Depth=1
	s_or_b32 exec_lo, exec_lo, s33
	s_and_saveexec_b32 s33, s8
	s_cbranch_execnz .LBB150_104
.LBB150_72:                             ;   in Loop: Header=BB150_63 Depth=1
	s_or_b32 exec_lo, exec_lo, s33
	s_and_saveexec_b32 s33, s9
	s_cbranch_execnz .LBB150_105
.LBB150_73:                             ;   in Loop: Header=BB150_63 Depth=1
	s_or_b32 exec_lo, exec_lo, s33
	s_and_saveexec_b32 s33, s10
	s_cbranch_execnz .LBB150_106
.LBB150_74:                             ;   in Loop: Header=BB150_63 Depth=1
	s_or_b32 exec_lo, exec_lo, s33
	s_and_saveexec_b32 s33, s11
	s_cbranch_execnz .LBB150_107
.LBB150_75:                             ;   in Loop: Header=BB150_63 Depth=1
	s_or_b32 exec_lo, exec_lo, s33
	s_and_saveexec_b32 s33, s12
	s_cbranch_execnz .LBB150_108
.LBB150_76:                             ;   in Loop: Header=BB150_63 Depth=1
	s_or_b32 exec_lo, exec_lo, s33
	s_and_saveexec_b32 s33, s13
	s_cbranch_execnz .LBB150_109
.LBB150_77:                             ;   in Loop: Header=BB150_63 Depth=1
	s_or_b32 exec_lo, exec_lo, s33
	s_and_saveexec_b32 s33, s14
	s_cbranch_execnz .LBB150_110
.LBB150_78:                             ;   in Loop: Header=BB150_63 Depth=1
	s_or_b32 exec_lo, exec_lo, s33
	s_and_saveexec_b32 s33, s15
	s_cbranch_execnz .LBB150_111
.LBB150_79:                             ;   in Loop: Header=BB150_63 Depth=1
	s_or_b32 exec_lo, exec_lo, s33
	s_and_saveexec_b32 s33, s16
	s_cbranch_execnz .LBB150_112
.LBB150_80:                             ;   in Loop: Header=BB150_63 Depth=1
	s_or_b32 exec_lo, exec_lo, s33
	s_and_saveexec_b32 s33, s17
	s_cbranch_execnz .LBB150_113
.LBB150_81:                             ;   in Loop: Header=BB150_63 Depth=1
	s_or_b32 exec_lo, exec_lo, s33
	s_and_saveexec_b32 s33, s18
	s_cbranch_execnz .LBB150_114
.LBB150_82:                             ;   in Loop: Header=BB150_63 Depth=1
	s_or_b32 exec_lo, exec_lo, s33
	s_and_saveexec_b32 s33, s19
	s_cbranch_execnz .LBB150_115
.LBB150_83:                             ;   in Loop: Header=BB150_63 Depth=1
	s_or_b32 exec_lo, exec_lo, s33
	s_and_saveexec_b32 s33, s20
	s_cbranch_execnz .LBB150_116
.LBB150_84:                             ;   in Loop: Header=BB150_63 Depth=1
	s_or_b32 exec_lo, exec_lo, s33
	s_and_saveexec_b32 s33, s21
	s_cbranch_execnz .LBB150_117
.LBB150_85:                             ;   in Loop: Header=BB150_63 Depth=1
	s_or_b32 exec_lo, exec_lo, s33
	s_and_saveexec_b32 s33, s22
	s_cbranch_execnz .LBB150_118
.LBB150_86:                             ;   in Loop: Header=BB150_63 Depth=1
	s_or_b32 exec_lo, exec_lo, s33
	s_and_saveexec_b32 s33, s23
	s_cbranch_execnz .LBB150_119
.LBB150_87:                             ;   in Loop: Header=BB150_63 Depth=1
	s_or_b32 exec_lo, exec_lo, s33
	s_and_saveexec_b32 s33, s24
	s_cbranch_execnz .LBB150_120
.LBB150_88:                             ;   in Loop: Header=BB150_63 Depth=1
	s_or_b32 exec_lo, exec_lo, s33
	s_and_saveexec_b32 s33, s25
	s_cbranch_execnz .LBB150_121
.LBB150_89:                             ;   in Loop: Header=BB150_63 Depth=1
	s_or_b32 exec_lo, exec_lo, s33
	s_and_saveexec_b32 s33, s26
	s_cbranch_execnz .LBB150_122
.LBB150_90:                             ;   in Loop: Header=BB150_63 Depth=1
	s_or_b32 exec_lo, exec_lo, s33
	s_and_saveexec_b32 s33, s27
	s_cbranch_execnz .LBB150_123
.LBB150_91:                             ;   in Loop: Header=BB150_63 Depth=1
	s_or_b32 exec_lo, exec_lo, s33
	s_and_saveexec_b32 s33, s28
	s_cbranch_execnz .LBB150_124
.LBB150_92:                             ;   in Loop: Header=BB150_63 Depth=1
	s_or_b32 exec_lo, exec_lo, s33
	s_and_saveexec_b32 s33, s29
	s_cbranch_execnz .LBB150_125
.LBB150_93:                             ;   in Loop: Header=BB150_63 Depth=1
	s_or_b32 exec_lo, exec_lo, s33
	s_and_saveexec_b32 s33, s30
	s_cbranch_execnz .LBB150_126
.LBB150_94:                             ;   in Loop: Header=BB150_63 Depth=1
	s_or_b32 exec_lo, exec_lo, s33
	v_ashrrev_i32_e32 v9, 31, v8
	s_and_saveexec_b32 s33, s31
	s_cbranch_execnz .LBB150_127
.LBB150_95:                             ;   in Loop: Header=BB150_63 Depth=1
	s_or_b32 exec_lo, exec_lo, s33
	s_and_saveexec_b32 s31, vcc_lo
	s_cbranch_execz .LBB150_62
	s_branch .LBB150_128
.LBB150_96:                             ;   in Loop: Header=BB150_63 Depth=1
	v_mov_b32_e32 v4, s37
	ds_load_b32 v4, v4
	s_waitcnt lgkmcnt(0)
	v_add_nc_u32_e32 v8, v4, v8
	s_or_b32 exec_lo, exec_lo, s33
	s_and_saveexec_b32 s33, s1
	s_cbranch_execz .LBB150_65
.LBB150_97:                             ;   in Loop: Header=BB150_63 Depth=1
	v_mov_b32_e32 v4, s38
	ds_load_b32 v4, v4
	s_waitcnt lgkmcnt(0)
	v_add_nc_u32_e32 v8, v8, v4
	s_or_b32 exec_lo, exec_lo, s33
	s_and_saveexec_b32 s33, s2
	s_cbranch_execz .LBB150_66
.LBB150_98:                             ;   in Loop: Header=BB150_63 Depth=1
	v_mov_b32_e32 v4, s39
	ds_load_b32 v4, v4
	s_waitcnt lgkmcnt(0)
	v_add_nc_u32_e32 v8, v8, v4
	s_or_b32 exec_lo, exec_lo, s33
	s_and_saveexec_b32 s33, s3
	s_cbranch_execz .LBB150_67
.LBB150_99:                             ;   in Loop: Header=BB150_63 Depth=1
	v_mov_b32_e32 v4, s40
	ds_load_b32 v4, v4
	s_waitcnt lgkmcnt(0)
	v_add_nc_u32_e32 v8, v8, v4
	s_or_b32 exec_lo, exec_lo, s33
	s_and_saveexec_b32 s33, s4
	s_cbranch_execz .LBB150_68
.LBB150_100:                            ;   in Loop: Header=BB150_63 Depth=1
	v_mov_b32_e32 v4, s41
	ds_load_b32 v4, v4
	s_waitcnt lgkmcnt(0)
	v_add_nc_u32_e32 v8, v8, v4
	s_or_b32 exec_lo, exec_lo, s33
	s_and_saveexec_b32 s33, s5
	s_cbranch_execz .LBB150_69
.LBB150_101:                            ;   in Loop: Header=BB150_63 Depth=1
	v_mov_b32_e32 v4, s44
	ds_load_b32 v4, v4
	s_waitcnt lgkmcnt(0)
	v_add_nc_u32_e32 v8, v8, v4
	s_or_b32 exec_lo, exec_lo, s33
	s_and_saveexec_b32 s33, s6
	s_cbranch_execz .LBB150_70
.LBB150_102:                            ;   in Loop: Header=BB150_63 Depth=1
	v_mov_b32_e32 v4, s45
	ds_load_b32 v4, v4
	s_waitcnt lgkmcnt(0)
	v_add_nc_u32_e32 v8, v8, v4
	s_or_b32 exec_lo, exec_lo, s33
	s_and_saveexec_b32 s33, s7
	s_cbranch_execz .LBB150_71
.LBB150_103:                            ;   in Loop: Header=BB150_63 Depth=1
	v_mov_b32_e32 v4, s47
	ds_load_b32 v4, v4
	s_waitcnt lgkmcnt(0)
	v_add_nc_u32_e32 v8, v8, v4
	s_or_b32 exec_lo, exec_lo, s33
	s_and_saveexec_b32 s33, s8
	s_cbranch_execz .LBB150_72
.LBB150_104:                            ;   in Loop: Header=BB150_63 Depth=1
	v_mov_b32_e32 v4, s52
	ds_load_b32 v4, v4
	s_waitcnt lgkmcnt(0)
	v_add_nc_u32_e32 v8, v8, v4
	s_or_b32 exec_lo, exec_lo, s33
	s_and_saveexec_b32 s33, s9
	s_cbranch_execz .LBB150_73
.LBB150_105:                            ;   in Loop: Header=BB150_63 Depth=1
	v_mov_b32_e32 v4, s53
	ds_load_b32 v4, v4
	s_waitcnt lgkmcnt(0)
	v_add_nc_u32_e32 v8, v8, v4
	s_or_b32 exec_lo, exec_lo, s33
	s_and_saveexec_b32 s33, s10
	s_cbranch_execz .LBB150_74
.LBB150_106:                            ;   in Loop: Header=BB150_63 Depth=1
	v_mov_b32_e32 v4, s54
	ds_load_b32 v4, v4
	s_waitcnt lgkmcnt(0)
	v_add_nc_u32_e32 v8, v8, v4
	s_or_b32 exec_lo, exec_lo, s33
	s_and_saveexec_b32 s33, s11
	s_cbranch_execz .LBB150_75
.LBB150_107:                            ;   in Loop: Header=BB150_63 Depth=1
	v_mov_b32_e32 v4, s55
	ds_load_b32 v4, v4
	s_waitcnt lgkmcnt(0)
	v_add_nc_u32_e32 v8, v8, v4
	s_or_b32 exec_lo, exec_lo, s33
	s_and_saveexec_b32 s33, s12
	s_cbranch_execz .LBB150_76
.LBB150_108:                            ;   in Loop: Header=BB150_63 Depth=1
	v_mov_b32_e32 v4, s56
	ds_load_b32 v4, v4
	s_waitcnt lgkmcnt(0)
	v_add_nc_u32_e32 v8, v8, v4
	s_or_b32 exec_lo, exec_lo, s33
	s_and_saveexec_b32 s33, s13
	s_cbranch_execz .LBB150_77
.LBB150_109:                            ;   in Loop: Header=BB150_63 Depth=1
	v_mov_b32_e32 v4, s57
	ds_load_b32 v4, v4
	s_waitcnt lgkmcnt(0)
	v_add_nc_u32_e32 v8, v8, v4
	s_or_b32 exec_lo, exec_lo, s33
	s_and_saveexec_b32 s33, s14
	s_cbranch_execz .LBB150_78
.LBB150_110:                            ;   in Loop: Header=BB150_63 Depth=1
	v_mov_b32_e32 v4, s58
	ds_load_b32 v4, v4
	s_waitcnt lgkmcnt(0)
	v_add_nc_u32_e32 v8, v8, v4
	s_or_b32 exec_lo, exec_lo, s33
	s_and_saveexec_b32 s33, s15
	s_cbranch_execz .LBB150_79
.LBB150_111:                            ;   in Loop: Header=BB150_63 Depth=1
	v_mov_b32_e32 v4, s59
	ds_load_b32 v4, v4
	s_waitcnt lgkmcnt(0)
	v_add_nc_u32_e32 v8, v8, v4
	s_or_b32 exec_lo, exec_lo, s33
	s_and_saveexec_b32 s33, s16
	s_cbranch_execz .LBB150_80
.LBB150_112:                            ;   in Loop: Header=BB150_63 Depth=1
	v_mov_b32_e32 v4, s60
	ds_load_b32 v4, v4
	s_waitcnt lgkmcnt(0)
	v_add_nc_u32_e32 v8, v8, v4
	s_or_b32 exec_lo, exec_lo, s33
	s_and_saveexec_b32 s33, s17
	s_cbranch_execz .LBB150_81
.LBB150_113:                            ;   in Loop: Header=BB150_63 Depth=1
	v_mov_b32_e32 v4, s61
	ds_load_b32 v4, v4
	s_waitcnt lgkmcnt(0)
	v_add_nc_u32_e32 v8, v8, v4
	s_or_b32 exec_lo, exec_lo, s33
	s_and_saveexec_b32 s33, s18
	s_cbranch_execz .LBB150_82
.LBB150_114:                            ;   in Loop: Header=BB150_63 Depth=1
	v_mov_b32_e32 v4, s62
	ds_load_b32 v4, v4
	s_waitcnt lgkmcnt(0)
	v_add_nc_u32_e32 v8, v8, v4
	s_or_b32 exec_lo, exec_lo, s33
	s_and_saveexec_b32 s33, s19
	s_cbranch_execz .LBB150_83
.LBB150_115:                            ;   in Loop: Header=BB150_63 Depth=1
	v_mov_b32_e32 v4, s63
	ds_load_b32 v4, v4
	s_waitcnt lgkmcnt(0)
	v_add_nc_u32_e32 v8, v8, v4
	s_or_b32 exec_lo, exec_lo, s33
	s_and_saveexec_b32 s33, s20
	s_cbranch_execz .LBB150_84
.LBB150_116:                            ;   in Loop: Header=BB150_63 Depth=1
	v_mov_b32_e32 v4, s64
	ds_load_b32 v4, v4
	s_waitcnt lgkmcnt(0)
	v_add_nc_u32_e32 v8, v8, v4
	s_or_b32 exec_lo, exec_lo, s33
	s_and_saveexec_b32 s33, s21
	s_cbranch_execz .LBB150_85
.LBB150_117:                            ;   in Loop: Header=BB150_63 Depth=1
	v_mov_b32_e32 v4, s65
	ds_load_b32 v4, v4
	s_waitcnt lgkmcnt(0)
	v_add_nc_u32_e32 v8, v8, v4
	s_or_b32 exec_lo, exec_lo, s33
	s_and_saveexec_b32 s33, s22
	s_cbranch_execz .LBB150_86
.LBB150_118:                            ;   in Loop: Header=BB150_63 Depth=1
	v_mov_b32_e32 v4, s66
	ds_load_b32 v4, v4
	s_waitcnt lgkmcnt(0)
	v_add_nc_u32_e32 v8, v8, v4
	s_or_b32 exec_lo, exec_lo, s33
	s_and_saveexec_b32 s33, s23
	s_cbranch_execz .LBB150_87
.LBB150_119:                            ;   in Loop: Header=BB150_63 Depth=1
	v_mov_b32_e32 v4, s67
	ds_load_b32 v4, v4
	s_waitcnt lgkmcnt(0)
	v_add_nc_u32_e32 v8, v8, v4
	s_or_b32 exec_lo, exec_lo, s33
	s_and_saveexec_b32 s33, s24
	s_cbranch_execz .LBB150_88
.LBB150_120:                            ;   in Loop: Header=BB150_63 Depth=1
	v_mov_b32_e32 v4, s68
	ds_load_b32 v4, v4
	s_waitcnt lgkmcnt(0)
	v_add_nc_u32_e32 v8, v8, v4
	s_or_b32 exec_lo, exec_lo, s33
	s_and_saveexec_b32 s33, s25
	s_cbranch_execz .LBB150_89
.LBB150_121:                            ;   in Loop: Header=BB150_63 Depth=1
	v_mov_b32_e32 v4, s69
	ds_load_b32 v4, v4
	s_waitcnt lgkmcnt(0)
	v_add_nc_u32_e32 v8, v8, v4
	s_or_b32 exec_lo, exec_lo, s33
	s_and_saveexec_b32 s33, s26
	s_cbranch_execz .LBB150_90
.LBB150_122:                            ;   in Loop: Header=BB150_63 Depth=1
	v_mov_b32_e32 v4, s70
	ds_load_b32 v4, v4
	s_waitcnt lgkmcnt(0)
	v_add_nc_u32_e32 v8, v8, v4
	s_or_b32 exec_lo, exec_lo, s33
	s_and_saveexec_b32 s33, s27
	s_cbranch_execz .LBB150_91
.LBB150_123:                            ;   in Loop: Header=BB150_63 Depth=1
	v_mov_b32_e32 v4, s72
	ds_load_b32 v4, v4
	s_waitcnt lgkmcnt(0)
	v_add_nc_u32_e32 v8, v8, v4
	s_or_b32 exec_lo, exec_lo, s33
	s_and_saveexec_b32 s33, s28
	s_cbranch_execz .LBB150_92
.LBB150_124:                            ;   in Loop: Header=BB150_63 Depth=1
	v_mov_b32_e32 v4, s73
	ds_load_b32 v4, v4
	s_waitcnt lgkmcnt(0)
	v_add_nc_u32_e32 v8, v8, v4
	s_or_b32 exec_lo, exec_lo, s33
	s_and_saveexec_b32 s33, s29
	s_cbranch_execz .LBB150_93
.LBB150_125:                            ;   in Loop: Header=BB150_63 Depth=1
	v_mov_b32_e32 v4, s74
	ds_load_b32 v4, v4
	s_waitcnt lgkmcnt(0)
	v_add_nc_u32_e32 v8, v8, v4
	s_or_b32 exec_lo, exec_lo, s33
	s_and_saveexec_b32 s33, s30
	s_cbranch_execz .LBB150_94
.LBB150_126:                            ;   in Loop: Header=BB150_63 Depth=1
	v_mov_b32_e32 v4, s75
	ds_load_b32 v4, v4
	s_waitcnt lgkmcnt(0)
	v_add_nc_u32_e32 v8, v8, v4
	s_or_b32 exec_lo, exec_lo, s33
	s_delay_alu instid0(VALU_DEP_1)
	v_ashrrev_i32_e32 v9, 31, v8
	s_and_saveexec_b32 s33, s31
	s_cbranch_execz .LBB150_95
.LBB150_127:                            ;   in Loop: Header=BB150_63 Depth=1
	scratch_load_b128 v[12:15], off, off
	v_add3_u32 v4, v2, -1, v8
	s_delay_alu instid0(VALU_DEP_1) | instskip(SKIP_1) | instid1(VALU_DEP_2)
	v_lshlrev_b32_e32 v16, 4, v4
	v_lshl_add_u32 v4, v4, 3, 0
	v_add3_u32 v16, 0, v16, 0x8000
	ds_store_b64 v4, v[6:7]
	s_waitcnt vmcnt(0)
	ds_store_2addr_b64 v16, v[12:13], v[14:15] offset1:1
	s_or_b32 exec_lo, exec_lo, s33
	s_and_saveexec_b32 s31, vcc_lo
	s_cbranch_execz .LBB150_62
.LBB150_128:                            ;   in Loop: Header=BB150_63 Depth=1
	v_mov_b32_e32 v4, s71
	ds_store_b64 v4, v[8:9]
	s_branch .LBB150_62
.LBB150_129:
	s_or_b32 exec_lo, exec_lo, s36
	s_lshl_b64 s[0:1], s[50:51], 3
	v_mov_b32_e32 v1, 0
	s_add_u32 s0, s42, s0
	s_addc_u32 s1, s43, s1
	s_mov_b32 s6, exec_lo
	s_load_b128 s[0:3], s[0:1], 0x0
	s_waitcnt lgkmcnt(0)
	s_sub_u32 s4, s2, s0
	s_subb_u32 s5, s3, s1
	s_delay_alu instid0(SALU_CYCLE_1)
	v_cmpx_gt_i64_e64 s[4:5], v[0:1]
	s_cbranch_execz .LBB150_139
; %bb.130:
	s_sub_u32 s8, s0, s46
	s_subb_u32 s9, s1, 0
	s_and_b32 s6, s4, 7
	s_sub_u32 s0, s0, s2
	s_subb_u32 s1, s1, s3
	s_mov_b32 s7, 0
	v_cmp_lt_u64_e64 s12, s[0:1], -7
	s_and_b32 s2, s4, -8
	s_cmp_lg_u64 s[6:7], 0
	s_mov_b32 s3, s5
	s_cselect_b32 s13, -1, 0
	s_mov_b32 s14, s7
	s_branch .LBB150_132
.LBB150_131:                            ;   in Loop: Header=BB150_132 Depth=1
	s_waitcnt lgkmcnt(0)
	v_lshlrev_b32_e32 v2, 3, v0
	v_add_co_u32 v0, vcc_lo, 0x400, v0
	v_add_co_ci_u32_e32 v1, vcc_lo, 0, v1, vcc_lo
	s_delay_alu instid0(VALU_DEP_3) | instskip(NEXT) | instid1(VALU_DEP_2)
	v_add3_u32 v2, v6, v2, 0x8000
	v_cmp_le_i64_e32 vcc_lo, s[4:5], v[0:1]
	ds_load_2addr_b64 v[6:9], v2 offset1:1
	v_lshlrev_b64 v[2:3], 4, v[4:5]
	s_or_b32 s14, vcc_lo, s14
	s_delay_alu instid0(VALU_DEP_1) | instskip(NEXT) | instid1(VALU_DEP_1)
	v_add_co_u32 v2, s0, s34, v2
	v_add_co_ci_u32_e64 v3, s0, s35, v3, s0
	s_waitcnt lgkmcnt(0)
	global_store_b128 v[2:3], v[6:9], off
	s_and_not1_b32 exec_lo, exec_lo, s14
	s_cbranch_execz .LBB150_139
.LBB150_132:                            ; =>This Loop Header: Depth=1
                                        ;     Child Loop BB150_134 Depth 2
                                        ;     Child Loop BB150_138 Depth 2
	v_lshl_add_u32 v6, v0, 3, 0
	v_dual_mov_b32 v4, s8 :: v_dual_mov_b32 v5, s9
	s_and_not1_b32 vcc_lo, exec_lo, s12
	s_mov_b64 s[0:1], 0
	ds_load_b64 v[2:3], v6
	s_cbranch_vccnz .LBB150_136
; %bb.133:                              ;   in Loop: Header=BB150_132 Depth=1
	v_dual_mov_b32 v4, s8 :: v_dual_mov_b32 v5, s9
	s_mov_b64 s[10:11], 0
	s_mov_b32 s1, 0
.LBB150_134:                            ;   Parent Loop BB150_132 Depth=1
                                        ; =>  This Inner Loop Header: Depth=2
	s_delay_alu instid0(SALU_CYCLE_1)
	v_mov_b32_e32 v19, s1
	s_add_u32 s10, s10, 8
	s_addc_u32 s11, s11, 0
	s_add_i32 s1, s1, 64
	s_cmp_eq_u64 s[2:3], s[10:11]
	ds_load_2addr_b64 v[7:10], v19 offset1:1
	ds_load_2addr_b64 v[11:14], v19 offset0:2 offset1:3
	ds_load_2addr_b64 v[15:18], v19 offset0:4 offset1:5
	;; [unrolled: 1-line block ×3, first 2 shown]
	s_waitcnt lgkmcnt(3)
	v_cmp_gt_i64_e32 vcc_lo, v[2:3], v[7:8]
	v_cndmask_b32_e64 v7, 0, 1, vcc_lo
	v_cmp_gt_i64_e32 vcc_lo, v[2:3], v[9:10]
	v_cndmask_b32_e64 v8, 0, 1, vcc_lo
	s_waitcnt lgkmcnt(2)
	v_cmp_gt_i64_e32 vcc_lo, v[2:3], v[11:12]
	v_cndmask_b32_e64 v9, 0, 1, vcc_lo
	v_cmp_gt_i64_e32 vcc_lo, v[2:3], v[13:14]
	v_cndmask_b32_e64 v10, 0, 1, vcc_lo
	s_waitcnt lgkmcnt(1)
	v_cmp_gt_i64_e32 vcc_lo, v[2:3], v[15:16]
	v_cndmask_b32_e64 v11, 0, 1, vcc_lo
	v_add_co_u32 v4, vcc_lo, v4, v7
	v_add_co_ci_u32_e32 v5, vcc_lo, 0, v5, vcc_lo
	v_cmp_gt_i64_e32 vcc_lo, v[2:3], v[17:18]
	s_delay_alu instid0(VALU_DEP_3) | instskip(NEXT) | instid1(VALU_DEP_1)
	v_add_co_u32 v4, s0, v4, v8
	v_add_co_ci_u32_e64 v5, s0, 0, v5, s0
	v_cndmask_b32_e64 v7, 0, 1, vcc_lo
	s_delay_alu instid0(VALU_DEP_3) | instskip(NEXT) | instid1(VALU_DEP_3)
	v_add_co_u32 v4, vcc_lo, v4, v9
	v_add_co_ci_u32_e32 v5, vcc_lo, 0, v5, vcc_lo
	s_waitcnt lgkmcnt(0)
	v_cmp_gt_i64_e32 vcc_lo, v[2:3], v[19:20]
	s_delay_alu instid0(VALU_DEP_3) | instskip(NEXT) | instid1(VALU_DEP_1)
	v_add_co_u32 v4, s0, v4, v10
	v_add_co_ci_u32_e64 v5, s0, 0, v5, s0
	v_cndmask_b32_e64 v8, 0, 1, vcc_lo
	s_delay_alu instid0(VALU_DEP_3) | instskip(NEXT) | instid1(VALU_DEP_3)
	v_add_co_u32 v4, vcc_lo, v4, v11
	v_add_co_ci_u32_e32 v5, vcc_lo, 0, v5, vcc_lo
	v_cmp_gt_i64_e32 vcc_lo, v[2:3], v[21:22]
	s_delay_alu instid0(VALU_DEP_3) | instskip(NEXT) | instid1(VALU_DEP_1)
	v_add_co_u32 v4, s0, v4, v7
	v_add_co_ci_u32_e64 v5, s0, 0, v5, s0
	v_cndmask_b32_e64 v7, 0, 1, vcc_lo
	s_delay_alu instid0(VALU_DEP_3) | instskip(NEXT) | instid1(VALU_DEP_3)
	v_add_co_u32 v4, vcc_lo, v4, v8
	v_add_co_ci_u32_e32 v5, vcc_lo, 0, v5, vcc_lo
	s_delay_alu instid0(VALU_DEP_2) | instskip(NEXT) | instid1(VALU_DEP_2)
	v_add_co_u32 v4, vcc_lo, v4, v7
	v_add_co_ci_u32_e32 v5, vcc_lo, 0, v5, vcc_lo
	s_cbranch_scc0 .LBB150_134
; %bb.135:                              ;   in Loop: Header=BB150_132 Depth=1
	s_mov_b64 s[0:1], s[2:3]
.LBB150_136:                            ;   in Loop: Header=BB150_132 Depth=1
	s_and_not1_b32 vcc_lo, exec_lo, s13
	s_cbranch_vccnz .LBB150_131
; %bb.137:                              ;   in Loop: Header=BB150_132 Depth=1
	s_lshl_b32 s0, s0, 3
	s_delay_alu instid0(SALU_CYCLE_1)
	s_add_i32 s10, s0, 0
	s_mov_b64 s[0:1], s[6:7]
.LBB150_138:                            ;   Parent Loop BB150_132 Depth=1
                                        ; =>  This Inner Loop Header: Depth=2
	v_mov_b32_e32 v7, s10
	s_add_i32 s10, s10, 8
	s_add_u32 s0, s0, -1
	s_addc_u32 s1, s1, -1
	s_delay_alu instid0(SALU_CYCLE_1) | instskip(SKIP_4) | instid1(VALU_DEP_1)
	s_cmp_lg_u64 s[0:1], 0
	ds_load_b64 v[7:8], v7
	s_waitcnt lgkmcnt(0)
	v_cmp_gt_i64_e32 vcc_lo, v[2:3], v[7:8]
	v_cndmask_b32_e64 v7, 0, 1, vcc_lo
	v_add_co_u32 v4, vcc_lo, v4, v7
	v_add_co_ci_u32_e32 v5, vcc_lo, 0, v5, vcc_lo
	s_cbranch_scc1 .LBB150_138
	s_branch .LBB150_131
.LBB150_139:
	s_nop 0
	s_sendmsg sendmsg(MSG_DEALLOC_VGPRS)
	s_endpgm
	.section	.rodata,"a",@progbits
	.p2align	6, 0x0
	.amdhsa_kernel _ZN9rocsparseL41csrgemm_numeric_fill_block_per_row_kernelILj1024ELj64ELj4096ELj137ELj32Ell21rocsparse_complex_numIdEEEvT5_PKS3_S5_NS_24const_host_device_scalarIT6_EEPKT4_S5_PKS7_SB_S5_SD_S8_SB_S5_SD_SB_S5_PS7_21rocsparse_index_base_SF_SF_SF_bbb
		.amdhsa_group_segment_fixed_size 0
		.amdhsa_private_segment_fixed_size 40
		.amdhsa_kernarg_size 172
		.amdhsa_user_sgpr_count 15
		.amdhsa_user_sgpr_dispatch_ptr 0
		.amdhsa_user_sgpr_queue_ptr 0
		.amdhsa_user_sgpr_kernarg_segment_ptr 1
		.amdhsa_user_sgpr_dispatch_id 0
		.amdhsa_user_sgpr_private_segment_size 0
		.amdhsa_wavefront_size32 1
		.amdhsa_uses_dynamic_stack 0
		.amdhsa_enable_private_segment 1
		.amdhsa_system_sgpr_workgroup_id_x 1
		.amdhsa_system_sgpr_workgroup_id_y 0
		.amdhsa_system_sgpr_workgroup_id_z 0
		.amdhsa_system_sgpr_workgroup_info 0
		.amdhsa_system_vgpr_workitem_id 0
		.amdhsa_next_free_vgpr 36
		.amdhsa_next_free_sgpr 76
		.amdhsa_reserve_vcc 1
		.amdhsa_float_round_mode_32 0
		.amdhsa_float_round_mode_16_64 0
		.amdhsa_float_denorm_mode_32 3
		.amdhsa_float_denorm_mode_16_64 3
		.amdhsa_dx10_clamp 1
		.amdhsa_ieee_mode 1
		.amdhsa_fp16_overflow 0
		.amdhsa_workgroup_processor_mode 1
		.amdhsa_memory_ordered 1
		.amdhsa_forward_progress 0
		.amdhsa_shared_vgpr_count 0
		.amdhsa_exception_fp_ieee_invalid_op 0
		.amdhsa_exception_fp_denorm_src 0
		.amdhsa_exception_fp_ieee_div_zero 0
		.amdhsa_exception_fp_ieee_overflow 0
		.amdhsa_exception_fp_ieee_underflow 0
		.amdhsa_exception_fp_ieee_inexact 0
		.amdhsa_exception_int_div_zero 0
	.end_amdhsa_kernel
	.section	.text._ZN9rocsparseL41csrgemm_numeric_fill_block_per_row_kernelILj1024ELj64ELj4096ELj137ELj32Ell21rocsparse_complex_numIdEEEvT5_PKS3_S5_NS_24const_host_device_scalarIT6_EEPKT4_S5_PKS7_SB_S5_SD_S8_SB_S5_SD_SB_S5_PS7_21rocsparse_index_base_SF_SF_SF_bbb,"axG",@progbits,_ZN9rocsparseL41csrgemm_numeric_fill_block_per_row_kernelILj1024ELj64ELj4096ELj137ELj32Ell21rocsparse_complex_numIdEEEvT5_PKS3_S5_NS_24const_host_device_scalarIT6_EEPKT4_S5_PKS7_SB_S5_SD_S8_SB_S5_SD_SB_S5_PS7_21rocsparse_index_base_SF_SF_SF_bbb,comdat
.Lfunc_end150:
	.size	_ZN9rocsparseL41csrgemm_numeric_fill_block_per_row_kernelILj1024ELj64ELj4096ELj137ELj32Ell21rocsparse_complex_numIdEEEvT5_PKS3_S5_NS_24const_host_device_scalarIT6_EEPKT4_S5_PKS7_SB_S5_SD_S8_SB_S5_SD_SB_S5_PS7_21rocsparse_index_base_SF_SF_SF_bbb, .Lfunc_end150-_ZN9rocsparseL41csrgemm_numeric_fill_block_per_row_kernelILj1024ELj64ELj4096ELj137ELj32Ell21rocsparse_complex_numIdEEEvT5_PKS3_S5_NS_24const_host_device_scalarIT6_EEPKT4_S5_PKS7_SB_S5_SD_S8_SB_S5_SD_SB_S5_PS7_21rocsparse_index_base_SF_SF_SF_bbb
                                        ; -- End function
	.section	.AMDGPU.csdata,"",@progbits
; Kernel info:
; codeLenInByte = 5628
; NumSgprs: 78
; NumVgprs: 36
; ScratchSize: 40
; MemoryBound: 0
; FloatMode: 240
; IeeeMode: 1
; LDSByteSize: 0 bytes/workgroup (compile time only)
; SGPRBlocks: 9
; VGPRBlocks: 4
; NumSGPRsForWavesPerEU: 78
; NumVGPRsForWavesPerEU: 36
; Occupancy: 16
; WaveLimiterHint : 1
; COMPUTE_PGM_RSRC2:SCRATCH_EN: 1
; COMPUTE_PGM_RSRC2:USER_SGPR: 15
; COMPUTE_PGM_RSRC2:TRAP_HANDLER: 0
; COMPUTE_PGM_RSRC2:TGID_X_EN: 1
; COMPUTE_PGM_RSRC2:TGID_Y_EN: 0
; COMPUTE_PGM_RSRC2:TGID_Z_EN: 0
; COMPUTE_PGM_RSRC2:TIDIG_COMP_CNT: 0
	.section	.text._ZN9rocsparseL41csrgemm_numeric_fill_block_per_row_kernelILj1024ELj64ELj4096ELj137ELj64Ell21rocsparse_complex_numIdEEEvT5_PKS3_S5_NS_24const_host_device_scalarIT6_EEPKT4_S5_PKS7_SB_S5_SD_S8_SB_S5_SD_SB_S5_PS7_21rocsparse_index_base_SF_SF_SF_bbb,"axG",@progbits,_ZN9rocsparseL41csrgemm_numeric_fill_block_per_row_kernelILj1024ELj64ELj4096ELj137ELj64Ell21rocsparse_complex_numIdEEEvT5_PKS3_S5_NS_24const_host_device_scalarIT6_EEPKT4_S5_PKS7_SB_S5_SD_S8_SB_S5_SD_SB_S5_PS7_21rocsparse_index_base_SF_SF_SF_bbb,comdat
	.globl	_ZN9rocsparseL41csrgemm_numeric_fill_block_per_row_kernelILj1024ELj64ELj4096ELj137ELj64Ell21rocsparse_complex_numIdEEEvT5_PKS3_S5_NS_24const_host_device_scalarIT6_EEPKT4_S5_PKS7_SB_S5_SD_S8_SB_S5_SD_SB_S5_PS7_21rocsparse_index_base_SF_SF_SF_bbb ; -- Begin function _ZN9rocsparseL41csrgemm_numeric_fill_block_per_row_kernelILj1024ELj64ELj4096ELj137ELj64Ell21rocsparse_complex_numIdEEEvT5_PKS3_S5_NS_24const_host_device_scalarIT6_EEPKT4_S5_PKS7_SB_S5_SD_S8_SB_S5_SD_SB_S5_PS7_21rocsparse_index_base_SF_SF_SF_bbb
	.p2align	8
	.type	_ZN9rocsparseL41csrgemm_numeric_fill_block_per_row_kernelILj1024ELj64ELj4096ELj137ELj64Ell21rocsparse_complex_numIdEEEvT5_PKS3_S5_NS_24const_host_device_scalarIT6_EEPKT4_S5_PKS7_SB_S5_SD_S8_SB_S5_SD_SB_S5_PS7_21rocsparse_index_base_SF_SF_SF_bbb,@function
_ZN9rocsparseL41csrgemm_numeric_fill_block_per_row_kernelILj1024ELj64ELj4096ELj137ELj64Ell21rocsparse_complex_numIdEEEvT5_PKS3_S5_NS_24const_host_device_scalarIT6_EEPKT4_S5_PKS7_SB_S5_SD_S8_SB_S5_SD_SB_S5_PS7_21rocsparse_index_base_SF_SF_SF_bbb: ; @_ZN9rocsparseL41csrgemm_numeric_fill_block_per_row_kernelILj1024ELj64ELj4096ELj137ELj64Ell21rocsparse_complex_numIdEEEvT5_PKS3_S5_NS_24const_host_device_scalarIT6_EEPKT4_S5_PKS7_SB_S5_SD_S8_SB_S5_SD_SB_S5_PS7_21rocsparse_index_base_SF_SF_SF_bbb
; %bb.0:
	s_clause 0x3
	s_load_b32 s42, s[0:1], 0xa8
	s_load_b128 s[4:7], s[0:1], 0x18
	s_load_b128 s[28:31], s[0:1], 0x58
	;; [unrolled: 1-line block ×3, first 2 shown]
	v_mov_b32_e32 v1, 0
	v_mov_b32_e32 v2, 0
	s_mov_b32 s40, s15
	s_waitcnt lgkmcnt(0)
	s_bitcmp1_b32 s42, 0
	v_mov_b32_e32 v3, s4
	s_cselect_b32 s33, -1, 0
	s_bitcmp1_b32 s42, 16
	v_dual_mov_b32 v6, v2 :: v_dual_mov_b32 v5, v1
	s_cselect_b32 s2, -1, 0
	v_mov_b32_e32 v4, s5
	s_xor_b32 s41, s2, -1
	v_dual_mov_b32 v9, s28 :: v_dual_mov_b32 v10, s29
	v_cndmask_b32_e64 v7, 0, 1, s41
	s_bitcmp0_b32 s42, 0
	s_clause 0x1
	scratch_store_b64 off, v[3:4], off offset:16
	scratch_store_b64 off, v[9:10], off offset:24
	v_cmp_ne_u32_e32 vcc_lo, 1, v7
	v_dual_mov_b32 v8, v2 :: v_dual_mov_b32 v7, v1
	s_cbranch_scc1 .LBB151_3
; %bb.1:
	s_mov_b64 s[8:9], src_private_base
	s_and_b32 s3, s2, exec_lo
	s_cselect_b32 s3, s9, s5
	s_delay_alu instid0(SALU_CYCLE_1) | instskip(SKIP_2) | instid1(VALU_DEP_2)
	v_dual_mov_b32 v3, 16 :: v_dual_mov_b32 v4, s3
	v_dual_mov_b32 v8, s7 :: v_dual_mov_b32 v7, s6
	s_and_b32 vcc_lo, exec_lo, vcc_lo
	v_cndmask_b32_e64 v3, s4, v3, s2
	flat_load_b64 v[5:6], v[3:4]
	s_cbranch_vccnz .LBB151_3
; %bb.2:
	v_dual_mov_b32 v3, s4 :: v_dual_mov_b32 v4, s5
	flat_load_b64 v[7:8], v[3:4] offset:8
.LBB151_3:
	s_clause 0x4
	s_load_b64 s[34:35], s[0:1], 0x90
	s_load_b256 s[12:19], s[0:1], 0x68
	s_load_b128 s[24:27], s[0:1], 0x48
	s_load_b128 s[36:39], s[0:1], 0x8
	s_load_b256 s[4:11], s[0:1], 0x28
	s_bitcmp1_b32 s42, 8
	v_dual_mov_b32 v4, v2 :: v_dual_mov_b32 v3, v1
	s_cselect_b32 s3, -1, 0
	s_bfe_u32 s42, s42, 0x10008
	s_delay_alu instid0(SALU_CYCLE_1)
	s_cmp_eq_u32 s42, 0
	s_cbranch_scc1 .LBB151_6
; %bb.4:
	s_mov_b64 s[42:43], src_private_base
	s_and_b32 s42, s2, exec_lo
	s_cselect_b32 s42, s43, s29
	s_delay_alu instid0(SALU_CYCLE_1) | instskip(SKIP_1) | instid1(VALU_DEP_1)
	v_dual_mov_b32 v1, 24 :: v_dual_mov_b32 v2, s42
	s_and_not1_b32 vcc_lo, exec_lo, s41
	v_cndmask_b32_e64 v1, s28, v1, s2
	flat_load_b64 v[3:4], v[1:2]
	v_dual_mov_b32 v1, s30 :: v_dual_mov_b32 v2, s31
	s_cbranch_vccnz .LBB151_6
; %bb.5:
	v_dual_mov_b32 v1, s28 :: v_dual_mov_b32 v2, s29
	flat_load_b64 v[1:2], v[1:2] offset:8
.LBB151_6:
	s_load_b64 s[28:29], s[0:1], 0x0
	s_mov_b32 s0, 0
	v_or_b32_e32 v27, 0xfffffc00, v0
	s_mov_b32 s1, s0
	s_delay_alu instid0(SALU_CYCLE_1) | instskip(SKIP_3) | instid1(VALU_DEP_2)
	v_dual_mov_b32 v10, s1 :: v_dual_lshlrev_b32 v11, 4, v0
	v_lshl_add_u32 v28, v0, 3, 0
	s_mov_b32 s30, s0
	s_mov_b32 s31, s0
	v_add3_u32 v29, v11, 0, 0x8000
	v_dual_mov_b32 v11, s30 :: v_dual_mov_b32 v16, v27
	v_dual_mov_b32 v9, s0 :: v_dual_mov_b32 v12, s31
	v_mov_b32_e32 v15, v28
	s_delay_alu instid0(VALU_DEP_4)
	v_mov_b32_e32 v17, v29
	s_waitcnt lgkmcnt(0)
	v_dual_mov_b32 v13, s28 :: v_dual_mov_b32 v14, s29
.LBB151_7:                              ; =>This Inner Loop Header: Depth=1
	v_add_nc_u32_e32 v16, 0x400, v16
	ds_store_b64 v15, v[13:14]
	ds_store_2addr_b64 v17, v[9:10], v[11:12] offset1:1
	v_add_nc_u32_e32 v17, 0x4000, v17
	v_add_nc_u32_e32 v15, 0x2000, v15
	v_cmp_lt_u32_e32 vcc_lo, 0xbff, v16
	s_or_b32 s0, vcc_lo, s0
	s_delay_alu instid0(SALU_CYCLE_1)
	s_and_not1_b32 exec_lo, exec_lo, s0
	s_cbranch_execnz .LBB151_7
; %bb.8:
	s_or_b32 exec_lo, exec_lo, s0
	s_waitcnt vmcnt(0) lgkmcnt(0)
	s_waitcnt_vscnt null, 0x0
	s_barrier
	buffer_gl0_inv
	s_load_b64 s[0:1], s[36:37], 0x0
	s_mov_b32 s41, 0
	v_lshrrev_b32_e32 v30, 6, v0
	s_waitcnt lgkmcnt(0)
	s_lshl_b64 s[0:1], s[0:1], 3
	s_delay_alu instid0(SALU_CYCLE_1) | instskip(SKIP_2) | instid1(SALU_CYCLE_1)
	s_add_u32 s2, s38, s0
	s_addc_u32 s30, s39, s1
	s_lshl_b64 s[0:1], s[40:41], 3
	s_add_u32 s0, s2, s0
	s_addc_u32 s1, s30, s1
	s_and_b32 vcc_lo, exec_lo, s33
	s_load_b64 s[30:31], s[0:1], 0x0
	s_cbranch_vccz .LBB151_36
; %bb.9:
	s_waitcnt lgkmcnt(0)
	s_lshl_b64 s[0:1], s[30:31], 3
	s_mov_b32 s2, exec_lo
	s_add_u32 s0, s4, s0
	s_addc_u32 s1, s5, s1
	s_load_b128 s[36:39], s[0:1], 0x0
	v_sub_co_u32 v9, s0, v30, s20
	s_delay_alu instid0(VALU_DEP_1) | instskip(SKIP_1) | instid1(VALU_DEP_2)
	v_sub_co_ci_u32_e64 v10, null, 0, 0, s0
	s_waitcnt lgkmcnt(0)
	v_add_co_u32 v9, vcc_lo, s36, v9
	s_delay_alu instid0(VALU_DEP_2)
	v_add_co_ci_u32_e32 v10, vcc_lo, s37, v10, vcc_lo
	s_sub_u32 s0, s38, s20
	s_subb_u32 s1, s39, 0
	s_delay_alu instid0(VALU_DEP_1) | instid1(SALU_CYCLE_1)
	v_cmpx_gt_i64_e64 s[0:1], v[9:10]
	s_cbranch_execz .LBB151_35
; %bb.10:
	v_and_b32_e32 v11, 63, v0
	s_mov_b32 s5, s21
	s_delay_alu instid0(VALU_DEP_1) | instskip(NEXT) | instid1(VALU_DEP_1)
	v_sub_co_u32 v31, s4, v11, s21
	v_sub_co_ci_u32_e64 v32, null, 0, 0, s4
	s_mov_b32 s4, 0
	s_branch .LBB151_12
.LBB151_11:                             ;   in Loop: Header=BB151_12 Depth=1
	s_or_b32 exec_lo, exec_lo, s21
	v_add_co_u32 v9, vcc_lo, v9, 16
	v_add_co_ci_u32_e32 v10, vcc_lo, 0, v10, vcc_lo
	s_delay_alu instid0(VALU_DEP_1) | instskip(SKIP_1) | instid1(SALU_CYCLE_1)
	v_cmp_le_i64_e32 vcc_lo, s[0:1], v[9:10]
	s_or_b32 s4, vcc_lo, s4
	s_and_not1_b32 exec_lo, exec_lo, s4
	s_cbranch_execz .LBB151_35
.LBB151_12:                             ; =>This Loop Header: Depth=1
                                        ;     Child Loop BB151_15 Depth 2
                                        ;       Child Loop BB151_17 Depth 3
                                        ;         Child Loop BB151_23 Depth 4
                                        ;         Child Loop BB151_25 Depth 4
	;; [unrolled: 1-line block ×4, first 2 shown]
	v_lshlrev_b64 v[11:12], 3, v[9:10]
	s_mov_b32 s21, exec_lo
	s_delay_alu instid0(VALU_DEP_1) | instskip(NEXT) | instid1(VALU_DEP_2)
	v_add_co_u32 v11, vcc_lo, s6, v11
	v_add_co_ci_u32_e32 v12, vcc_lo, s7, v12, vcc_lo
	global_load_b64 v[11:12], v[11:12], off
	s_waitcnt vmcnt(0)
	v_sub_co_u32 v11, vcc_lo, v11, s20
	v_subrev_co_ci_u32_e32 v12, vcc_lo, 0, v12, vcc_lo
	s_delay_alu instid0(VALU_DEP_1) | instskip(NEXT) | instid1(VALU_DEP_1)
	v_lshlrev_b64 v[11:12], 3, v[11:12]
	v_add_co_u32 v11, vcc_lo, s10, v11
	s_delay_alu instid0(VALU_DEP_2)
	v_add_co_ci_u32_e32 v12, vcc_lo, s11, v12, vcc_lo
	global_load_b128 v[13:16], v[11:12], off
	s_waitcnt vmcnt(0)
	v_sub_co_u32 v11, vcc_lo, v15, s5
	v_subrev_co_ci_u32_e32 v12, vcc_lo, 0, v16, vcc_lo
	v_add_co_u32 v13, vcc_lo, v13, v31
	v_add_co_ci_u32_e32 v14, vcc_lo, v14, v32, vcc_lo
	s_delay_alu instid0(VALU_DEP_1)
	v_cmpx_lt_i64_e64 v[13:14], v[11:12]
	s_cbranch_execz .LBB151_11
; %bb.13:                               ;   in Loop: Header=BB151_12 Depth=1
	v_lshlrev_b64 v[15:16], 4, v[9:10]
	s_mov_b32 s33, 0
	s_delay_alu instid0(VALU_DEP_1) | instskip(NEXT) | instid1(VALU_DEP_2)
	v_add_co_u32 v15, vcc_lo, s8, v15
	v_add_co_ci_u32_e32 v16, vcc_lo, s9, v16, vcc_lo
	global_load_b128 v[17:20], v[15:16], off
	s_waitcnt vmcnt(0)
	v_mul_f64 v[15:16], v[19:20], -v[7:8]
	v_mul_f64 v[19:20], v[5:6], v[19:20]
	s_delay_alu instid0(VALU_DEP_2) | instskip(NEXT) | instid1(VALU_DEP_2)
	v_fma_f64 v[15:16], v[5:6], v[17:18], v[15:16]
	v_fma_f64 v[17:18], v[7:8], v[17:18], v[19:20]
	s_branch .LBB151_15
.LBB151_14:                             ;   in Loop: Header=BB151_15 Depth=2
	s_or_b32 exec_lo, exec_lo, s36
	v_add_co_u32 v13, vcc_lo, v13, 64
	v_add_co_ci_u32_e32 v14, vcc_lo, 0, v14, vcc_lo
	s_delay_alu instid0(VALU_DEP_1) | instskip(SKIP_1) | instid1(SALU_CYCLE_1)
	v_cmp_ge_i64_e32 vcc_lo, v[13:14], v[11:12]
	s_or_b32 s33, vcc_lo, s33
	s_and_not1_b32 exec_lo, exec_lo, s33
	s_cbranch_execz .LBB151_11
.LBB151_15:                             ;   Parent Loop BB151_12 Depth=1
                                        ; =>  This Loop Header: Depth=2
                                        ;       Child Loop BB151_17 Depth 3
                                        ;         Child Loop BB151_23 Depth 4
                                        ;         Child Loop BB151_25 Depth 4
                                        ;         Child Loop BB151_31 Depth 4
                                        ;         Child Loop BB151_33 Depth 4
	v_lshlrev_b64 v[19:20], 4, v[13:14]
	s_mov_b32 s36, 0
	s_delay_alu instid0(VALU_DEP_1) | instskip(NEXT) | instid1(VALU_DEP_2)
	v_add_co_u32 v19, vcc_lo, s26, v19
	v_add_co_ci_u32_e32 v20, vcc_lo, s27, v20, vcc_lo
	global_load_b128 v[21:24], v[19:20], off
	v_lshlrev_b64 v[19:20], 3, v[13:14]
	s_delay_alu instid0(VALU_DEP_1) | instskip(NEXT) | instid1(VALU_DEP_2)
	v_add_co_u32 v19, vcc_lo, s24, v19
	v_add_co_ci_u32_e32 v20, vcc_lo, s25, v20, vcc_lo
	global_load_b64 v[25:26], v[19:20], off
	s_waitcnt vmcnt(1)
	v_mul_f64 v[19:20], v[23:24], -v[17:18]
	v_mul_f64 v[23:24], v[15:16], v[23:24]
	s_delay_alu instid0(VALU_DEP_2) | instskip(NEXT) | instid1(VALU_DEP_2)
	v_fma_f64 v[19:20], v[15:16], v[21:22], v[19:20]
	v_fma_f64 v[21:22], v[17:18], v[21:22], v[23:24]
	s_waitcnt vmcnt(0)
	v_sub_co_u32 v23, vcc_lo, v25, s5
	v_subrev_co_ci_u32_e32 v24, vcc_lo, 0, v26, vcc_lo
	s_delay_alu instid0(VALU_DEP_2) | instskip(NEXT) | instid1(VALU_DEP_1)
	v_mul_lo_u32 v25, 0x89, v23
	v_and_b32_e32 v33, 0xfff, v25
	s_branch .LBB151_17
.LBB151_16:                             ;   in Loop: Header=BB151_17 Depth=3
	s_or_b32 exec_lo, exec_lo, s37
	s_xor_b32 s37, s38, -1
	s_delay_alu instid0(SALU_CYCLE_1) | instskip(NEXT) | instid1(SALU_CYCLE_1)
	s_and_b32 s37, exec_lo, s37
	s_or_b32 s36, s37, s36
	s_delay_alu instid0(SALU_CYCLE_1)
	s_and_not1_b32 exec_lo, exec_lo, s36
	s_cbranch_execz .LBB151_14
.LBB151_17:                             ;   Parent Loop BB151_12 Depth=1
                                        ;     Parent Loop BB151_15 Depth=2
                                        ; =>    This Loop Header: Depth=3
                                        ;         Child Loop BB151_23 Depth 4
                                        ;         Child Loop BB151_25 Depth 4
	;; [unrolled: 1-line block ×4, first 2 shown]
	s_delay_alu instid0(VALU_DEP_1)
	v_lshl_add_u32 v34, v33, 3, 0
	s_mov_b32 s37, exec_lo
                                        ; implicit-def: $sgpr38
	ds_load_b64 v[25:26], v34
	s_waitcnt lgkmcnt(0)
	v_cmpx_ne_u64_e64 v[25:26], v[23:24]
	s_xor_b32 s37, exec_lo, s37
	s_cbranch_execz .LBB151_29
; %bb.18:                               ;   in Loop: Header=BB151_17 Depth=3
	s_mov_b32 s39, exec_lo
                                        ; implicit-def: $sgpr38
	v_cmpx_ne_u64_e64 s[28:29], v[25:26]
	s_xor_b32 s39, exec_lo, s39
; %bb.19:                               ;   in Loop: Header=BB151_17 Depth=3
	v_add_nc_u32_e32 v25, 1, v33
	s_mov_b32 s38, -1
                                        ; implicit-def: $vgpr34
	s_delay_alu instid0(VALU_DEP_1)
	v_and_b32_e32 v33, 0xfff, v25
; %bb.20:                               ;   in Loop: Header=BB151_17 Depth=3
	s_and_not1_saveexec_b32 s39, s39
	s_cbranch_execz .LBB151_28
; %bb.21:                               ;   in Loop: Header=BB151_17 Depth=3
	v_dual_mov_b32 v25, s28 :: v_dual_mov_b32 v26, s29
	s_mov_b32 s41, -1
	s_mov_b32 s40, exec_lo
	ds_cmpstore_rtn_b64 v[25:26], v34, v[23:24], v[25:26]
	s_waitcnt lgkmcnt(0)
	v_cmpx_eq_u64_e64 s[28:29], v[25:26]
	s_cbranch_execz .LBB151_27
; %bb.22:                               ;   in Loop: Header=BB151_17 Depth=3
	v_lshlrev_b32_e32 v25, 3, v33
	s_mov_b32 s41, 0
	s_delay_alu instid0(VALU_DEP_1)
	v_add_nc_u32_e32 v34, v34, v25
	ds_load_b64 v[25:26], v34 offset:32768
.LBB151_23:                             ;   Parent Loop BB151_12 Depth=1
                                        ;     Parent Loop BB151_15 Depth=2
                                        ;       Parent Loop BB151_17 Depth=3
                                        ; =>      This Inner Loop Header: Depth=4
	s_waitcnt lgkmcnt(0)
	v_add_f64 v[35:36], v[25:26], v[19:20]
	ds_cmpstore_rtn_b64 v[35:36], v34, v[35:36], v[25:26] offset:32768
	s_waitcnt lgkmcnt(0)
	v_cmp_eq_u64_e32 vcc_lo, v[35:36], v[25:26]
	v_dual_mov_b32 v25, v35 :: v_dual_mov_b32 v26, v36
	s_or_b32 s41, vcc_lo, s41
	s_delay_alu instid0(SALU_CYCLE_1)
	s_and_not1_b32 exec_lo, exec_lo, s41
	s_cbranch_execnz .LBB151_23
; %bb.24:                               ;   in Loop: Header=BB151_17 Depth=3
	s_or_b32 exec_lo, exec_lo, s41
	ds_load_b64 v[25:26], v34 offset:32776
	s_mov_b32 s41, 0
.LBB151_25:                             ;   Parent Loop BB151_12 Depth=1
                                        ;     Parent Loop BB151_15 Depth=2
                                        ;       Parent Loop BB151_17 Depth=3
                                        ; =>      This Inner Loop Header: Depth=4
	s_waitcnt lgkmcnt(0)
	v_add_f64 v[35:36], v[25:26], v[21:22]
	ds_cmpstore_rtn_b64 v[35:36], v34, v[35:36], v[25:26] offset:32776
	s_waitcnt lgkmcnt(0)
	v_cmp_eq_u64_e32 vcc_lo, v[35:36], v[25:26]
	v_dual_mov_b32 v25, v35 :: v_dual_mov_b32 v26, v36
	s_or_b32 s41, vcc_lo, s41
	s_delay_alu instid0(SALU_CYCLE_1)
	s_and_not1_b32 exec_lo, exec_lo, s41
	s_cbranch_execnz .LBB151_25
; %bb.26:                               ;   in Loop: Header=BB151_17 Depth=3
	s_or_b32 exec_lo, exec_lo, s41
	s_delay_alu instid0(SALU_CYCLE_1)
	s_xor_b32 s41, exec_lo, -1
.LBB151_27:                             ;   in Loop: Header=BB151_17 Depth=3
	s_or_b32 exec_lo, exec_lo, s40
	s_delay_alu instid0(SALU_CYCLE_1) | instskip(SKIP_1) | instid1(SALU_CYCLE_1)
	s_and_not1_b32 s38, s38, exec_lo
	s_and_b32 s40, s41, exec_lo
	s_or_b32 s38, s38, s40
.LBB151_28:                             ;   in Loop: Header=BB151_17 Depth=3
	s_or_b32 exec_lo, exec_lo, s39
	s_delay_alu instid0(SALU_CYCLE_1)
	s_and_b32 s38, s38, exec_lo
                                        ; implicit-def: $vgpr34
.LBB151_29:                             ;   in Loop: Header=BB151_17 Depth=3
	s_and_not1_saveexec_b32 s37, s37
	s_cbranch_execz .LBB151_16
; %bb.30:                               ;   in Loop: Header=BB151_17 Depth=3
	v_lshlrev_b32_e32 v25, 3, v33
	s_mov_b32 s39, 0
	s_delay_alu instid0(VALU_DEP_1)
	v_add_nc_u32_e32 v34, v34, v25
	ds_load_b64 v[25:26], v34 offset:32768
.LBB151_31:                             ;   Parent Loop BB151_12 Depth=1
                                        ;     Parent Loop BB151_15 Depth=2
                                        ;       Parent Loop BB151_17 Depth=3
                                        ; =>      This Inner Loop Header: Depth=4
	s_waitcnt lgkmcnt(0)
	v_add_f64 v[35:36], v[25:26], v[19:20]
	ds_cmpstore_rtn_b64 v[35:36], v34, v[35:36], v[25:26] offset:32768
	s_waitcnt lgkmcnt(0)
	v_cmp_eq_u64_e32 vcc_lo, v[35:36], v[25:26]
	v_dual_mov_b32 v25, v35 :: v_dual_mov_b32 v26, v36
	s_or_b32 s39, vcc_lo, s39
	s_delay_alu instid0(SALU_CYCLE_1)
	s_and_not1_b32 exec_lo, exec_lo, s39
	s_cbranch_execnz .LBB151_31
; %bb.32:                               ;   in Loop: Header=BB151_17 Depth=3
	s_or_b32 exec_lo, exec_lo, s39
	ds_load_b64 v[25:26], v34 offset:32776
	s_mov_b32 s39, 0
.LBB151_33:                             ;   Parent Loop BB151_12 Depth=1
                                        ;     Parent Loop BB151_15 Depth=2
                                        ;       Parent Loop BB151_17 Depth=3
                                        ; =>      This Inner Loop Header: Depth=4
	s_waitcnt lgkmcnt(0)
	v_add_f64 v[35:36], v[25:26], v[21:22]
	ds_cmpstore_rtn_b64 v[35:36], v34, v[35:36], v[25:26] offset:32776
	s_waitcnt lgkmcnt(0)
	v_cmp_eq_u64_e32 vcc_lo, v[35:36], v[25:26]
	v_dual_mov_b32 v25, v35 :: v_dual_mov_b32 v26, v36
	s_or_b32 s39, vcc_lo, s39
	s_delay_alu instid0(SALU_CYCLE_1)
	s_and_not1_b32 exec_lo, exec_lo, s39
	s_cbranch_execnz .LBB151_33
; %bb.34:                               ;   in Loop: Header=BB151_17 Depth=3
	s_or_b32 exec_lo, exec_lo, s39
	s_delay_alu instid0(SALU_CYCLE_1)
	s_and_not1_b32 s38, s38, exec_lo
	s_branch .LBB151_16
.LBB151_35:
	s_or_b32 exec_lo, exec_lo, s2
.LBB151_36:
	s_delay_alu instid0(SALU_CYCLE_1)
	s_and_not1_b32 vcc_lo, exec_lo, s3
	s_cbranch_vccnz .LBB151_61
; %bb.37:
	s_waitcnt lgkmcnt(0)
	s_lshl_b64 s[0:1], s[30:31], 3
	v_sub_co_u32 v5, s4, v0, s23
	s_add_u32 s0, s12, s0
	s_addc_u32 s1, s13, s1
	v_sub_co_ci_u32_e64 v6, null, 0, 0, s4
	s_load_b128 s[0:3], s[0:1], 0x0
	s_waitcnt lgkmcnt(0)
	v_add_co_u32 v5, vcc_lo, s0, v5
	s_delay_alu instid0(VALU_DEP_2)
	v_add_co_ci_u32_e32 v6, vcc_lo, s1, v6, vcc_lo
	s_sub_u32 s0, s2, s23
	s_subb_u32 s1, s3, 0
	s_mov_b32 s2, 0
	s_mov_b32 s3, exec_lo
	v_cmpx_gt_i64_e64 s[0:1], v[5:6]
	s_cbranch_execz .LBB151_60
; %bb.38:
	s_mov_b32 s4, s23
	s_branch .LBB151_40
.LBB151_39:                             ;   in Loop: Header=BB151_40 Depth=1
	s_or_b32 exec_lo, exec_lo, s5
	v_add_co_u32 v5, vcc_lo, 0x400, v5
	v_add_co_ci_u32_e32 v6, vcc_lo, 0, v6, vcc_lo
	s_delay_alu instid0(VALU_DEP_1) | instskip(SKIP_1) | instid1(SALU_CYCLE_1)
	v_cmp_le_i64_e32 vcc_lo, s[0:1], v[5:6]
	s_or_b32 s2, vcc_lo, s2
	s_and_not1_b32 exec_lo, exec_lo, s2
	s_cbranch_execz .LBB151_60
.LBB151_40:                             ; =>This Loop Header: Depth=1
                                        ;     Child Loop BB151_42 Depth 2
                                        ;       Child Loop BB151_48 Depth 3
                                        ;       Child Loop BB151_50 Depth 3
                                        ;       Child Loop BB151_56 Depth 3
                                        ;       Child Loop BB151_58 Depth 3
	v_lshlrev_b64 v[7:8], 4, v[5:6]
	s_mov_b32 s5, 0
	s_delay_alu instid0(VALU_DEP_1) | instskip(NEXT) | instid1(VALU_DEP_2)
	v_add_co_u32 v7, vcc_lo, s16, v7
	v_add_co_ci_u32_e32 v8, vcc_lo, s17, v8, vcc_lo
	global_load_b128 v[9:12], v[7:8], off
	v_lshlrev_b64 v[7:8], 3, v[5:6]
	s_delay_alu instid0(VALU_DEP_1) | instskip(NEXT) | instid1(VALU_DEP_2)
	v_add_co_u32 v7, vcc_lo, s14, v7
	v_add_co_ci_u32_e32 v8, vcc_lo, s15, v8, vcc_lo
	global_load_b64 v[13:14], v[7:8], off
	s_waitcnt vmcnt(1)
	v_mul_f64 v[7:8], v[11:12], -v[1:2]
	v_mul_f64 v[11:12], v[3:4], v[11:12]
	s_delay_alu instid0(VALU_DEP_2) | instskip(NEXT) | instid1(VALU_DEP_2)
	v_fma_f64 v[7:8], v[3:4], v[9:10], v[7:8]
	v_fma_f64 v[9:10], v[1:2], v[9:10], v[11:12]
	s_waitcnt vmcnt(0)
	v_sub_co_u32 v11, vcc_lo, v13, s4
	v_subrev_co_ci_u32_e32 v12, vcc_lo, 0, v14, vcc_lo
	s_delay_alu instid0(VALU_DEP_2) | instskip(NEXT) | instid1(VALU_DEP_1)
	v_mul_lo_u32 v13, 0x89, v11
	v_and_b32_e32 v15, 0xfff, v13
	s_branch .LBB151_42
.LBB151_41:                             ;   in Loop: Header=BB151_42 Depth=2
	s_or_b32 exec_lo, exec_lo, s6
	s_xor_b32 s6, s7, -1
	s_delay_alu instid0(SALU_CYCLE_1) | instskip(NEXT) | instid1(SALU_CYCLE_1)
	s_and_b32 s6, exec_lo, s6
	s_or_b32 s5, s6, s5
	s_delay_alu instid0(SALU_CYCLE_1)
	s_and_not1_b32 exec_lo, exec_lo, s5
	s_cbranch_execz .LBB151_39
.LBB151_42:                             ;   Parent Loop BB151_40 Depth=1
                                        ; =>  This Loop Header: Depth=2
                                        ;       Child Loop BB151_48 Depth 3
                                        ;       Child Loop BB151_50 Depth 3
	;; [unrolled: 1-line block ×4, first 2 shown]
	s_delay_alu instid0(VALU_DEP_1)
	v_lshl_add_u32 v16, v15, 3, 0
	s_mov_b32 s6, exec_lo
                                        ; implicit-def: $sgpr7
	ds_load_b64 v[13:14], v16
	s_waitcnt lgkmcnt(0)
	v_cmpx_ne_u64_e64 v[13:14], v[11:12]
	s_xor_b32 s6, exec_lo, s6
	s_cbranch_execz .LBB151_54
; %bb.43:                               ;   in Loop: Header=BB151_42 Depth=2
	s_mov_b32 s8, exec_lo
                                        ; implicit-def: $sgpr7
	v_cmpx_ne_u64_e64 s[28:29], v[13:14]
	s_xor_b32 s8, exec_lo, s8
; %bb.44:                               ;   in Loop: Header=BB151_42 Depth=2
	v_add_nc_u32_e32 v13, 1, v15
	s_mov_b32 s7, -1
                                        ; implicit-def: $vgpr16
	s_delay_alu instid0(VALU_DEP_1)
	v_and_b32_e32 v15, 0xfff, v13
; %bb.45:                               ;   in Loop: Header=BB151_42 Depth=2
	s_and_not1_saveexec_b32 s8, s8
	s_cbranch_execz .LBB151_53
; %bb.46:                               ;   in Loop: Header=BB151_42 Depth=2
	v_dual_mov_b32 v13, s28 :: v_dual_mov_b32 v14, s29
	s_mov_b32 s10, -1
	s_mov_b32 s9, exec_lo
	ds_cmpstore_rtn_b64 v[13:14], v16, v[11:12], v[13:14]
	s_waitcnt lgkmcnt(0)
	v_cmpx_eq_u64_e64 s[28:29], v[13:14]
	s_cbranch_execz .LBB151_52
; %bb.47:                               ;   in Loop: Header=BB151_42 Depth=2
	v_lshlrev_b32_e32 v13, 3, v15
	s_mov_b32 s10, 0
	s_delay_alu instid0(VALU_DEP_1)
	v_add_nc_u32_e32 v16, v16, v13
	ds_load_b64 v[13:14], v16 offset:32768
.LBB151_48:                             ;   Parent Loop BB151_40 Depth=1
                                        ;     Parent Loop BB151_42 Depth=2
                                        ; =>    This Inner Loop Header: Depth=3
	s_waitcnt lgkmcnt(0)
	v_add_f64 v[17:18], v[13:14], v[7:8]
	ds_cmpstore_rtn_b64 v[17:18], v16, v[17:18], v[13:14] offset:32768
	s_waitcnt lgkmcnt(0)
	v_cmp_eq_u64_e32 vcc_lo, v[17:18], v[13:14]
	v_dual_mov_b32 v13, v17 :: v_dual_mov_b32 v14, v18
	s_or_b32 s10, vcc_lo, s10
	s_delay_alu instid0(SALU_CYCLE_1)
	s_and_not1_b32 exec_lo, exec_lo, s10
	s_cbranch_execnz .LBB151_48
; %bb.49:                               ;   in Loop: Header=BB151_42 Depth=2
	s_or_b32 exec_lo, exec_lo, s10
	ds_load_b64 v[13:14], v16 offset:32776
	s_mov_b32 s10, 0
.LBB151_50:                             ;   Parent Loop BB151_40 Depth=1
                                        ;     Parent Loop BB151_42 Depth=2
                                        ; =>    This Inner Loop Header: Depth=3
	s_waitcnt lgkmcnt(0)
	v_add_f64 v[17:18], v[13:14], v[9:10]
	ds_cmpstore_rtn_b64 v[17:18], v16, v[17:18], v[13:14] offset:32776
	s_waitcnt lgkmcnt(0)
	v_cmp_eq_u64_e32 vcc_lo, v[17:18], v[13:14]
	v_dual_mov_b32 v13, v17 :: v_dual_mov_b32 v14, v18
	s_or_b32 s10, vcc_lo, s10
	s_delay_alu instid0(SALU_CYCLE_1)
	s_and_not1_b32 exec_lo, exec_lo, s10
	s_cbranch_execnz .LBB151_50
; %bb.51:                               ;   in Loop: Header=BB151_42 Depth=2
	s_or_b32 exec_lo, exec_lo, s10
	s_delay_alu instid0(SALU_CYCLE_1)
	s_xor_b32 s10, exec_lo, -1
.LBB151_52:                             ;   in Loop: Header=BB151_42 Depth=2
	s_or_b32 exec_lo, exec_lo, s9
	s_delay_alu instid0(SALU_CYCLE_1) | instskip(SKIP_1) | instid1(SALU_CYCLE_1)
	s_and_not1_b32 s7, s7, exec_lo
	s_and_b32 s9, s10, exec_lo
	s_or_b32 s7, s7, s9
.LBB151_53:                             ;   in Loop: Header=BB151_42 Depth=2
	s_or_b32 exec_lo, exec_lo, s8
	s_delay_alu instid0(SALU_CYCLE_1)
	s_and_b32 s7, s7, exec_lo
                                        ; implicit-def: $vgpr16
.LBB151_54:                             ;   in Loop: Header=BB151_42 Depth=2
	s_and_not1_saveexec_b32 s6, s6
	s_cbranch_execz .LBB151_41
; %bb.55:                               ;   in Loop: Header=BB151_42 Depth=2
	v_lshlrev_b32_e32 v13, 3, v15
	s_mov_b32 s8, 0
	s_delay_alu instid0(VALU_DEP_1)
	v_add_nc_u32_e32 v16, v16, v13
	ds_load_b64 v[13:14], v16 offset:32768
.LBB151_56:                             ;   Parent Loop BB151_40 Depth=1
                                        ;     Parent Loop BB151_42 Depth=2
                                        ; =>    This Inner Loop Header: Depth=3
	s_waitcnt lgkmcnt(0)
	v_add_f64 v[17:18], v[13:14], v[7:8]
	ds_cmpstore_rtn_b64 v[17:18], v16, v[17:18], v[13:14] offset:32768
	s_waitcnt lgkmcnt(0)
	v_cmp_eq_u64_e32 vcc_lo, v[17:18], v[13:14]
	v_dual_mov_b32 v13, v17 :: v_dual_mov_b32 v14, v18
	s_or_b32 s8, vcc_lo, s8
	s_delay_alu instid0(SALU_CYCLE_1)
	s_and_not1_b32 exec_lo, exec_lo, s8
	s_cbranch_execnz .LBB151_56
; %bb.57:                               ;   in Loop: Header=BB151_42 Depth=2
	s_or_b32 exec_lo, exec_lo, s8
	ds_load_b64 v[13:14], v16 offset:32776
	s_mov_b32 s8, 0
.LBB151_58:                             ;   Parent Loop BB151_40 Depth=1
                                        ;     Parent Loop BB151_42 Depth=2
                                        ; =>    This Inner Loop Header: Depth=3
	s_waitcnt lgkmcnt(0)
	v_add_f64 v[17:18], v[13:14], v[9:10]
	ds_cmpstore_rtn_b64 v[17:18], v16, v[17:18], v[13:14] offset:32776
	s_waitcnt lgkmcnt(0)
	v_cmp_eq_u64_e32 vcc_lo, v[17:18], v[13:14]
	v_dual_mov_b32 v13, v17 :: v_dual_mov_b32 v14, v18
	s_or_b32 s8, vcc_lo, s8
	s_delay_alu instid0(SALU_CYCLE_1)
	s_and_not1_b32 exec_lo, exec_lo, s8
	s_cbranch_execnz .LBB151_58
; %bb.59:                               ;   in Loop: Header=BB151_42 Depth=2
	s_or_b32 exec_lo, exec_lo, s8
	s_delay_alu instid0(SALU_CYCLE_1)
	s_and_not1_b32 s7, s7, exec_lo
	s_branch .LBB151_41
.LBB151_60:
	s_or_b32 exec_lo, exec_lo, s3
.LBB151_61:
	v_mbcnt_lo_u32_b32 v1, -1, 0
	v_dual_mov_b32 v5, 0 :: v_dual_lshlrev_b32 v2, 3, v30
	s_add_i32 s39, 0, 0x18078
	v_cmp_eq_u32_e32 vcc_lo, 0x3ff, v0
	s_delay_alu instid0(VALU_DEP_3) | instskip(NEXT) | instid1(VALU_DEP_3)
	v_xor_b32_e32 v1, 63, v1
	v_add3_u32 v10, 0, 0x18000, v2
	v_cmp_lt_u32_e64 s0, 63, v0
	v_cmp_lt_u32_e64 s1, 0x7f, v0
	;; [unrolled: 1-line block ×3, first 2 shown]
	v_lshrrev_b64 v[1:2], v1, -1
	v_dual_mov_b32 v2, 0 :: v_dual_mov_b32 v11, s39
	v_cmp_lt_u32_e64 s3, 0xff, v0
	v_cmp_lt_u32_e64 s4, 0x13f, v0
	;; [unrolled: 1-line block ×12, first 2 shown]
	v_mov_b32_e32 v3, 0
	s_mov_b32 s17, 0
	s_add_i32 s20, 0, 0x18000
	s_add_i32 s21, 0, 0x18008
	;; [unrolled: 1-line block ×15, first 2 shown]
	s_waitcnt lgkmcnt(0)
	s_barrier
	buffer_gl0_inv
	s_branch .LBB151_63
.LBB151_62:                             ;   in Loop: Header=BB151_63 Depth=1
	s_or_b32 exec_lo, exec_lo, s15
	s_waitcnt lgkmcnt(0)
	s_barrier
	buffer_gl0_inv
	ds_load_b64 v[6:7], v11
	v_add_nc_u32_e32 v27, 0x400, v27
	v_add_nc_u32_e32 v29, 0x4000, v29
	;; [unrolled: 1-line block ×3, first 2 shown]
	s_delay_alu instid0(VALU_DEP_3) | instskip(NEXT) | instid1(VALU_DEP_1)
	v_cmp_lt_u32_e64 s15, 0xbff, v27
	s_or_b32 s17, s15, s17
	s_waitcnt lgkmcnt(0)
	v_add_co_u32 v2, s16, v6, v2
	s_delay_alu instid0(VALU_DEP_1)
	v_add_co_ci_u32_e64 v3, s16, v7, v3, s16
	s_and_not1_b32 exec_lo, exec_lo, s17
	s_cbranch_execz .LBB151_97
.LBB151_63:                             ; =>This Inner Loop Header: Depth=1
	ds_load_b64 v[6:7], v28
	ds_load_2addr_b64 v[12:15], v29 offset1:1
	s_waitcnt lgkmcnt(1)
	v_cmp_gt_i64_e64 s15, s[28:29], v[6:7]
	s_waitcnt lgkmcnt(0)
	scratch_store_b128 off, v[12:15], off
	s_waitcnt_vscnt null, 0x0
	s_barrier
	buffer_gl0_inv
	v_and_b32_e32 v8, s15, v1
	s_bcnt1_i32_b32 s16, s15
	s_delay_alu instid0(SALU_CYCLE_1) | instskip(NEXT) | instid1(VALU_DEP_2)
	v_mov_b32_e32 v4, s16
	v_bcnt_u32_b32 v8, v8, 0
	ds_store_b64 v10, v[4:5]
	s_waitcnt lgkmcnt(0)
	s_barrier
	buffer_gl0_inv
	s_and_saveexec_b32 s16, s0
	s_cbranch_execnz .LBB151_80
; %bb.64:                               ;   in Loop: Header=BB151_63 Depth=1
	s_or_b32 exec_lo, exec_lo, s16
	s_and_saveexec_b32 s16, s1
	s_cbranch_execnz .LBB151_81
.LBB151_65:                             ;   in Loop: Header=BB151_63 Depth=1
	s_or_b32 exec_lo, exec_lo, s16
	s_and_saveexec_b32 s16, s2
	s_cbranch_execnz .LBB151_82
.LBB151_66:                             ;   in Loop: Header=BB151_63 Depth=1
	s_or_b32 exec_lo, exec_lo, s16
	s_and_saveexec_b32 s16, s3
	s_cbranch_execnz .LBB151_83
.LBB151_67:                             ;   in Loop: Header=BB151_63 Depth=1
	s_or_b32 exec_lo, exec_lo, s16
	s_and_saveexec_b32 s16, s4
	s_cbranch_execnz .LBB151_84
.LBB151_68:                             ;   in Loop: Header=BB151_63 Depth=1
	s_or_b32 exec_lo, exec_lo, s16
	s_and_saveexec_b32 s16, s5
	s_cbranch_execnz .LBB151_85
.LBB151_69:                             ;   in Loop: Header=BB151_63 Depth=1
	s_or_b32 exec_lo, exec_lo, s16
	s_and_saveexec_b32 s16, s6
	s_cbranch_execnz .LBB151_86
.LBB151_70:                             ;   in Loop: Header=BB151_63 Depth=1
	s_or_b32 exec_lo, exec_lo, s16
	s_and_saveexec_b32 s16, s7
	s_cbranch_execnz .LBB151_87
.LBB151_71:                             ;   in Loop: Header=BB151_63 Depth=1
	s_or_b32 exec_lo, exec_lo, s16
	s_and_saveexec_b32 s16, s8
	s_cbranch_execnz .LBB151_88
.LBB151_72:                             ;   in Loop: Header=BB151_63 Depth=1
	s_or_b32 exec_lo, exec_lo, s16
	s_and_saveexec_b32 s16, s9
	s_cbranch_execnz .LBB151_89
.LBB151_73:                             ;   in Loop: Header=BB151_63 Depth=1
	s_or_b32 exec_lo, exec_lo, s16
	s_and_saveexec_b32 s16, s10
	s_cbranch_execnz .LBB151_90
.LBB151_74:                             ;   in Loop: Header=BB151_63 Depth=1
	s_or_b32 exec_lo, exec_lo, s16
	s_and_saveexec_b32 s16, s11
	s_cbranch_execnz .LBB151_91
.LBB151_75:                             ;   in Loop: Header=BB151_63 Depth=1
	s_or_b32 exec_lo, exec_lo, s16
	s_and_saveexec_b32 s16, s12
	s_cbranch_execnz .LBB151_92
.LBB151_76:                             ;   in Loop: Header=BB151_63 Depth=1
	s_or_b32 exec_lo, exec_lo, s16
	s_and_saveexec_b32 s16, s13
	s_cbranch_execnz .LBB151_93
.LBB151_77:                             ;   in Loop: Header=BB151_63 Depth=1
	s_or_b32 exec_lo, exec_lo, s16
	s_and_saveexec_b32 s16, s14
	s_cbranch_execnz .LBB151_94
.LBB151_78:                             ;   in Loop: Header=BB151_63 Depth=1
	s_or_b32 exec_lo, exec_lo, s16
	v_ashrrev_i32_e32 v9, 31, v8
	s_and_saveexec_b32 s16, s15
	s_cbranch_execnz .LBB151_95
.LBB151_79:                             ;   in Loop: Header=BB151_63 Depth=1
	s_or_b32 exec_lo, exec_lo, s16
	s_and_saveexec_b32 s15, vcc_lo
	s_cbranch_execz .LBB151_62
	s_branch .LBB151_96
.LBB151_80:                             ;   in Loop: Header=BB151_63 Depth=1
	v_mov_b32_e32 v4, s20
	ds_load_b32 v4, v4
	s_waitcnt lgkmcnt(0)
	v_add_nc_u32_e32 v8, v4, v8
	s_or_b32 exec_lo, exec_lo, s16
	s_and_saveexec_b32 s16, s1
	s_cbranch_execz .LBB151_65
.LBB151_81:                             ;   in Loop: Header=BB151_63 Depth=1
	v_mov_b32_e32 v4, s21
	ds_load_b32 v4, v4
	s_waitcnt lgkmcnt(0)
	v_add_nc_u32_e32 v8, v8, v4
	s_or_b32 exec_lo, exec_lo, s16
	s_and_saveexec_b32 s16, s2
	s_cbranch_execz .LBB151_66
.LBB151_82:                             ;   in Loop: Header=BB151_63 Depth=1
	v_mov_b32_e32 v4, s23
	ds_load_b32 v4, v4
	s_waitcnt lgkmcnt(0)
	v_add_nc_u32_e32 v8, v8, v4
	s_or_b32 exec_lo, exec_lo, s16
	s_and_saveexec_b32 s16, s3
	s_cbranch_execz .LBB151_67
.LBB151_83:                             ;   in Loop: Header=BB151_63 Depth=1
	v_mov_b32_e32 v4, s24
	ds_load_b32 v4, v4
	s_waitcnt lgkmcnt(0)
	v_add_nc_u32_e32 v8, v8, v4
	s_or_b32 exec_lo, exec_lo, s16
	s_and_saveexec_b32 s16, s4
	s_cbranch_execz .LBB151_68
.LBB151_84:                             ;   in Loop: Header=BB151_63 Depth=1
	v_mov_b32_e32 v4, s25
	ds_load_b32 v4, v4
	s_waitcnt lgkmcnt(0)
	v_add_nc_u32_e32 v8, v8, v4
	s_or_b32 exec_lo, exec_lo, s16
	s_and_saveexec_b32 s16, s5
	s_cbranch_execz .LBB151_69
.LBB151_85:                             ;   in Loop: Header=BB151_63 Depth=1
	v_mov_b32_e32 v4, s26
	ds_load_b32 v4, v4
	s_waitcnt lgkmcnt(0)
	v_add_nc_u32_e32 v8, v8, v4
	s_or_b32 exec_lo, exec_lo, s16
	s_and_saveexec_b32 s16, s6
	s_cbranch_execz .LBB151_70
.LBB151_86:                             ;   in Loop: Header=BB151_63 Depth=1
	v_mov_b32_e32 v4, s27
	ds_load_b32 v4, v4
	s_waitcnt lgkmcnt(0)
	v_add_nc_u32_e32 v8, v8, v4
	s_or_b32 exec_lo, exec_lo, s16
	s_and_saveexec_b32 s16, s7
	s_cbranch_execz .LBB151_71
.LBB151_87:                             ;   in Loop: Header=BB151_63 Depth=1
	v_mov_b32_e32 v4, s33
	ds_load_b32 v4, v4
	s_waitcnt lgkmcnt(0)
	v_add_nc_u32_e32 v8, v8, v4
	s_or_b32 exec_lo, exec_lo, s16
	s_and_saveexec_b32 s16, s8
	s_cbranch_execz .LBB151_72
.LBB151_88:                             ;   in Loop: Header=BB151_63 Depth=1
	v_mov_b32_e32 v4, s36
	ds_load_b32 v4, v4
	s_waitcnt lgkmcnt(0)
	v_add_nc_u32_e32 v8, v8, v4
	s_or_b32 exec_lo, exec_lo, s16
	s_and_saveexec_b32 s16, s9
	s_cbranch_execz .LBB151_73
.LBB151_89:                             ;   in Loop: Header=BB151_63 Depth=1
	v_mov_b32_e32 v4, s37
	ds_load_b32 v4, v4
	s_waitcnt lgkmcnt(0)
	v_add_nc_u32_e32 v8, v8, v4
	s_or_b32 exec_lo, exec_lo, s16
	s_and_saveexec_b32 s16, s10
	s_cbranch_execz .LBB151_74
.LBB151_90:                             ;   in Loop: Header=BB151_63 Depth=1
	v_mov_b32_e32 v4, s38
	ds_load_b32 v4, v4
	s_waitcnt lgkmcnt(0)
	v_add_nc_u32_e32 v8, v8, v4
	s_or_b32 exec_lo, exec_lo, s16
	s_and_saveexec_b32 s16, s11
	s_cbranch_execz .LBB151_75
.LBB151_91:                             ;   in Loop: Header=BB151_63 Depth=1
	v_mov_b32_e32 v4, s40
	ds_load_b32 v4, v4
	s_waitcnt lgkmcnt(0)
	v_add_nc_u32_e32 v8, v8, v4
	s_or_b32 exec_lo, exec_lo, s16
	s_and_saveexec_b32 s16, s12
	s_cbranch_execz .LBB151_76
.LBB151_92:                             ;   in Loop: Header=BB151_63 Depth=1
	v_mov_b32_e32 v4, s41
	ds_load_b32 v4, v4
	s_waitcnt lgkmcnt(0)
	v_add_nc_u32_e32 v8, v8, v4
	s_or_b32 exec_lo, exec_lo, s16
	s_and_saveexec_b32 s16, s13
	s_cbranch_execz .LBB151_77
.LBB151_93:                             ;   in Loop: Header=BB151_63 Depth=1
	v_mov_b32_e32 v4, s42
	ds_load_b32 v4, v4
	s_waitcnt lgkmcnt(0)
	v_add_nc_u32_e32 v8, v8, v4
	s_or_b32 exec_lo, exec_lo, s16
	s_and_saveexec_b32 s16, s14
	s_cbranch_execz .LBB151_78
.LBB151_94:                             ;   in Loop: Header=BB151_63 Depth=1
	v_mov_b32_e32 v4, s43
	ds_load_b32 v4, v4
	s_waitcnt lgkmcnt(0)
	v_add_nc_u32_e32 v8, v8, v4
	s_or_b32 exec_lo, exec_lo, s16
	s_delay_alu instid0(VALU_DEP_1)
	v_ashrrev_i32_e32 v9, 31, v8
	s_and_saveexec_b32 s16, s15
	s_cbranch_execz .LBB151_79
.LBB151_95:                             ;   in Loop: Header=BB151_63 Depth=1
	scratch_load_b128 v[12:15], off, off
	v_add3_u32 v4, v2, -1, v8
	s_delay_alu instid0(VALU_DEP_1) | instskip(SKIP_1) | instid1(VALU_DEP_2)
	v_lshlrev_b32_e32 v16, 4, v4
	v_lshl_add_u32 v4, v4, 3, 0
	v_add3_u32 v16, 0, v16, 0x8000
	ds_store_b64 v4, v[6:7]
	s_waitcnt vmcnt(0)
	ds_store_2addr_b64 v16, v[12:13], v[14:15] offset1:1
	s_or_b32 exec_lo, exec_lo, s16
	s_and_saveexec_b32 s15, vcc_lo
	s_cbranch_execz .LBB151_62
.LBB151_96:                             ;   in Loop: Header=BB151_63 Depth=1
	v_mov_b32_e32 v4, s39
	ds_store_b64 v4, v[8:9]
	s_branch .LBB151_62
.LBB151_97:
	s_or_b32 exec_lo, exec_lo, s17
	s_lshl_b64 s[0:1], s[30:31], 3
	v_mov_b32_e32 v1, 0
	s_add_u32 s0, s18, s0
	s_addc_u32 s1, s19, s1
	s_mov_b32 s6, exec_lo
	s_load_b128 s[0:3], s[0:1], 0x0
	s_waitcnt lgkmcnt(0)
	s_sub_u32 s4, s2, s0
	s_subb_u32 s5, s3, s1
	s_delay_alu instid0(SALU_CYCLE_1)
	v_cmpx_gt_i64_e64 s[4:5], v[0:1]
	s_cbranch_execz .LBB151_107
; %bb.98:
	s_sub_u32 s8, s0, s22
	s_subb_u32 s9, s1, 0
	s_and_b32 s6, s4, 7
	s_sub_u32 s0, s0, s2
	s_subb_u32 s1, s1, s3
	s_mov_b32 s7, 0
	v_cmp_lt_u64_e64 s12, s[0:1], -7
	s_and_b32 s2, s4, -8
	s_cmp_lg_u64 s[6:7], 0
	s_mov_b32 s3, s5
	s_cselect_b32 s13, -1, 0
	s_mov_b32 s14, s7
	s_branch .LBB151_100
.LBB151_99:                             ;   in Loop: Header=BB151_100 Depth=1
	s_waitcnt lgkmcnt(0)
	v_lshlrev_b32_e32 v2, 3, v0
	v_add_co_u32 v0, vcc_lo, 0x400, v0
	v_add_co_ci_u32_e32 v1, vcc_lo, 0, v1, vcc_lo
	s_delay_alu instid0(VALU_DEP_3) | instskip(NEXT) | instid1(VALU_DEP_2)
	v_add3_u32 v2, v6, v2, 0x8000
	v_cmp_le_i64_e32 vcc_lo, s[4:5], v[0:1]
	ds_load_2addr_b64 v[6:9], v2 offset1:1
	v_lshlrev_b64 v[2:3], 4, v[4:5]
	s_or_b32 s14, vcc_lo, s14
	s_delay_alu instid0(VALU_DEP_1) | instskip(NEXT) | instid1(VALU_DEP_1)
	v_add_co_u32 v2, s0, s34, v2
	v_add_co_ci_u32_e64 v3, s0, s35, v3, s0
	s_waitcnt lgkmcnt(0)
	global_store_b128 v[2:3], v[6:9], off
	s_and_not1_b32 exec_lo, exec_lo, s14
	s_cbranch_execz .LBB151_107
.LBB151_100:                            ; =>This Loop Header: Depth=1
                                        ;     Child Loop BB151_102 Depth 2
                                        ;     Child Loop BB151_106 Depth 2
	v_lshl_add_u32 v6, v0, 3, 0
	v_dual_mov_b32 v4, s8 :: v_dual_mov_b32 v5, s9
	s_and_not1_b32 vcc_lo, exec_lo, s12
	s_mov_b64 s[0:1], 0
	ds_load_b64 v[2:3], v6
	s_cbranch_vccnz .LBB151_104
; %bb.101:                              ;   in Loop: Header=BB151_100 Depth=1
	v_dual_mov_b32 v4, s8 :: v_dual_mov_b32 v5, s9
	s_mov_b64 s[10:11], 0
	s_mov_b32 s1, 0
.LBB151_102:                            ;   Parent Loop BB151_100 Depth=1
                                        ; =>  This Inner Loop Header: Depth=2
	s_delay_alu instid0(SALU_CYCLE_1)
	v_mov_b32_e32 v19, s1
	s_add_u32 s10, s10, 8
	s_addc_u32 s11, s11, 0
	s_add_i32 s1, s1, 64
	s_cmp_eq_u64 s[2:3], s[10:11]
	ds_load_2addr_b64 v[7:10], v19 offset1:1
	ds_load_2addr_b64 v[11:14], v19 offset0:2 offset1:3
	ds_load_2addr_b64 v[15:18], v19 offset0:4 offset1:5
	;; [unrolled: 1-line block ×3, first 2 shown]
	s_waitcnt lgkmcnt(3)
	v_cmp_gt_i64_e32 vcc_lo, v[2:3], v[7:8]
	v_cndmask_b32_e64 v7, 0, 1, vcc_lo
	v_cmp_gt_i64_e32 vcc_lo, v[2:3], v[9:10]
	v_cndmask_b32_e64 v8, 0, 1, vcc_lo
	s_waitcnt lgkmcnt(2)
	v_cmp_gt_i64_e32 vcc_lo, v[2:3], v[11:12]
	v_cndmask_b32_e64 v9, 0, 1, vcc_lo
	v_cmp_gt_i64_e32 vcc_lo, v[2:3], v[13:14]
	v_cndmask_b32_e64 v10, 0, 1, vcc_lo
	s_waitcnt lgkmcnt(1)
	v_cmp_gt_i64_e32 vcc_lo, v[2:3], v[15:16]
	v_cndmask_b32_e64 v11, 0, 1, vcc_lo
	v_add_co_u32 v4, vcc_lo, v4, v7
	v_add_co_ci_u32_e32 v5, vcc_lo, 0, v5, vcc_lo
	v_cmp_gt_i64_e32 vcc_lo, v[2:3], v[17:18]
	s_delay_alu instid0(VALU_DEP_3) | instskip(NEXT) | instid1(VALU_DEP_1)
	v_add_co_u32 v4, s0, v4, v8
	v_add_co_ci_u32_e64 v5, s0, 0, v5, s0
	v_cndmask_b32_e64 v7, 0, 1, vcc_lo
	s_delay_alu instid0(VALU_DEP_3) | instskip(NEXT) | instid1(VALU_DEP_3)
	v_add_co_u32 v4, vcc_lo, v4, v9
	v_add_co_ci_u32_e32 v5, vcc_lo, 0, v5, vcc_lo
	s_waitcnt lgkmcnt(0)
	v_cmp_gt_i64_e32 vcc_lo, v[2:3], v[19:20]
	s_delay_alu instid0(VALU_DEP_3) | instskip(NEXT) | instid1(VALU_DEP_1)
	v_add_co_u32 v4, s0, v4, v10
	v_add_co_ci_u32_e64 v5, s0, 0, v5, s0
	v_cndmask_b32_e64 v8, 0, 1, vcc_lo
	s_delay_alu instid0(VALU_DEP_3) | instskip(NEXT) | instid1(VALU_DEP_3)
	v_add_co_u32 v4, vcc_lo, v4, v11
	v_add_co_ci_u32_e32 v5, vcc_lo, 0, v5, vcc_lo
	v_cmp_gt_i64_e32 vcc_lo, v[2:3], v[21:22]
	s_delay_alu instid0(VALU_DEP_3) | instskip(NEXT) | instid1(VALU_DEP_1)
	v_add_co_u32 v4, s0, v4, v7
	v_add_co_ci_u32_e64 v5, s0, 0, v5, s0
	v_cndmask_b32_e64 v7, 0, 1, vcc_lo
	s_delay_alu instid0(VALU_DEP_3) | instskip(NEXT) | instid1(VALU_DEP_3)
	v_add_co_u32 v4, vcc_lo, v4, v8
	v_add_co_ci_u32_e32 v5, vcc_lo, 0, v5, vcc_lo
	s_delay_alu instid0(VALU_DEP_2) | instskip(NEXT) | instid1(VALU_DEP_2)
	v_add_co_u32 v4, vcc_lo, v4, v7
	v_add_co_ci_u32_e32 v5, vcc_lo, 0, v5, vcc_lo
	s_cbranch_scc0 .LBB151_102
; %bb.103:                              ;   in Loop: Header=BB151_100 Depth=1
	s_mov_b64 s[0:1], s[2:3]
.LBB151_104:                            ;   in Loop: Header=BB151_100 Depth=1
	s_and_not1_b32 vcc_lo, exec_lo, s13
	s_cbranch_vccnz .LBB151_99
; %bb.105:                              ;   in Loop: Header=BB151_100 Depth=1
	s_lshl_b32 s0, s0, 3
	s_delay_alu instid0(SALU_CYCLE_1)
	s_add_i32 s10, s0, 0
	s_mov_b64 s[0:1], s[6:7]
.LBB151_106:                            ;   Parent Loop BB151_100 Depth=1
                                        ; =>  This Inner Loop Header: Depth=2
	v_mov_b32_e32 v7, s10
	s_add_i32 s10, s10, 8
	s_add_u32 s0, s0, -1
	s_addc_u32 s1, s1, -1
	s_delay_alu instid0(SALU_CYCLE_1) | instskip(SKIP_4) | instid1(VALU_DEP_1)
	s_cmp_lg_u64 s[0:1], 0
	ds_load_b64 v[7:8], v7
	s_waitcnt lgkmcnt(0)
	v_cmp_gt_i64_e32 vcc_lo, v[2:3], v[7:8]
	v_cndmask_b32_e64 v7, 0, 1, vcc_lo
	v_add_co_u32 v4, vcc_lo, v4, v7
	v_add_co_ci_u32_e32 v5, vcc_lo, 0, v5, vcc_lo
	s_cbranch_scc1 .LBB151_106
	s_branch .LBB151_99
.LBB151_107:
	s_nop 0
	s_sendmsg sendmsg(MSG_DEALLOC_VGPRS)
	s_endpgm
	.section	.rodata,"a",@progbits
	.p2align	6, 0x0
	.amdhsa_kernel _ZN9rocsparseL41csrgemm_numeric_fill_block_per_row_kernelILj1024ELj64ELj4096ELj137ELj64Ell21rocsparse_complex_numIdEEEvT5_PKS3_S5_NS_24const_host_device_scalarIT6_EEPKT4_S5_PKS7_SB_S5_SD_S8_SB_S5_SD_SB_S5_PS7_21rocsparse_index_base_SF_SF_SF_bbb
		.amdhsa_group_segment_fixed_size 0
		.amdhsa_private_segment_fixed_size 40
		.amdhsa_kernarg_size 172
		.amdhsa_user_sgpr_count 15
		.amdhsa_user_sgpr_dispatch_ptr 0
		.amdhsa_user_sgpr_queue_ptr 0
		.amdhsa_user_sgpr_kernarg_segment_ptr 1
		.amdhsa_user_sgpr_dispatch_id 0
		.amdhsa_user_sgpr_private_segment_size 0
		.amdhsa_wavefront_size32 1
		.amdhsa_uses_dynamic_stack 0
		.amdhsa_enable_private_segment 1
		.amdhsa_system_sgpr_workgroup_id_x 1
		.amdhsa_system_sgpr_workgroup_id_y 0
		.amdhsa_system_sgpr_workgroup_id_z 0
		.amdhsa_system_sgpr_workgroup_info 0
		.amdhsa_system_vgpr_workitem_id 0
		.amdhsa_next_free_vgpr 37
		.amdhsa_next_free_sgpr 44
		.amdhsa_reserve_vcc 1
		.amdhsa_float_round_mode_32 0
		.amdhsa_float_round_mode_16_64 0
		.amdhsa_float_denorm_mode_32 3
		.amdhsa_float_denorm_mode_16_64 3
		.amdhsa_dx10_clamp 1
		.amdhsa_ieee_mode 1
		.amdhsa_fp16_overflow 0
		.amdhsa_workgroup_processor_mode 1
		.amdhsa_memory_ordered 1
		.amdhsa_forward_progress 0
		.amdhsa_shared_vgpr_count 0
		.amdhsa_exception_fp_ieee_invalid_op 0
		.amdhsa_exception_fp_denorm_src 0
		.amdhsa_exception_fp_ieee_div_zero 0
		.amdhsa_exception_fp_ieee_overflow 0
		.amdhsa_exception_fp_ieee_underflow 0
		.amdhsa_exception_fp_ieee_inexact 0
		.amdhsa_exception_int_div_zero 0
	.end_amdhsa_kernel
	.section	.text._ZN9rocsparseL41csrgemm_numeric_fill_block_per_row_kernelILj1024ELj64ELj4096ELj137ELj64Ell21rocsparse_complex_numIdEEEvT5_PKS3_S5_NS_24const_host_device_scalarIT6_EEPKT4_S5_PKS7_SB_S5_SD_S8_SB_S5_SD_SB_S5_PS7_21rocsparse_index_base_SF_SF_SF_bbb,"axG",@progbits,_ZN9rocsparseL41csrgemm_numeric_fill_block_per_row_kernelILj1024ELj64ELj4096ELj137ELj64Ell21rocsparse_complex_numIdEEEvT5_PKS3_S5_NS_24const_host_device_scalarIT6_EEPKT4_S5_PKS7_SB_S5_SD_S8_SB_S5_SD_SB_S5_PS7_21rocsparse_index_base_SF_SF_SF_bbb,comdat
.Lfunc_end151:
	.size	_ZN9rocsparseL41csrgemm_numeric_fill_block_per_row_kernelILj1024ELj64ELj4096ELj137ELj64Ell21rocsparse_complex_numIdEEEvT5_PKS3_S5_NS_24const_host_device_scalarIT6_EEPKT4_S5_PKS7_SB_S5_SD_S8_SB_S5_SD_SB_S5_PS7_21rocsparse_index_base_SF_SF_SF_bbb, .Lfunc_end151-_ZN9rocsparseL41csrgemm_numeric_fill_block_per_row_kernelILj1024ELj64ELj4096ELj137ELj64Ell21rocsparse_complex_numIdEEEvT5_PKS3_S5_NS_24const_host_device_scalarIT6_EEPKT4_S5_PKS7_SB_S5_SD_S8_SB_S5_SD_SB_S5_PS7_21rocsparse_index_base_SF_SF_SF_bbb
                                        ; -- End function
	.section	.AMDGPU.csdata,"",@progbits
; Kernel info:
; codeLenInByte = 4604
; NumSgprs: 46
; NumVgprs: 37
; ScratchSize: 40
; MemoryBound: 0
; FloatMode: 240
; IeeeMode: 1
; LDSByteSize: 0 bytes/workgroup (compile time only)
; SGPRBlocks: 5
; VGPRBlocks: 4
; NumSGPRsForWavesPerEU: 46
; NumVGPRsForWavesPerEU: 37
; Occupancy: 16
; WaveLimiterHint : 1
; COMPUTE_PGM_RSRC2:SCRATCH_EN: 1
; COMPUTE_PGM_RSRC2:USER_SGPR: 15
; COMPUTE_PGM_RSRC2:TRAP_HANDLER: 0
; COMPUTE_PGM_RSRC2:TGID_X_EN: 1
; COMPUTE_PGM_RSRC2:TGID_Y_EN: 0
; COMPUTE_PGM_RSRC2:TGID_Z_EN: 0
; COMPUTE_PGM_RSRC2:TIDIG_COMP_CNT: 0
	.section	.text._ZN9rocsparseL41csrgemm_numeric_fill_block_per_row_kernelILj1024ELj64ELj8192ELj137ELj32Ell21rocsparse_complex_numIdEEEvT5_PKS3_S5_NS_24const_host_device_scalarIT6_EEPKT4_S5_PKS7_SB_S5_SD_S8_SB_S5_SD_SB_S5_PS7_21rocsparse_index_base_SF_SF_SF_bbb,"axG",@progbits,_ZN9rocsparseL41csrgemm_numeric_fill_block_per_row_kernelILj1024ELj64ELj8192ELj137ELj32Ell21rocsparse_complex_numIdEEEvT5_PKS3_S5_NS_24const_host_device_scalarIT6_EEPKT4_S5_PKS7_SB_S5_SD_S8_SB_S5_SD_SB_S5_PS7_21rocsparse_index_base_SF_SF_SF_bbb,comdat
	.globl	_ZN9rocsparseL41csrgemm_numeric_fill_block_per_row_kernelILj1024ELj64ELj8192ELj137ELj32Ell21rocsparse_complex_numIdEEEvT5_PKS3_S5_NS_24const_host_device_scalarIT6_EEPKT4_S5_PKS7_SB_S5_SD_S8_SB_S5_SD_SB_S5_PS7_21rocsparse_index_base_SF_SF_SF_bbb ; -- Begin function _ZN9rocsparseL41csrgemm_numeric_fill_block_per_row_kernelILj1024ELj64ELj8192ELj137ELj32Ell21rocsparse_complex_numIdEEEvT5_PKS3_S5_NS_24const_host_device_scalarIT6_EEPKT4_S5_PKS7_SB_S5_SD_S8_SB_S5_SD_SB_S5_PS7_21rocsparse_index_base_SF_SF_SF_bbb
	.p2align	8
	.type	_ZN9rocsparseL41csrgemm_numeric_fill_block_per_row_kernelILj1024ELj64ELj8192ELj137ELj32Ell21rocsparse_complex_numIdEEEvT5_PKS3_S5_NS_24const_host_device_scalarIT6_EEPKT4_S5_PKS7_SB_S5_SD_S8_SB_S5_SD_SB_S5_PS7_21rocsparse_index_base_SF_SF_SF_bbb,@function
_ZN9rocsparseL41csrgemm_numeric_fill_block_per_row_kernelILj1024ELj64ELj8192ELj137ELj32Ell21rocsparse_complex_numIdEEEvT5_PKS3_S5_NS_24const_host_device_scalarIT6_EEPKT4_S5_PKS7_SB_S5_SD_S8_SB_S5_SD_SB_S5_PS7_21rocsparse_index_base_SF_SF_SF_bbb: ; @_ZN9rocsparseL41csrgemm_numeric_fill_block_per_row_kernelILj1024ELj64ELj8192ELj137ELj32Ell21rocsparse_complex_numIdEEEvT5_PKS3_S5_NS_24const_host_device_scalarIT6_EEPKT4_S5_PKS7_SB_S5_SD_S8_SB_S5_SD_SB_S5_PS7_21rocsparse_index_base_SF_SF_SF_bbb
; %bb.0:
	s_mov_b32 s16, s15
	s_clause 0x3
	s_load_b32 s19, s[0:1], 0xa8
	s_load_b256 s[4:11], s[0:1], 0x8
	s_load_b128 s[12:15], s[0:1], 0x58
	s_load_b128 s[36:39], s[0:1], 0x98
	v_mov_b32_e32 v1, 0
	v_mov_b32_e32 v2, 0
	s_waitcnt lgkmcnt(0)
	s_bitcmp1_b32 s19, 0
	v_mov_b32_e32 v3, s8
	s_cselect_b32 s3, -1, 0
	s_bitcmp1_b32 s19, 16
	v_dual_mov_b32 v6, v2 :: v_dual_mov_b32 v5, v1
	s_cselect_b32 s2, -1, 0
	v_mov_b32_e32 v4, s9
	s_xor_b32 s17, s2, -1
	v_dual_mov_b32 v9, s12 :: v_dual_mov_b32 v10, s13
	v_cndmask_b32_e64 v7, 0, 1, s17
	s_bitcmp0_b32 s19, 0
	s_clause 0x1
	scratch_store_b64 off, v[3:4], off offset:16
	scratch_store_b64 off, v[9:10], off offset:24
	v_cmp_ne_u32_e32 vcc_lo, 1, v7
	v_dual_mov_b32 v8, v2 :: v_dual_mov_b32 v7, v1
	s_cbranch_scc1 .LBB152_3
; %bb.1:
	s_mov_b64 s[20:21], src_private_base
	s_and_b32 s18, s2, exec_lo
	s_cselect_b32 s18, s21, s9
	s_delay_alu instid0(SALU_CYCLE_1) | instskip(SKIP_2) | instid1(VALU_DEP_2)
	v_dual_mov_b32 v3, 16 :: v_dual_mov_b32 v4, s18
	v_dual_mov_b32 v7, s10 :: v_dual_mov_b32 v8, s11
	s_and_b32 vcc_lo, exec_lo, vcc_lo
	v_cndmask_b32_e64 v3, s8, v3, s2
	flat_load_b64 v[5:6], v[3:4]
	s_cbranch_vccnz .LBB152_3
; %bb.2:
	v_dual_mov_b32 v3, s8 :: v_dual_mov_b32 v4, s9
	flat_load_b64 v[7:8], v[3:4] offset:8
.LBB152_3:
	s_bitcmp1_b32 s19, 8
	v_dual_mov_b32 v4, v2 :: v_dual_mov_b32 v3, v1
	s_cselect_b32 s18, -1, 0
	s_bfe_u32 s8, s19, 0x10008
	s_delay_alu instid0(SALU_CYCLE_1)
	s_cmp_eq_u32 s8, 0
	s_cbranch_scc1 .LBB152_6
; %bb.4:
	s_mov_b64 s[8:9], src_private_base
	s_and_b32 s8, s2, exec_lo
	s_cselect_b32 s8, s9, s13
	s_delay_alu instid0(SALU_CYCLE_1) | instskip(SKIP_1) | instid1(VALU_DEP_1)
	v_dual_mov_b32 v1, 24 :: v_dual_mov_b32 v2, s8
	s_and_not1_b32 vcc_lo, exec_lo, s17
	v_cndmask_b32_e64 v1, s12, v1, s2
	flat_load_b64 v[3:4], v[1:2]
	v_dual_mov_b32 v1, s14 :: v_dual_mov_b32 v2, s15
	s_cbranch_vccnz .LBB152_6
; %bb.5:
	v_dual_mov_b32 v1, s12 :: v_dual_mov_b32 v2, s13
	flat_load_b64 v[1:2], v[1:2] offset:8
.LBB152_6:
	s_load_b64 s[34:35], s[0:1], 0x0
	v_lshl_add_u32 v25, v0, 4, 0
	s_mov_b32 s8, 0
	v_lshl_add_u32 v27, v0, 3, 0
	s_mov_b32 s9, s8
	s_mov_b32 s11, s8
	v_dual_mov_b32 v10, s9 :: v_dual_add_nc_u32 v13, 0x10000, v25
	s_mov_b32 s10, s8
	v_dual_mov_b32 v9, s8 :: v_dual_mov_b32 v12, s11
	s_delay_alu instid0(VALU_DEP_2)
	v_dual_mov_b32 v11, s10 :: v_dual_add_nc_u32 v14, 0x4000, v13
	v_add_nc_u32_e32 v28, 0x8000, v13
	v_add_nc_u32_e32 v26, 0x20000, v25
	;; [unrolled: 1-line block ×3, first 2 shown]
	ds_store_2addr_b64 v13, v[9:10], v[11:12] offset1:1
	ds_store_2addr_b64 v14, v[9:10], v[11:12] offset1:1
	s_mov_b32 s17, s8
	s_waitcnt lgkmcnt(0)
	v_dual_mov_b32 v15, s34 :: v_dual_mov_b32 v16, s35
	v_mov_b32_e32 v17, s34
	v_dual_mov_b32 v13, s34 :: v_dual_mov_b32 v18, s35
	v_dual_mov_b32 v19, s34 :: v_dual_mov_b32 v14, s35
	;; [unrolled: 1-line block ×4, first 2 shown]
	v_mov_b32_e32 v24, s35
	ds_store_2addr_b64 v28, v[9:10], v[11:12] offset1:1
	ds_store_2addr_b64 v29, v[9:10], v[11:12] offset1:1
	ds_store_2addr_stride64_b64 v27, v[13:14], v[15:16] offset1:16
	ds_store_2addr_stride64_b64 v27, v[17:18], v[19:20] offset0:32 offset1:48
	ds_store_2addr_stride64_b64 v27, v[21:22], v[23:24] offset0:64 offset1:80
	v_add_nc_u32_e32 v17, 0x24000, v25
	v_add_nc_u32_e32 v18, 0x28000, v25
	;; [unrolled: 1-line block ×3, first 2 shown]
	ds_store_2addr_b64 v26, v[9:10], v[11:12] offset1:1
	ds_store_2addr_b64 v17, v[9:10], v[11:12] offset1:1
	ds_store_2addr_stride64_b64 v27, v[13:14], v[15:16] offset0:96 offset1:112
	ds_store_2addr_b64 v18, v[9:10], v[11:12] offset1:1
	ds_store_2addr_b64 v19, v[9:10], v[11:12] offset1:1
	s_waitcnt vmcnt(0) lgkmcnt(0)
	s_waitcnt_vscnt null, 0x0
	s_barrier
	buffer_gl0_inv
	s_load_b64 s[4:5], s[4:5], 0x0
	s_waitcnt lgkmcnt(0)
	s_lshl_b64 s[4:5], s[4:5], 3
	s_delay_alu instid0(SALU_CYCLE_1) | instskip(SKIP_2) | instid1(SALU_CYCLE_1)
	s_add_u32 s2, s6, s4
	s_addc_u32 s6, s7, s5
	s_lshl_b64 s[4:5], s[16:17], 3
	s_add_u32 s4, s2, s4
	s_addc_u32 s5, s6, s5
	s_and_not1_b32 vcc_lo, exec_lo, s3
	s_load_b64 s[40:41], s[4:5], 0x0
	s_cbranch_vccnz .LBB152_34
; %bb.7:
	s_load_b64 s[2:3], s[0:1], 0x28
	s_waitcnt lgkmcnt(0)
	s_lshl_b64 s[4:5], s[40:41], 3
	v_lshrrev_b32_e32 v9, 6, v0
	s_mov_b32 s14, exec_lo
	s_add_u32 s2, s2, s4
	s_addc_u32 s3, s3, s5
	s_load_b128 s[4:7], s[2:3], 0x0
	v_sub_co_u32 v9, s2, v9, s36
	s_delay_alu instid0(VALU_DEP_1) | instskip(SKIP_1) | instid1(VALU_DEP_2)
	v_sub_co_ci_u32_e64 v10, null, 0, 0, s2
	s_waitcnt lgkmcnt(0)
	v_add_co_u32 v9, vcc_lo, s4, v9
	s_delay_alu instid0(VALU_DEP_2)
	v_add_co_ci_u32_e32 v10, vcc_lo, s5, v10, vcc_lo
	s_sub_u32 s2, s6, s36
	s_subb_u32 s3, s7, 0
	s_delay_alu instid0(VALU_DEP_1) | instid1(SALU_CYCLE_1)
	v_cmpx_gt_i64_e64 s[2:3], v[9:10]
	s_cbranch_execz .LBB152_33
; %bb.8:
	s_clause 0x1
	s_load_b64 s[12:13], s[0:1], 0x50
	s_load_b256 s[4:11], s[0:1], 0x30
	v_and_b32_e32 v11, 63, v0
	s_mov_b32 s16, s37
	s_delay_alu instid0(VALU_DEP_1) | instskip(NEXT) | instid1(VALU_DEP_1)
	v_sub_co_u32 v28, s15, v11, s37
	v_sub_co_ci_u32_e64 v29, null, 0, 0, s15
	s_mov_b32 s15, 0
	s_branch .LBB152_10
.LBB152_9:                              ;   in Loop: Header=BB152_10 Depth=1
	s_or_b32 exec_lo, exec_lo, s17
	v_add_co_u32 v9, vcc_lo, v9, 16
	v_add_co_ci_u32_e32 v10, vcc_lo, 0, v10, vcc_lo
	s_delay_alu instid0(VALU_DEP_1) | instskip(SKIP_1) | instid1(SALU_CYCLE_1)
	v_cmp_le_i64_e32 vcc_lo, s[2:3], v[9:10]
	s_or_b32 s15, vcc_lo, s15
	s_and_not1_b32 exec_lo, exec_lo, s15
	s_cbranch_execz .LBB152_33
.LBB152_10:                             ; =>This Loop Header: Depth=1
                                        ;     Child Loop BB152_13 Depth 2
                                        ;       Child Loop BB152_15 Depth 3
                                        ;         Child Loop BB152_21 Depth 4
                                        ;         Child Loop BB152_23 Depth 4
	;; [unrolled: 1-line block ×4, first 2 shown]
	v_lshlrev_b64 v[11:12], 3, v[9:10]
	s_mov_b32 s17, exec_lo
	s_waitcnt lgkmcnt(0)
	s_delay_alu instid0(VALU_DEP_1) | instskip(NEXT) | instid1(VALU_DEP_2)
	v_add_co_u32 v11, vcc_lo, s4, v11
	v_add_co_ci_u32_e32 v12, vcc_lo, s5, v12, vcc_lo
	global_load_b64 v[11:12], v[11:12], off
	s_waitcnt vmcnt(0)
	v_sub_co_u32 v11, vcc_lo, v11, s36
	v_subrev_co_ci_u32_e32 v12, vcc_lo, 0, v12, vcc_lo
	s_delay_alu instid0(VALU_DEP_1) | instskip(NEXT) | instid1(VALU_DEP_1)
	v_lshlrev_b64 v[11:12], 3, v[11:12]
	v_add_co_u32 v11, vcc_lo, s8, v11
	s_delay_alu instid0(VALU_DEP_2)
	v_add_co_ci_u32_e32 v12, vcc_lo, s9, v12, vcc_lo
	global_load_b128 v[13:16], v[11:12], off
	s_waitcnt vmcnt(0)
	v_sub_co_u32 v11, vcc_lo, v15, s16
	v_subrev_co_ci_u32_e32 v12, vcc_lo, 0, v16, vcc_lo
	v_add_co_u32 v13, vcc_lo, v13, v28
	v_add_co_ci_u32_e32 v14, vcc_lo, v14, v29, vcc_lo
	s_delay_alu instid0(VALU_DEP_1)
	v_cmpx_lt_i64_e64 v[13:14], v[11:12]
	s_cbranch_execz .LBB152_9
; %bb.11:                               ;   in Loop: Header=BB152_10 Depth=1
	v_lshlrev_b64 v[15:16], 4, v[9:10]
	s_mov_b32 s19, 0
	s_delay_alu instid0(VALU_DEP_1) | instskip(NEXT) | instid1(VALU_DEP_2)
	v_add_co_u32 v15, vcc_lo, s6, v15
	v_add_co_ci_u32_e32 v16, vcc_lo, s7, v16, vcc_lo
	global_load_b128 v[17:20], v[15:16], off
	s_waitcnt vmcnt(0)
	v_mul_f64 v[15:16], v[19:20], -v[7:8]
	v_mul_f64 v[19:20], v[5:6], v[19:20]
	s_delay_alu instid0(VALU_DEP_2) | instskip(NEXT) | instid1(VALU_DEP_2)
	v_fma_f64 v[15:16], v[5:6], v[17:18], v[15:16]
	v_fma_f64 v[17:18], v[7:8], v[17:18], v[19:20]
	s_branch .LBB152_13
.LBB152_12:                             ;   in Loop: Header=BB152_13 Depth=2
	s_or_b32 exec_lo, exec_lo, s20
	v_add_co_u32 v13, vcc_lo, v13, 64
	v_add_co_ci_u32_e32 v14, vcc_lo, 0, v14, vcc_lo
	s_delay_alu instid0(VALU_DEP_1) | instskip(SKIP_1) | instid1(SALU_CYCLE_1)
	v_cmp_ge_i64_e32 vcc_lo, v[13:14], v[11:12]
	s_or_b32 s19, vcc_lo, s19
	s_and_not1_b32 exec_lo, exec_lo, s19
	s_cbranch_execz .LBB152_9
.LBB152_13:                             ;   Parent Loop BB152_10 Depth=1
                                        ; =>  This Loop Header: Depth=2
                                        ;       Child Loop BB152_15 Depth 3
                                        ;         Child Loop BB152_21 Depth 4
                                        ;         Child Loop BB152_23 Depth 4
	;; [unrolled: 1-line block ×4, first 2 shown]
	v_lshlrev_b64 v[19:20], 4, v[13:14]
	s_mov_b32 s20, 0
	s_delay_alu instid0(VALU_DEP_1) | instskip(NEXT) | instid1(VALU_DEP_2)
	v_add_co_u32 v19, vcc_lo, s12, v19
	v_add_co_ci_u32_e32 v20, vcc_lo, s13, v20, vcc_lo
	global_load_b128 v[21:24], v[19:20], off
	v_lshlrev_b64 v[19:20], 3, v[13:14]
	s_delay_alu instid0(VALU_DEP_1) | instskip(NEXT) | instid1(VALU_DEP_2)
	v_add_co_u32 v19, vcc_lo, s10, v19
	v_add_co_ci_u32_e32 v20, vcc_lo, s11, v20, vcc_lo
	global_load_b64 v[25:26], v[19:20], off
	s_waitcnt vmcnt(1)
	v_mul_f64 v[19:20], v[23:24], -v[17:18]
	v_mul_f64 v[23:24], v[15:16], v[23:24]
	s_delay_alu instid0(VALU_DEP_2) | instskip(NEXT) | instid1(VALU_DEP_2)
	v_fma_f64 v[19:20], v[15:16], v[21:22], v[19:20]
	v_fma_f64 v[21:22], v[17:18], v[21:22], v[23:24]
	s_waitcnt vmcnt(0)
	v_sub_co_u32 v23, vcc_lo, v25, s16
	v_subrev_co_ci_u32_e32 v24, vcc_lo, 0, v26, vcc_lo
	s_delay_alu instid0(VALU_DEP_2) | instskip(NEXT) | instid1(VALU_DEP_1)
	v_mul_lo_u32 v25, 0x89, v23
	v_and_b32_e32 v30, 0x1fff, v25
	s_branch .LBB152_15
.LBB152_14:                             ;   in Loop: Header=BB152_15 Depth=3
	s_or_b32 exec_lo, exec_lo, s21
	s_xor_b32 s21, s22, -1
	s_delay_alu instid0(SALU_CYCLE_1) | instskip(NEXT) | instid1(SALU_CYCLE_1)
	s_and_b32 s21, exec_lo, s21
	s_or_b32 s20, s21, s20
	s_delay_alu instid0(SALU_CYCLE_1)
	s_and_not1_b32 exec_lo, exec_lo, s20
	s_cbranch_execz .LBB152_12
.LBB152_15:                             ;   Parent Loop BB152_10 Depth=1
                                        ;     Parent Loop BB152_13 Depth=2
                                        ; =>    This Loop Header: Depth=3
                                        ;         Child Loop BB152_21 Depth 4
                                        ;         Child Loop BB152_23 Depth 4
	;; [unrolled: 1-line block ×4, first 2 shown]
	s_delay_alu instid0(VALU_DEP_1)
	v_lshl_add_u32 v31, v30, 3, 0
	s_mov_b32 s21, exec_lo
                                        ; implicit-def: $sgpr22
	ds_load_b64 v[25:26], v31
	s_waitcnt lgkmcnt(0)
	v_cmpx_ne_u64_e64 v[25:26], v[23:24]
	s_xor_b32 s21, exec_lo, s21
	s_cbranch_execz .LBB152_27
; %bb.16:                               ;   in Loop: Header=BB152_15 Depth=3
	s_mov_b32 s23, exec_lo
                                        ; implicit-def: $sgpr22
	v_cmpx_ne_u64_e64 s[34:35], v[25:26]
	s_xor_b32 s23, exec_lo, s23
; %bb.17:                               ;   in Loop: Header=BB152_15 Depth=3
	v_add_nc_u32_e32 v25, 1, v30
	s_mov_b32 s22, -1
                                        ; implicit-def: $vgpr31
	s_delay_alu instid0(VALU_DEP_1)
	v_and_b32_e32 v30, 0x1fff, v25
; %bb.18:                               ;   in Loop: Header=BB152_15 Depth=3
	s_and_not1_saveexec_b32 s23, s23
	s_cbranch_execz .LBB152_26
; %bb.19:                               ;   in Loop: Header=BB152_15 Depth=3
	v_dual_mov_b32 v25, s34 :: v_dual_mov_b32 v26, s35
	s_mov_b32 s25, -1
	s_mov_b32 s24, exec_lo
	ds_cmpstore_rtn_b64 v[25:26], v31, v[23:24], v[25:26]
	s_waitcnt lgkmcnt(0)
	v_cmpx_eq_u64_e64 s[34:35], v[25:26]
	s_cbranch_execz .LBB152_25
; %bb.20:                               ;   in Loop: Header=BB152_15 Depth=3
	v_lshlrev_b32_e32 v25, 4, v30
	s_mov_b32 s25, 0
	s_delay_alu instid0(VALU_DEP_1)
	v_add3_u32 v31, 0, v25, 0x10000
	ds_load_b64 v[25:26], v31
.LBB152_21:                             ;   Parent Loop BB152_10 Depth=1
                                        ;     Parent Loop BB152_13 Depth=2
                                        ;       Parent Loop BB152_15 Depth=3
                                        ; =>      This Inner Loop Header: Depth=4
	s_waitcnt lgkmcnt(0)
	v_add_f64 v[32:33], v[25:26], v[19:20]
	ds_cmpstore_rtn_b64 v[32:33], v31, v[32:33], v[25:26]
	s_waitcnt lgkmcnt(0)
	v_cmp_eq_u64_e32 vcc_lo, v[32:33], v[25:26]
	v_dual_mov_b32 v25, v32 :: v_dual_mov_b32 v26, v33
	s_or_b32 s25, vcc_lo, s25
	s_delay_alu instid0(SALU_CYCLE_1)
	s_and_not1_b32 exec_lo, exec_lo, s25
	s_cbranch_execnz .LBB152_21
; %bb.22:                               ;   in Loop: Header=BB152_15 Depth=3
	s_or_b32 exec_lo, exec_lo, s25
	ds_load_b64 v[25:26], v31 offset:8
	s_mov_b32 s25, 0
.LBB152_23:                             ;   Parent Loop BB152_10 Depth=1
                                        ;     Parent Loop BB152_13 Depth=2
                                        ;       Parent Loop BB152_15 Depth=3
                                        ; =>      This Inner Loop Header: Depth=4
	s_waitcnt lgkmcnt(0)
	v_add_f64 v[32:33], v[25:26], v[21:22]
	ds_cmpstore_rtn_b64 v[32:33], v31, v[32:33], v[25:26] offset:8
	s_waitcnt lgkmcnt(0)
	v_cmp_eq_u64_e32 vcc_lo, v[32:33], v[25:26]
	v_dual_mov_b32 v25, v32 :: v_dual_mov_b32 v26, v33
	s_or_b32 s25, vcc_lo, s25
	s_delay_alu instid0(SALU_CYCLE_1)
	s_and_not1_b32 exec_lo, exec_lo, s25
	s_cbranch_execnz .LBB152_23
; %bb.24:                               ;   in Loop: Header=BB152_15 Depth=3
	s_or_b32 exec_lo, exec_lo, s25
	s_delay_alu instid0(SALU_CYCLE_1)
	s_xor_b32 s25, exec_lo, -1
.LBB152_25:                             ;   in Loop: Header=BB152_15 Depth=3
	s_or_b32 exec_lo, exec_lo, s24
	s_delay_alu instid0(SALU_CYCLE_1) | instskip(SKIP_1) | instid1(SALU_CYCLE_1)
	s_and_not1_b32 s22, s22, exec_lo
	s_and_b32 s24, s25, exec_lo
	s_or_b32 s22, s22, s24
.LBB152_26:                             ;   in Loop: Header=BB152_15 Depth=3
	s_or_b32 exec_lo, exec_lo, s23
	s_delay_alu instid0(SALU_CYCLE_1)
	s_and_b32 s22, s22, exec_lo
.LBB152_27:                             ;   in Loop: Header=BB152_15 Depth=3
	s_and_not1_saveexec_b32 s21, s21
	s_cbranch_execz .LBB152_14
; %bb.28:                               ;   in Loop: Header=BB152_15 Depth=3
	v_lshlrev_b32_e32 v25, 4, v30
	s_mov_b32 s23, 0
	s_delay_alu instid0(VALU_DEP_1)
	v_add3_u32 v31, 0, v25, 0x10000
	ds_load_b64 v[25:26], v31
.LBB152_29:                             ;   Parent Loop BB152_10 Depth=1
                                        ;     Parent Loop BB152_13 Depth=2
                                        ;       Parent Loop BB152_15 Depth=3
                                        ; =>      This Inner Loop Header: Depth=4
	s_waitcnt lgkmcnt(0)
	v_add_f64 v[32:33], v[25:26], v[19:20]
	ds_cmpstore_rtn_b64 v[32:33], v31, v[32:33], v[25:26]
	s_waitcnt lgkmcnt(0)
	v_cmp_eq_u64_e32 vcc_lo, v[32:33], v[25:26]
	v_dual_mov_b32 v25, v32 :: v_dual_mov_b32 v26, v33
	s_or_b32 s23, vcc_lo, s23
	s_delay_alu instid0(SALU_CYCLE_1)
	s_and_not1_b32 exec_lo, exec_lo, s23
	s_cbranch_execnz .LBB152_29
; %bb.30:                               ;   in Loop: Header=BB152_15 Depth=3
	s_or_b32 exec_lo, exec_lo, s23
	ds_load_b64 v[25:26], v31 offset:8
	s_mov_b32 s23, 0
.LBB152_31:                             ;   Parent Loop BB152_10 Depth=1
                                        ;     Parent Loop BB152_13 Depth=2
                                        ;       Parent Loop BB152_15 Depth=3
                                        ; =>      This Inner Loop Header: Depth=4
	s_waitcnt lgkmcnt(0)
	v_add_f64 v[32:33], v[25:26], v[21:22]
	ds_cmpstore_rtn_b64 v[32:33], v31, v[32:33], v[25:26] offset:8
	s_waitcnt lgkmcnt(0)
	v_cmp_eq_u64_e32 vcc_lo, v[32:33], v[25:26]
	v_dual_mov_b32 v25, v32 :: v_dual_mov_b32 v26, v33
	s_or_b32 s23, vcc_lo, s23
	s_delay_alu instid0(SALU_CYCLE_1)
	s_and_not1_b32 exec_lo, exec_lo, s23
	s_cbranch_execnz .LBB152_31
; %bb.32:                               ;   in Loop: Header=BB152_15 Depth=3
	s_or_b32 exec_lo, exec_lo, s23
	s_delay_alu instid0(SALU_CYCLE_1)
	s_and_not1_b32 s22, s22, exec_lo
	s_branch .LBB152_14
.LBB152_33:
	s_or_b32 exec_lo, exec_lo, s14
.LBB152_34:
	s_clause 0x1
	s_load_b64 s[36:37], s[0:1], 0x90
	s_load_b64 s[42:43], s[0:1], 0x80
	s_and_not1_b32 vcc_lo, exec_lo, s18
	s_cbranch_vccnz .LBB152_59
; %bb.35:
	s_load_b64 s[2:3], s[0:1], 0x68
	s_waitcnt lgkmcnt(0)
	s_lshl_b64 s[4:5], s[40:41], 3
	s_delay_alu instid0(SALU_CYCLE_1) | instskip(SKIP_3) | instid1(VALU_DEP_1)
	s_add_u32 s2, s2, s4
	s_addc_u32 s3, s3, s5
	s_load_b128 s[4:7], s[2:3], 0x0
	v_sub_co_u32 v5, s2, v0, s39
	v_sub_co_ci_u32_e64 v6, null, 0, 0, s2
	s_waitcnt lgkmcnt(0)
	s_delay_alu instid0(VALU_DEP_2) | instskip(NEXT) | instid1(VALU_DEP_2)
	v_add_co_u32 v5, vcc_lo, s4, v5
	v_add_co_ci_u32_e32 v6, vcc_lo, s5, v6, vcc_lo
	s_sub_u32 s4, s6, s39
	s_subb_u32 s5, s7, 0
	s_mov_b32 s6, 0
	s_mov_b32 s7, exec_lo
	v_cmpx_gt_i64_e64 s[4:5], v[5:6]
	s_cbranch_execz .LBB152_58
; %bb.36:
	s_load_b128 s[0:3], s[0:1], 0x70
	s_mov_b32 s8, s39
	s_branch .LBB152_38
.LBB152_37:                             ;   in Loop: Header=BB152_38 Depth=1
	s_or_b32 exec_lo, exec_lo, s9
	v_add_co_u32 v5, vcc_lo, 0x400, v5
	v_add_co_ci_u32_e32 v6, vcc_lo, 0, v6, vcc_lo
	s_delay_alu instid0(VALU_DEP_1) | instskip(SKIP_1) | instid1(SALU_CYCLE_1)
	v_cmp_le_i64_e32 vcc_lo, s[4:5], v[5:6]
	s_or_b32 s6, vcc_lo, s6
	s_and_not1_b32 exec_lo, exec_lo, s6
	s_cbranch_execz .LBB152_58
.LBB152_38:                             ; =>This Loop Header: Depth=1
                                        ;     Child Loop BB152_40 Depth 2
                                        ;       Child Loop BB152_46 Depth 3
                                        ;       Child Loop BB152_48 Depth 3
	;; [unrolled: 1-line block ×4, first 2 shown]
	v_lshlrev_b64 v[7:8], 4, v[5:6]
	s_mov_b32 s9, 0
	s_waitcnt lgkmcnt(0)
	s_delay_alu instid0(VALU_DEP_1) | instskip(NEXT) | instid1(VALU_DEP_2)
	v_add_co_u32 v7, vcc_lo, s2, v7
	v_add_co_ci_u32_e32 v8, vcc_lo, s3, v8, vcc_lo
	global_load_b128 v[9:12], v[7:8], off
	v_lshlrev_b64 v[7:8], 3, v[5:6]
	s_delay_alu instid0(VALU_DEP_1) | instskip(NEXT) | instid1(VALU_DEP_2)
	v_add_co_u32 v7, vcc_lo, s0, v7
	v_add_co_ci_u32_e32 v8, vcc_lo, s1, v8, vcc_lo
	global_load_b64 v[13:14], v[7:8], off
	s_waitcnt vmcnt(1)
	v_mul_f64 v[7:8], v[11:12], -v[1:2]
	v_mul_f64 v[11:12], v[3:4], v[11:12]
	s_delay_alu instid0(VALU_DEP_2) | instskip(NEXT) | instid1(VALU_DEP_2)
	v_fma_f64 v[7:8], v[3:4], v[9:10], v[7:8]
	v_fma_f64 v[9:10], v[1:2], v[9:10], v[11:12]
	s_waitcnt vmcnt(0)
	v_sub_co_u32 v11, vcc_lo, v13, s8
	v_subrev_co_ci_u32_e32 v12, vcc_lo, 0, v14, vcc_lo
	s_delay_alu instid0(VALU_DEP_2) | instskip(NEXT) | instid1(VALU_DEP_1)
	v_mul_lo_u32 v13, 0x89, v11
	v_and_b32_e32 v15, 0x1fff, v13
	s_branch .LBB152_40
.LBB152_39:                             ;   in Loop: Header=BB152_40 Depth=2
	s_or_b32 exec_lo, exec_lo, s10
	s_xor_b32 s10, s11, -1
	s_delay_alu instid0(SALU_CYCLE_1) | instskip(NEXT) | instid1(SALU_CYCLE_1)
	s_and_b32 s10, exec_lo, s10
	s_or_b32 s9, s10, s9
	s_delay_alu instid0(SALU_CYCLE_1)
	s_and_not1_b32 exec_lo, exec_lo, s9
	s_cbranch_execz .LBB152_37
.LBB152_40:                             ;   Parent Loop BB152_38 Depth=1
                                        ; =>  This Loop Header: Depth=2
                                        ;       Child Loop BB152_46 Depth 3
                                        ;       Child Loop BB152_48 Depth 3
	;; [unrolled: 1-line block ×4, first 2 shown]
	s_delay_alu instid0(VALU_DEP_1)
	v_lshl_add_u32 v16, v15, 3, 0
	s_mov_b32 s10, exec_lo
                                        ; implicit-def: $sgpr11
	ds_load_b64 v[13:14], v16
	s_waitcnt lgkmcnt(0)
	v_cmpx_ne_u64_e64 v[13:14], v[11:12]
	s_xor_b32 s10, exec_lo, s10
	s_cbranch_execz .LBB152_52
; %bb.41:                               ;   in Loop: Header=BB152_40 Depth=2
	s_mov_b32 s12, exec_lo
                                        ; implicit-def: $sgpr11
	v_cmpx_ne_u64_e64 s[34:35], v[13:14]
	s_xor_b32 s12, exec_lo, s12
; %bb.42:                               ;   in Loop: Header=BB152_40 Depth=2
	v_add_nc_u32_e32 v13, 1, v15
	s_mov_b32 s11, -1
                                        ; implicit-def: $vgpr16
	s_delay_alu instid0(VALU_DEP_1)
	v_and_b32_e32 v15, 0x1fff, v13
; %bb.43:                               ;   in Loop: Header=BB152_40 Depth=2
	s_and_not1_saveexec_b32 s12, s12
	s_cbranch_execz .LBB152_51
; %bb.44:                               ;   in Loop: Header=BB152_40 Depth=2
	v_dual_mov_b32 v13, s34 :: v_dual_mov_b32 v14, s35
	s_mov_b32 s14, -1
	s_mov_b32 s13, exec_lo
	ds_cmpstore_rtn_b64 v[13:14], v16, v[11:12], v[13:14]
	s_waitcnt lgkmcnt(0)
	v_cmpx_eq_u64_e64 s[34:35], v[13:14]
	s_cbranch_execz .LBB152_50
; %bb.45:                               ;   in Loop: Header=BB152_40 Depth=2
	v_lshlrev_b32_e32 v13, 4, v15
	s_mov_b32 s14, 0
	s_delay_alu instid0(VALU_DEP_1)
	v_add3_u32 v16, 0, v13, 0x10000
	ds_load_b64 v[13:14], v16
.LBB152_46:                             ;   Parent Loop BB152_38 Depth=1
                                        ;     Parent Loop BB152_40 Depth=2
                                        ; =>    This Inner Loop Header: Depth=3
	s_waitcnt lgkmcnt(0)
	v_add_f64 v[17:18], v[13:14], v[7:8]
	ds_cmpstore_rtn_b64 v[17:18], v16, v[17:18], v[13:14]
	s_waitcnt lgkmcnt(0)
	v_cmp_eq_u64_e32 vcc_lo, v[17:18], v[13:14]
	v_dual_mov_b32 v13, v17 :: v_dual_mov_b32 v14, v18
	s_or_b32 s14, vcc_lo, s14
	s_delay_alu instid0(SALU_CYCLE_1)
	s_and_not1_b32 exec_lo, exec_lo, s14
	s_cbranch_execnz .LBB152_46
; %bb.47:                               ;   in Loop: Header=BB152_40 Depth=2
	s_or_b32 exec_lo, exec_lo, s14
	ds_load_b64 v[13:14], v16 offset:8
	s_mov_b32 s14, 0
.LBB152_48:                             ;   Parent Loop BB152_38 Depth=1
                                        ;     Parent Loop BB152_40 Depth=2
                                        ; =>    This Inner Loop Header: Depth=3
	s_waitcnt lgkmcnt(0)
	v_add_f64 v[17:18], v[13:14], v[9:10]
	ds_cmpstore_rtn_b64 v[17:18], v16, v[17:18], v[13:14] offset:8
	s_waitcnt lgkmcnt(0)
	v_cmp_eq_u64_e32 vcc_lo, v[17:18], v[13:14]
	v_dual_mov_b32 v13, v17 :: v_dual_mov_b32 v14, v18
	s_or_b32 s14, vcc_lo, s14
	s_delay_alu instid0(SALU_CYCLE_1)
	s_and_not1_b32 exec_lo, exec_lo, s14
	s_cbranch_execnz .LBB152_48
; %bb.49:                               ;   in Loop: Header=BB152_40 Depth=2
	s_or_b32 exec_lo, exec_lo, s14
	s_delay_alu instid0(SALU_CYCLE_1)
	s_xor_b32 s14, exec_lo, -1
.LBB152_50:                             ;   in Loop: Header=BB152_40 Depth=2
	s_or_b32 exec_lo, exec_lo, s13
	s_delay_alu instid0(SALU_CYCLE_1) | instskip(SKIP_1) | instid1(SALU_CYCLE_1)
	s_and_not1_b32 s11, s11, exec_lo
	s_and_b32 s13, s14, exec_lo
	s_or_b32 s11, s11, s13
.LBB152_51:                             ;   in Loop: Header=BB152_40 Depth=2
	s_or_b32 exec_lo, exec_lo, s12
	s_delay_alu instid0(SALU_CYCLE_1)
	s_and_b32 s11, s11, exec_lo
.LBB152_52:                             ;   in Loop: Header=BB152_40 Depth=2
	s_and_not1_saveexec_b32 s10, s10
	s_cbranch_execz .LBB152_39
; %bb.53:                               ;   in Loop: Header=BB152_40 Depth=2
	v_lshlrev_b32_e32 v13, 4, v15
	s_mov_b32 s12, 0
	s_delay_alu instid0(VALU_DEP_1)
	v_add3_u32 v16, 0, v13, 0x10000
	ds_load_b64 v[13:14], v16
.LBB152_54:                             ;   Parent Loop BB152_38 Depth=1
                                        ;     Parent Loop BB152_40 Depth=2
                                        ; =>    This Inner Loop Header: Depth=3
	s_waitcnt lgkmcnt(0)
	v_add_f64 v[17:18], v[13:14], v[7:8]
	ds_cmpstore_rtn_b64 v[17:18], v16, v[17:18], v[13:14]
	s_waitcnt lgkmcnt(0)
	v_cmp_eq_u64_e32 vcc_lo, v[17:18], v[13:14]
	v_dual_mov_b32 v13, v17 :: v_dual_mov_b32 v14, v18
	s_or_b32 s12, vcc_lo, s12
	s_delay_alu instid0(SALU_CYCLE_1)
	s_and_not1_b32 exec_lo, exec_lo, s12
	s_cbranch_execnz .LBB152_54
; %bb.55:                               ;   in Loop: Header=BB152_40 Depth=2
	s_or_b32 exec_lo, exec_lo, s12
	ds_load_b64 v[13:14], v16 offset:8
	s_mov_b32 s12, 0
.LBB152_56:                             ;   Parent Loop BB152_38 Depth=1
                                        ;     Parent Loop BB152_40 Depth=2
                                        ; =>    This Inner Loop Header: Depth=3
	s_waitcnt lgkmcnt(0)
	v_add_f64 v[17:18], v[13:14], v[9:10]
	ds_cmpstore_rtn_b64 v[17:18], v16, v[17:18], v[13:14] offset:8
	s_waitcnt lgkmcnt(0)
	v_cmp_eq_u64_e32 vcc_lo, v[17:18], v[13:14]
	v_dual_mov_b32 v13, v17 :: v_dual_mov_b32 v14, v18
	s_or_b32 s12, vcc_lo, s12
	s_delay_alu instid0(SALU_CYCLE_1)
	s_and_not1_b32 exec_lo, exec_lo, s12
	s_cbranch_execnz .LBB152_56
; %bb.57:                               ;   in Loop: Header=BB152_40 Depth=2
	s_or_b32 exec_lo, exec_lo, s12
	s_delay_alu instid0(SALU_CYCLE_1)
	s_and_not1_b32 s11, s11, exec_lo
	s_branch .LBB152_39
.LBB152_58:
	s_or_b32 exec_lo, exec_lo, s7
.LBB152_59:
	v_mbcnt_lo_u32_b32 v1, -1, 0
	v_lshrrev_b32_e32 v2, 2, v0
	s_add_i32 s71, 0, 0x300f8
	v_cmp_eq_u32_e32 vcc_lo, 0x3ff, v0
	v_cmp_lt_u32_e64 s0, 31, v0
	v_xor_b32_e32 v1, 63, v1
	v_and_b32_e32 v3, 0xf8, v2
	v_cmp_lt_u32_e64 s1, 63, v0
	v_cmp_lt_u32_e64 s2, 0x5f, v0
	;; [unrolled: 1-line block ×3, first 2 shown]
	v_lshrrev_b64 v[1:2], v1, -1
	v_dual_mov_b32 v5, 0 :: v_dual_lshlrev_b32 v2, 4, v0
	v_add3_u32 v10, 0, 0x30000, v3
	v_cmp_lt_u32_e64 s4, 0x9f, v0
	v_cmp_lt_u32_e64 s5, 0xbf, v0
	s_delay_alu instid0(VALU_DEP_4)
	v_add3_u32 v12, v2, 0, 0x10000
	v_dual_mov_b32 v2, 0 :: v_dual_mov_b32 v13, s71
	v_cmp_lt_u32_e64 s6, 0xdf, v0
	v_cmp_lt_u32_e64 s7, 0xff, v0
	;; [unrolled: 1-line block ×25, first 2 shown]
	v_or_b32_e32 v11, 0xfffffc00, v0
	v_mov_b32_e32 v3, 0
	s_mov_b32 s39, 0
	s_add_i32 s44, 0, 0x30000
	s_add_i32 s45, 0, 0x30008
	;; [unrolled: 1-line block ×31, first 2 shown]
	s_waitcnt lgkmcnt(0)
	s_barrier
	buffer_gl0_inv
	s_branch .LBB152_61
.LBB152_60:                             ;   in Loop: Header=BB152_61 Depth=1
	s_or_b32 exec_lo, exec_lo, s31
	s_waitcnt lgkmcnt(0)
	s_barrier
	buffer_gl0_inv
	ds_load_b64 v[6:7], v13
	v_add_nc_u32_e32 v11, 0x400, v11
	v_add_nc_u32_e32 v12, 0x4000, v12
	;; [unrolled: 1-line block ×3, first 2 shown]
	s_delay_alu instid0(VALU_DEP_3) | instskip(NEXT) | instid1(VALU_DEP_1)
	v_cmp_lt_u32_e64 s31, 0x1bff, v11
	s_or_b32 s39, s31, s39
	s_waitcnt lgkmcnt(0)
	v_add_co_u32 v2, s33, v6, v2
	s_delay_alu instid0(VALU_DEP_1)
	v_add_co_ci_u32_e64 v3, s33, v7, v3, s33
	s_and_not1_b32 exec_lo, exec_lo, s39
	s_cbranch_execz .LBB152_127
.LBB152_61:                             ; =>This Inner Loop Header: Depth=1
	ds_load_b64 v[6:7], v27
	ds_load_2addr_b64 v[14:17], v12 offset1:1
	s_waitcnt lgkmcnt(1)
	v_cmp_gt_i64_e64 s31, s[34:35], v[6:7]
	s_waitcnt lgkmcnt(0)
	scratch_store_b128 off, v[14:17], off
	s_waitcnt_vscnt null, 0x0
	s_barrier
	buffer_gl0_inv
	v_and_b32_e32 v8, s31, v1
	s_bcnt1_i32_b32 s33, s31
	s_delay_alu instid0(SALU_CYCLE_1) | instskip(NEXT) | instid1(VALU_DEP_2)
	v_mov_b32_e32 v4, s33
	v_bcnt_u32_b32 v8, v8, 0
	ds_store_b64 v10, v[4:5]
	s_waitcnt lgkmcnt(0)
	s_barrier
	buffer_gl0_inv
	s_and_saveexec_b32 s33, s0
	s_cbranch_execnz .LBB152_94
; %bb.62:                               ;   in Loop: Header=BB152_61 Depth=1
	s_or_b32 exec_lo, exec_lo, s33
	s_and_saveexec_b32 s33, s1
	s_cbranch_execnz .LBB152_95
.LBB152_63:                             ;   in Loop: Header=BB152_61 Depth=1
	s_or_b32 exec_lo, exec_lo, s33
	s_and_saveexec_b32 s33, s2
	s_cbranch_execnz .LBB152_96
.LBB152_64:                             ;   in Loop: Header=BB152_61 Depth=1
	s_or_b32 exec_lo, exec_lo, s33
	s_and_saveexec_b32 s33, s3
	s_cbranch_execnz .LBB152_97
.LBB152_65:                             ;   in Loop: Header=BB152_61 Depth=1
	s_or_b32 exec_lo, exec_lo, s33
	s_and_saveexec_b32 s33, s4
	s_cbranch_execnz .LBB152_98
.LBB152_66:                             ;   in Loop: Header=BB152_61 Depth=1
	s_or_b32 exec_lo, exec_lo, s33
	s_and_saveexec_b32 s33, s5
	s_cbranch_execnz .LBB152_99
.LBB152_67:                             ;   in Loop: Header=BB152_61 Depth=1
	s_or_b32 exec_lo, exec_lo, s33
	s_and_saveexec_b32 s33, s6
	s_cbranch_execnz .LBB152_100
.LBB152_68:                             ;   in Loop: Header=BB152_61 Depth=1
	s_or_b32 exec_lo, exec_lo, s33
	s_and_saveexec_b32 s33, s7
	s_cbranch_execnz .LBB152_101
.LBB152_69:                             ;   in Loop: Header=BB152_61 Depth=1
	s_or_b32 exec_lo, exec_lo, s33
	s_and_saveexec_b32 s33, s8
	s_cbranch_execnz .LBB152_102
.LBB152_70:                             ;   in Loop: Header=BB152_61 Depth=1
	s_or_b32 exec_lo, exec_lo, s33
	s_and_saveexec_b32 s33, s9
	s_cbranch_execnz .LBB152_103
.LBB152_71:                             ;   in Loop: Header=BB152_61 Depth=1
	s_or_b32 exec_lo, exec_lo, s33
	s_and_saveexec_b32 s33, s10
	s_cbranch_execnz .LBB152_104
.LBB152_72:                             ;   in Loop: Header=BB152_61 Depth=1
	s_or_b32 exec_lo, exec_lo, s33
	s_and_saveexec_b32 s33, s11
	s_cbranch_execnz .LBB152_105
.LBB152_73:                             ;   in Loop: Header=BB152_61 Depth=1
	s_or_b32 exec_lo, exec_lo, s33
	s_and_saveexec_b32 s33, s12
	s_cbranch_execnz .LBB152_106
.LBB152_74:                             ;   in Loop: Header=BB152_61 Depth=1
	s_or_b32 exec_lo, exec_lo, s33
	s_and_saveexec_b32 s33, s13
	s_cbranch_execnz .LBB152_107
.LBB152_75:                             ;   in Loop: Header=BB152_61 Depth=1
	s_or_b32 exec_lo, exec_lo, s33
	s_and_saveexec_b32 s33, s14
	s_cbranch_execnz .LBB152_108
.LBB152_76:                             ;   in Loop: Header=BB152_61 Depth=1
	s_or_b32 exec_lo, exec_lo, s33
	s_and_saveexec_b32 s33, s15
	s_cbranch_execnz .LBB152_109
.LBB152_77:                             ;   in Loop: Header=BB152_61 Depth=1
	s_or_b32 exec_lo, exec_lo, s33
	s_and_saveexec_b32 s33, s16
	s_cbranch_execnz .LBB152_110
.LBB152_78:                             ;   in Loop: Header=BB152_61 Depth=1
	s_or_b32 exec_lo, exec_lo, s33
	s_and_saveexec_b32 s33, s17
	s_cbranch_execnz .LBB152_111
.LBB152_79:                             ;   in Loop: Header=BB152_61 Depth=1
	s_or_b32 exec_lo, exec_lo, s33
	s_and_saveexec_b32 s33, s18
	s_cbranch_execnz .LBB152_112
.LBB152_80:                             ;   in Loop: Header=BB152_61 Depth=1
	s_or_b32 exec_lo, exec_lo, s33
	s_and_saveexec_b32 s33, s19
	s_cbranch_execnz .LBB152_113
.LBB152_81:                             ;   in Loop: Header=BB152_61 Depth=1
	s_or_b32 exec_lo, exec_lo, s33
	s_and_saveexec_b32 s33, s20
	s_cbranch_execnz .LBB152_114
.LBB152_82:                             ;   in Loop: Header=BB152_61 Depth=1
	s_or_b32 exec_lo, exec_lo, s33
	s_and_saveexec_b32 s33, s21
	s_cbranch_execnz .LBB152_115
.LBB152_83:                             ;   in Loop: Header=BB152_61 Depth=1
	s_or_b32 exec_lo, exec_lo, s33
	s_and_saveexec_b32 s33, s22
	s_cbranch_execnz .LBB152_116
.LBB152_84:                             ;   in Loop: Header=BB152_61 Depth=1
	s_or_b32 exec_lo, exec_lo, s33
	s_and_saveexec_b32 s33, s23
	s_cbranch_execnz .LBB152_117
.LBB152_85:                             ;   in Loop: Header=BB152_61 Depth=1
	s_or_b32 exec_lo, exec_lo, s33
	s_and_saveexec_b32 s33, s24
	s_cbranch_execnz .LBB152_118
.LBB152_86:                             ;   in Loop: Header=BB152_61 Depth=1
	s_or_b32 exec_lo, exec_lo, s33
	s_and_saveexec_b32 s33, s25
	s_cbranch_execnz .LBB152_119
.LBB152_87:                             ;   in Loop: Header=BB152_61 Depth=1
	s_or_b32 exec_lo, exec_lo, s33
	s_and_saveexec_b32 s33, s26
	s_cbranch_execnz .LBB152_120
.LBB152_88:                             ;   in Loop: Header=BB152_61 Depth=1
	s_or_b32 exec_lo, exec_lo, s33
	s_and_saveexec_b32 s33, s27
	s_cbranch_execnz .LBB152_121
.LBB152_89:                             ;   in Loop: Header=BB152_61 Depth=1
	s_or_b32 exec_lo, exec_lo, s33
	s_and_saveexec_b32 s33, s28
	s_cbranch_execnz .LBB152_122
.LBB152_90:                             ;   in Loop: Header=BB152_61 Depth=1
	s_or_b32 exec_lo, exec_lo, s33
	s_and_saveexec_b32 s33, s29
	s_cbranch_execnz .LBB152_123
.LBB152_91:                             ;   in Loop: Header=BB152_61 Depth=1
	s_or_b32 exec_lo, exec_lo, s33
	s_and_saveexec_b32 s33, s30
	s_cbranch_execnz .LBB152_124
.LBB152_92:                             ;   in Loop: Header=BB152_61 Depth=1
	s_or_b32 exec_lo, exec_lo, s33
	v_ashrrev_i32_e32 v9, 31, v8
	s_and_saveexec_b32 s33, s31
	s_cbranch_execnz .LBB152_125
.LBB152_93:                             ;   in Loop: Header=BB152_61 Depth=1
	s_or_b32 exec_lo, exec_lo, s33
	s_and_saveexec_b32 s31, vcc_lo
	s_cbranch_execz .LBB152_60
	s_branch .LBB152_126
.LBB152_94:                             ;   in Loop: Header=BB152_61 Depth=1
	v_mov_b32_e32 v4, s44
	ds_load_b32 v4, v4
	s_waitcnt lgkmcnt(0)
	v_add_nc_u32_e32 v8, v4, v8
	s_or_b32 exec_lo, exec_lo, s33
	s_and_saveexec_b32 s33, s1
	s_cbranch_execz .LBB152_63
.LBB152_95:                             ;   in Loop: Header=BB152_61 Depth=1
	v_mov_b32_e32 v4, s45
	ds_load_b32 v4, v4
	s_waitcnt lgkmcnt(0)
	v_add_nc_u32_e32 v8, v8, v4
	s_or_b32 exec_lo, exec_lo, s33
	s_and_saveexec_b32 s33, s2
	s_cbranch_execz .LBB152_64
.LBB152_96:                             ;   in Loop: Header=BB152_61 Depth=1
	v_mov_b32_e32 v4, s46
	ds_load_b32 v4, v4
	s_waitcnt lgkmcnt(0)
	v_add_nc_u32_e32 v8, v8, v4
	s_or_b32 exec_lo, exec_lo, s33
	s_and_saveexec_b32 s33, s3
	s_cbranch_execz .LBB152_65
.LBB152_97:                             ;   in Loop: Header=BB152_61 Depth=1
	v_mov_b32_e32 v4, s47
	ds_load_b32 v4, v4
	s_waitcnt lgkmcnt(0)
	v_add_nc_u32_e32 v8, v8, v4
	s_or_b32 exec_lo, exec_lo, s33
	s_and_saveexec_b32 s33, s4
	s_cbranch_execz .LBB152_66
.LBB152_98:                             ;   in Loop: Header=BB152_61 Depth=1
	v_mov_b32_e32 v4, s48
	ds_load_b32 v4, v4
	s_waitcnt lgkmcnt(0)
	v_add_nc_u32_e32 v8, v8, v4
	s_or_b32 exec_lo, exec_lo, s33
	s_and_saveexec_b32 s33, s5
	s_cbranch_execz .LBB152_67
.LBB152_99:                             ;   in Loop: Header=BB152_61 Depth=1
	v_mov_b32_e32 v4, s49
	ds_load_b32 v4, v4
	s_waitcnt lgkmcnt(0)
	v_add_nc_u32_e32 v8, v8, v4
	s_or_b32 exec_lo, exec_lo, s33
	s_and_saveexec_b32 s33, s6
	s_cbranch_execz .LBB152_68
.LBB152_100:                            ;   in Loop: Header=BB152_61 Depth=1
	v_mov_b32_e32 v4, s50
	ds_load_b32 v4, v4
	s_waitcnt lgkmcnt(0)
	v_add_nc_u32_e32 v8, v8, v4
	s_or_b32 exec_lo, exec_lo, s33
	s_and_saveexec_b32 s33, s7
	s_cbranch_execz .LBB152_69
.LBB152_101:                            ;   in Loop: Header=BB152_61 Depth=1
	v_mov_b32_e32 v4, s51
	ds_load_b32 v4, v4
	s_waitcnt lgkmcnt(0)
	v_add_nc_u32_e32 v8, v8, v4
	s_or_b32 exec_lo, exec_lo, s33
	s_and_saveexec_b32 s33, s8
	s_cbranch_execz .LBB152_70
.LBB152_102:                            ;   in Loop: Header=BB152_61 Depth=1
	v_mov_b32_e32 v4, s52
	ds_load_b32 v4, v4
	s_waitcnt lgkmcnt(0)
	v_add_nc_u32_e32 v8, v8, v4
	s_or_b32 exec_lo, exec_lo, s33
	s_and_saveexec_b32 s33, s9
	s_cbranch_execz .LBB152_71
.LBB152_103:                            ;   in Loop: Header=BB152_61 Depth=1
	v_mov_b32_e32 v4, s53
	ds_load_b32 v4, v4
	s_waitcnt lgkmcnt(0)
	v_add_nc_u32_e32 v8, v8, v4
	s_or_b32 exec_lo, exec_lo, s33
	s_and_saveexec_b32 s33, s10
	s_cbranch_execz .LBB152_72
.LBB152_104:                            ;   in Loop: Header=BB152_61 Depth=1
	v_mov_b32_e32 v4, s54
	ds_load_b32 v4, v4
	s_waitcnt lgkmcnt(0)
	v_add_nc_u32_e32 v8, v8, v4
	s_or_b32 exec_lo, exec_lo, s33
	s_and_saveexec_b32 s33, s11
	s_cbranch_execz .LBB152_73
.LBB152_105:                            ;   in Loop: Header=BB152_61 Depth=1
	v_mov_b32_e32 v4, s55
	ds_load_b32 v4, v4
	s_waitcnt lgkmcnt(0)
	v_add_nc_u32_e32 v8, v8, v4
	s_or_b32 exec_lo, exec_lo, s33
	s_and_saveexec_b32 s33, s12
	s_cbranch_execz .LBB152_74
.LBB152_106:                            ;   in Loop: Header=BB152_61 Depth=1
	v_mov_b32_e32 v4, s56
	ds_load_b32 v4, v4
	s_waitcnt lgkmcnt(0)
	v_add_nc_u32_e32 v8, v8, v4
	s_or_b32 exec_lo, exec_lo, s33
	s_and_saveexec_b32 s33, s13
	s_cbranch_execz .LBB152_75
.LBB152_107:                            ;   in Loop: Header=BB152_61 Depth=1
	v_mov_b32_e32 v4, s57
	ds_load_b32 v4, v4
	s_waitcnt lgkmcnt(0)
	v_add_nc_u32_e32 v8, v8, v4
	s_or_b32 exec_lo, exec_lo, s33
	s_and_saveexec_b32 s33, s14
	s_cbranch_execz .LBB152_76
.LBB152_108:                            ;   in Loop: Header=BB152_61 Depth=1
	v_mov_b32_e32 v4, s58
	ds_load_b32 v4, v4
	s_waitcnt lgkmcnt(0)
	v_add_nc_u32_e32 v8, v8, v4
	s_or_b32 exec_lo, exec_lo, s33
	s_and_saveexec_b32 s33, s15
	s_cbranch_execz .LBB152_77
.LBB152_109:                            ;   in Loop: Header=BB152_61 Depth=1
	v_mov_b32_e32 v4, s59
	ds_load_b32 v4, v4
	s_waitcnt lgkmcnt(0)
	v_add_nc_u32_e32 v8, v8, v4
	s_or_b32 exec_lo, exec_lo, s33
	s_and_saveexec_b32 s33, s16
	s_cbranch_execz .LBB152_78
.LBB152_110:                            ;   in Loop: Header=BB152_61 Depth=1
	v_mov_b32_e32 v4, s60
	ds_load_b32 v4, v4
	s_waitcnt lgkmcnt(0)
	v_add_nc_u32_e32 v8, v8, v4
	s_or_b32 exec_lo, exec_lo, s33
	s_and_saveexec_b32 s33, s17
	s_cbranch_execz .LBB152_79
.LBB152_111:                            ;   in Loop: Header=BB152_61 Depth=1
	v_mov_b32_e32 v4, s61
	ds_load_b32 v4, v4
	s_waitcnt lgkmcnt(0)
	v_add_nc_u32_e32 v8, v8, v4
	s_or_b32 exec_lo, exec_lo, s33
	s_and_saveexec_b32 s33, s18
	s_cbranch_execz .LBB152_80
.LBB152_112:                            ;   in Loop: Header=BB152_61 Depth=1
	v_mov_b32_e32 v4, s62
	ds_load_b32 v4, v4
	s_waitcnt lgkmcnt(0)
	v_add_nc_u32_e32 v8, v8, v4
	s_or_b32 exec_lo, exec_lo, s33
	s_and_saveexec_b32 s33, s19
	s_cbranch_execz .LBB152_81
.LBB152_113:                            ;   in Loop: Header=BB152_61 Depth=1
	v_mov_b32_e32 v4, s63
	ds_load_b32 v4, v4
	s_waitcnt lgkmcnt(0)
	v_add_nc_u32_e32 v8, v8, v4
	s_or_b32 exec_lo, exec_lo, s33
	s_and_saveexec_b32 s33, s20
	s_cbranch_execz .LBB152_82
.LBB152_114:                            ;   in Loop: Header=BB152_61 Depth=1
	v_mov_b32_e32 v4, s64
	ds_load_b32 v4, v4
	s_waitcnt lgkmcnt(0)
	v_add_nc_u32_e32 v8, v8, v4
	s_or_b32 exec_lo, exec_lo, s33
	s_and_saveexec_b32 s33, s21
	s_cbranch_execz .LBB152_83
.LBB152_115:                            ;   in Loop: Header=BB152_61 Depth=1
	v_mov_b32_e32 v4, s65
	ds_load_b32 v4, v4
	s_waitcnt lgkmcnt(0)
	v_add_nc_u32_e32 v8, v8, v4
	s_or_b32 exec_lo, exec_lo, s33
	s_and_saveexec_b32 s33, s22
	s_cbranch_execz .LBB152_84
.LBB152_116:                            ;   in Loop: Header=BB152_61 Depth=1
	v_mov_b32_e32 v4, s66
	ds_load_b32 v4, v4
	s_waitcnt lgkmcnt(0)
	v_add_nc_u32_e32 v8, v8, v4
	s_or_b32 exec_lo, exec_lo, s33
	s_and_saveexec_b32 s33, s23
	s_cbranch_execz .LBB152_85
.LBB152_117:                            ;   in Loop: Header=BB152_61 Depth=1
	v_mov_b32_e32 v4, s67
	ds_load_b32 v4, v4
	s_waitcnt lgkmcnt(0)
	v_add_nc_u32_e32 v8, v8, v4
	s_or_b32 exec_lo, exec_lo, s33
	s_and_saveexec_b32 s33, s24
	s_cbranch_execz .LBB152_86
.LBB152_118:                            ;   in Loop: Header=BB152_61 Depth=1
	v_mov_b32_e32 v4, s68
	ds_load_b32 v4, v4
	s_waitcnt lgkmcnt(0)
	v_add_nc_u32_e32 v8, v8, v4
	s_or_b32 exec_lo, exec_lo, s33
	s_and_saveexec_b32 s33, s25
	s_cbranch_execz .LBB152_87
.LBB152_119:                            ;   in Loop: Header=BB152_61 Depth=1
	v_mov_b32_e32 v4, s69
	ds_load_b32 v4, v4
	s_waitcnt lgkmcnt(0)
	v_add_nc_u32_e32 v8, v8, v4
	s_or_b32 exec_lo, exec_lo, s33
	s_and_saveexec_b32 s33, s26
	s_cbranch_execz .LBB152_88
.LBB152_120:                            ;   in Loop: Header=BB152_61 Depth=1
	v_mov_b32_e32 v4, s70
	ds_load_b32 v4, v4
	s_waitcnt lgkmcnt(0)
	v_add_nc_u32_e32 v8, v8, v4
	s_or_b32 exec_lo, exec_lo, s33
	s_and_saveexec_b32 s33, s27
	s_cbranch_execz .LBB152_89
.LBB152_121:                            ;   in Loop: Header=BB152_61 Depth=1
	v_mov_b32_e32 v4, s72
	ds_load_b32 v4, v4
	s_waitcnt lgkmcnt(0)
	v_add_nc_u32_e32 v8, v8, v4
	s_or_b32 exec_lo, exec_lo, s33
	s_and_saveexec_b32 s33, s28
	s_cbranch_execz .LBB152_90
.LBB152_122:                            ;   in Loop: Header=BB152_61 Depth=1
	v_mov_b32_e32 v4, s73
	ds_load_b32 v4, v4
	s_waitcnt lgkmcnt(0)
	v_add_nc_u32_e32 v8, v8, v4
	s_or_b32 exec_lo, exec_lo, s33
	s_and_saveexec_b32 s33, s29
	s_cbranch_execz .LBB152_91
.LBB152_123:                            ;   in Loop: Header=BB152_61 Depth=1
	v_mov_b32_e32 v4, s74
	ds_load_b32 v4, v4
	s_waitcnt lgkmcnt(0)
	v_add_nc_u32_e32 v8, v8, v4
	s_or_b32 exec_lo, exec_lo, s33
	s_and_saveexec_b32 s33, s30
	s_cbranch_execz .LBB152_92
.LBB152_124:                            ;   in Loop: Header=BB152_61 Depth=1
	v_mov_b32_e32 v4, s75
	ds_load_b32 v4, v4
	s_waitcnt lgkmcnt(0)
	v_add_nc_u32_e32 v8, v8, v4
	s_or_b32 exec_lo, exec_lo, s33
	s_delay_alu instid0(VALU_DEP_1)
	v_ashrrev_i32_e32 v9, 31, v8
	s_and_saveexec_b32 s33, s31
	s_cbranch_execz .LBB152_93
.LBB152_125:                            ;   in Loop: Header=BB152_61 Depth=1
	scratch_load_b128 v[14:17], off, off
	v_add3_u32 v4, v2, -1, v8
	s_delay_alu instid0(VALU_DEP_1) | instskip(SKIP_1) | instid1(VALU_DEP_2)
	v_lshlrev_b32_e32 v18, 4, v4
	v_lshl_add_u32 v4, v4, 3, 0
	v_add3_u32 v18, 0, v18, 0x10000
	ds_store_b64 v4, v[6:7]
	s_waitcnt vmcnt(0)
	ds_store_2addr_b64 v18, v[14:15], v[16:17] offset1:1
	s_or_b32 exec_lo, exec_lo, s33
	s_and_saveexec_b32 s31, vcc_lo
	s_cbranch_execz .LBB152_60
.LBB152_126:                            ;   in Loop: Header=BB152_61 Depth=1
	v_mov_b32_e32 v4, s71
	ds_store_b64 v4, v[8:9]
	s_branch .LBB152_60
.LBB152_127:
	s_or_b32 exec_lo, exec_lo, s39
	s_lshl_b64 s[0:1], s[40:41], 3
	v_mov_b32_e32 v1, 0
	s_add_u32 s0, s42, s0
	s_addc_u32 s1, s43, s1
	s_mov_b32 s6, exec_lo
	s_load_b128 s[0:3], s[0:1], 0x0
	s_waitcnt lgkmcnt(0)
	s_sub_u32 s4, s2, s0
	s_subb_u32 s5, s3, s1
	s_delay_alu instid0(SALU_CYCLE_1)
	v_cmpx_gt_i64_e64 s[4:5], v[0:1]
	s_cbranch_execz .LBB152_137
; %bb.128:
	s_sub_u32 s8, s0, s38
	s_subb_u32 s9, s1, 0
	s_and_b32 s6, s4, 7
	s_sub_u32 s0, s0, s2
	s_subb_u32 s1, s1, s3
	s_mov_b32 s7, 0
	v_cmp_lt_u64_e64 s12, s[0:1], -7
	s_and_b32 s2, s4, -8
	s_cmp_lg_u64 s[6:7], 0
	s_mov_b32 s3, s5
	s_cselect_b32 s13, -1, 0
	s_mov_b32 s14, s7
	s_branch .LBB152_130
.LBB152_129:                            ;   in Loop: Header=BB152_130 Depth=1
	s_waitcnt lgkmcnt(0)
	v_lshlrev_b32_e32 v2, 4, v0
	v_add_co_u32 v0, vcc_lo, 0x400, v0
	v_add_co_ci_u32_e32 v1, vcc_lo, 0, v1, vcc_lo
	s_delay_alu instid0(VALU_DEP_3) | instskip(NEXT) | instid1(VALU_DEP_2)
	v_add3_u32 v2, 0, v2, 0x10000
	v_cmp_le_i64_e32 vcc_lo, s[4:5], v[0:1]
	ds_load_2addr_b64 v[6:9], v2 offset1:1
	v_lshlrev_b64 v[2:3], 4, v[4:5]
	s_or_b32 s14, vcc_lo, s14
	s_delay_alu instid0(VALU_DEP_1) | instskip(NEXT) | instid1(VALU_DEP_1)
	v_add_co_u32 v2, s0, s36, v2
	v_add_co_ci_u32_e64 v3, s0, s37, v3, s0
	s_waitcnt lgkmcnt(0)
	global_store_b128 v[2:3], v[6:9], off
	s_and_not1_b32 exec_lo, exec_lo, s14
	s_cbranch_execz .LBB152_137
.LBB152_130:                            ; =>This Loop Header: Depth=1
                                        ;     Child Loop BB152_132 Depth 2
                                        ;     Child Loop BB152_136 Depth 2
	v_lshl_add_u32 v2, v0, 3, 0
	v_dual_mov_b32 v4, s8 :: v_dual_mov_b32 v5, s9
	s_and_not1_b32 vcc_lo, exec_lo, s12
	s_mov_b64 s[0:1], 0
	ds_load_b64 v[2:3], v2
	s_cbranch_vccnz .LBB152_134
; %bb.131:                              ;   in Loop: Header=BB152_130 Depth=1
	v_dual_mov_b32 v4, s8 :: v_dual_mov_b32 v5, s9
	s_mov_b64 s[10:11], 0
	s_mov_b32 s1, 0
.LBB152_132:                            ;   Parent Loop BB152_130 Depth=1
                                        ; =>  This Inner Loop Header: Depth=2
	s_delay_alu instid0(SALU_CYCLE_1)
	v_mov_b32_e32 v18, s1
	s_add_u32 s10, s10, 8
	s_addc_u32 s11, s11, 0
	s_add_i32 s1, s1, 64
	s_cmp_eq_u64 s[2:3], s[10:11]
	ds_load_2addr_b64 v[6:9], v18 offset1:1
	ds_load_2addr_b64 v[10:13], v18 offset0:2 offset1:3
	ds_load_2addr_b64 v[14:17], v18 offset0:4 offset1:5
	;; [unrolled: 1-line block ×3, first 2 shown]
	s_waitcnt lgkmcnt(3)
	v_cmp_gt_i64_e32 vcc_lo, v[2:3], v[6:7]
	v_cndmask_b32_e64 v6, 0, 1, vcc_lo
	v_cmp_gt_i64_e32 vcc_lo, v[2:3], v[8:9]
	v_cndmask_b32_e64 v7, 0, 1, vcc_lo
	s_waitcnt lgkmcnt(2)
	v_cmp_gt_i64_e32 vcc_lo, v[2:3], v[10:11]
	v_cndmask_b32_e64 v8, 0, 1, vcc_lo
	v_cmp_gt_i64_e32 vcc_lo, v[2:3], v[12:13]
	v_cndmask_b32_e64 v9, 0, 1, vcc_lo
	s_waitcnt lgkmcnt(1)
	v_cmp_gt_i64_e32 vcc_lo, v[2:3], v[14:15]
	v_cndmask_b32_e64 v10, 0, 1, vcc_lo
	v_add_co_u32 v4, vcc_lo, v4, v6
	v_add_co_ci_u32_e32 v5, vcc_lo, 0, v5, vcc_lo
	v_cmp_gt_i64_e32 vcc_lo, v[2:3], v[16:17]
	s_delay_alu instid0(VALU_DEP_3) | instskip(NEXT) | instid1(VALU_DEP_1)
	v_add_co_u32 v4, s0, v4, v7
	v_add_co_ci_u32_e64 v5, s0, 0, v5, s0
	v_cndmask_b32_e64 v6, 0, 1, vcc_lo
	s_delay_alu instid0(VALU_DEP_3) | instskip(NEXT) | instid1(VALU_DEP_3)
	v_add_co_u32 v4, vcc_lo, v4, v8
	v_add_co_ci_u32_e32 v5, vcc_lo, 0, v5, vcc_lo
	s_waitcnt lgkmcnt(0)
	v_cmp_gt_i64_e32 vcc_lo, v[2:3], v[18:19]
	s_delay_alu instid0(VALU_DEP_3) | instskip(NEXT) | instid1(VALU_DEP_1)
	v_add_co_u32 v4, s0, v4, v9
	v_add_co_ci_u32_e64 v5, s0, 0, v5, s0
	v_cndmask_b32_e64 v7, 0, 1, vcc_lo
	s_delay_alu instid0(VALU_DEP_3) | instskip(NEXT) | instid1(VALU_DEP_3)
	v_add_co_u32 v4, vcc_lo, v4, v10
	v_add_co_ci_u32_e32 v5, vcc_lo, 0, v5, vcc_lo
	v_cmp_gt_i64_e32 vcc_lo, v[2:3], v[20:21]
	s_delay_alu instid0(VALU_DEP_3) | instskip(NEXT) | instid1(VALU_DEP_1)
	v_add_co_u32 v4, s0, v4, v6
	v_add_co_ci_u32_e64 v5, s0, 0, v5, s0
	v_cndmask_b32_e64 v6, 0, 1, vcc_lo
	s_delay_alu instid0(VALU_DEP_3) | instskip(NEXT) | instid1(VALU_DEP_3)
	v_add_co_u32 v4, vcc_lo, v4, v7
	v_add_co_ci_u32_e32 v5, vcc_lo, 0, v5, vcc_lo
	s_delay_alu instid0(VALU_DEP_2) | instskip(NEXT) | instid1(VALU_DEP_2)
	v_add_co_u32 v4, vcc_lo, v4, v6
	v_add_co_ci_u32_e32 v5, vcc_lo, 0, v5, vcc_lo
	s_cbranch_scc0 .LBB152_132
; %bb.133:                              ;   in Loop: Header=BB152_130 Depth=1
	s_mov_b64 s[0:1], s[2:3]
.LBB152_134:                            ;   in Loop: Header=BB152_130 Depth=1
	s_and_not1_b32 vcc_lo, exec_lo, s13
	s_cbranch_vccnz .LBB152_129
; %bb.135:                              ;   in Loop: Header=BB152_130 Depth=1
	s_lshl_b32 s0, s0, 3
	s_delay_alu instid0(SALU_CYCLE_1)
	s_add_i32 s10, s0, 0
	s_mov_b64 s[0:1], s[6:7]
.LBB152_136:                            ;   Parent Loop BB152_130 Depth=1
                                        ; =>  This Inner Loop Header: Depth=2
	v_mov_b32_e32 v6, s10
	s_add_i32 s10, s10, 8
	s_add_u32 s0, s0, -1
	s_addc_u32 s1, s1, -1
	s_delay_alu instid0(SALU_CYCLE_1) | instskip(SKIP_4) | instid1(VALU_DEP_1)
	s_cmp_lg_u64 s[0:1], 0
	ds_load_b64 v[6:7], v6
	s_waitcnt lgkmcnt(0)
	v_cmp_gt_i64_e32 vcc_lo, v[2:3], v[6:7]
	v_cndmask_b32_e64 v6, 0, 1, vcc_lo
	v_add_co_u32 v4, vcc_lo, v4, v6
	v_add_co_ci_u32_e32 v5, vcc_lo, 0, v5, vcc_lo
	s_cbranch_scc1 .LBB152_136
	s_branch .LBB152_129
.LBB152_137:
	s_nop 0
	s_sendmsg sendmsg(MSG_DEALLOC_VGPRS)
	s_endpgm
	.section	.rodata,"a",@progbits
	.p2align	6, 0x0
	.amdhsa_kernel _ZN9rocsparseL41csrgemm_numeric_fill_block_per_row_kernelILj1024ELj64ELj8192ELj137ELj32Ell21rocsparse_complex_numIdEEEvT5_PKS3_S5_NS_24const_host_device_scalarIT6_EEPKT4_S5_PKS7_SB_S5_SD_S8_SB_S5_SD_SB_S5_PS7_21rocsparse_index_base_SF_SF_SF_bbb
		.amdhsa_group_segment_fixed_size 0
		.amdhsa_private_segment_fixed_size 40
		.amdhsa_kernarg_size 172
		.amdhsa_user_sgpr_count 15
		.amdhsa_user_sgpr_dispatch_ptr 0
		.amdhsa_user_sgpr_queue_ptr 0
		.amdhsa_user_sgpr_kernarg_segment_ptr 1
		.amdhsa_user_sgpr_dispatch_id 0
		.amdhsa_user_sgpr_private_segment_size 0
		.amdhsa_wavefront_size32 1
		.amdhsa_uses_dynamic_stack 0
		.amdhsa_enable_private_segment 1
		.amdhsa_system_sgpr_workgroup_id_x 1
		.amdhsa_system_sgpr_workgroup_id_y 0
		.amdhsa_system_sgpr_workgroup_id_z 0
		.amdhsa_system_sgpr_workgroup_info 0
		.amdhsa_system_vgpr_workitem_id 0
		.amdhsa_next_free_vgpr 34
		.amdhsa_next_free_sgpr 76
		.amdhsa_reserve_vcc 1
		.amdhsa_float_round_mode_32 0
		.amdhsa_float_round_mode_16_64 0
		.amdhsa_float_denorm_mode_32 3
		.amdhsa_float_denorm_mode_16_64 3
		.amdhsa_dx10_clamp 1
		.amdhsa_ieee_mode 1
		.amdhsa_fp16_overflow 0
		.amdhsa_workgroup_processor_mode 1
		.amdhsa_memory_ordered 1
		.amdhsa_forward_progress 0
		.amdhsa_shared_vgpr_count 0
		.amdhsa_exception_fp_ieee_invalid_op 0
		.amdhsa_exception_fp_denorm_src 0
		.amdhsa_exception_fp_ieee_div_zero 0
		.amdhsa_exception_fp_ieee_overflow 0
		.amdhsa_exception_fp_ieee_underflow 0
		.amdhsa_exception_fp_ieee_inexact 0
		.amdhsa_exception_int_div_zero 0
	.end_amdhsa_kernel
	.section	.text._ZN9rocsparseL41csrgemm_numeric_fill_block_per_row_kernelILj1024ELj64ELj8192ELj137ELj32Ell21rocsparse_complex_numIdEEEvT5_PKS3_S5_NS_24const_host_device_scalarIT6_EEPKT4_S5_PKS7_SB_S5_SD_S8_SB_S5_SD_SB_S5_PS7_21rocsparse_index_base_SF_SF_SF_bbb,"axG",@progbits,_ZN9rocsparseL41csrgemm_numeric_fill_block_per_row_kernelILj1024ELj64ELj8192ELj137ELj32Ell21rocsparse_complex_numIdEEEvT5_PKS3_S5_NS_24const_host_device_scalarIT6_EEPKT4_S5_PKS7_SB_S5_SD_S8_SB_S5_SD_SB_S5_PS7_21rocsparse_index_base_SF_SF_SF_bbb,comdat
.Lfunc_end152:
	.size	_ZN9rocsparseL41csrgemm_numeric_fill_block_per_row_kernelILj1024ELj64ELj8192ELj137ELj32Ell21rocsparse_complex_numIdEEEvT5_PKS3_S5_NS_24const_host_device_scalarIT6_EEPKT4_S5_PKS7_SB_S5_SD_S8_SB_S5_SD_SB_S5_PS7_21rocsparse_index_base_SF_SF_SF_bbb, .Lfunc_end152-_ZN9rocsparseL41csrgemm_numeric_fill_block_per_row_kernelILj1024ELj64ELj8192ELj137ELj32Ell21rocsparse_complex_numIdEEEvT5_PKS3_S5_NS_24const_host_device_scalarIT6_EEPKT4_S5_PKS7_SB_S5_SD_S8_SB_S5_SD_SB_S5_PS7_21rocsparse_index_base_SF_SF_SF_bbb
                                        ; -- End function
	.section	.AMDGPU.csdata,"",@progbits
; Kernel info:
; codeLenInByte = 5816
; NumSgprs: 78
; NumVgprs: 34
; ScratchSize: 40
; MemoryBound: 0
; FloatMode: 240
; IeeeMode: 1
; LDSByteSize: 0 bytes/workgroup (compile time only)
; SGPRBlocks: 9
; VGPRBlocks: 4
; NumSGPRsForWavesPerEU: 78
; NumVGPRsForWavesPerEU: 34
; Occupancy: 16
; WaveLimiterHint : 1
; COMPUTE_PGM_RSRC2:SCRATCH_EN: 1
; COMPUTE_PGM_RSRC2:USER_SGPR: 15
; COMPUTE_PGM_RSRC2:TRAP_HANDLER: 0
; COMPUTE_PGM_RSRC2:TGID_X_EN: 1
; COMPUTE_PGM_RSRC2:TGID_Y_EN: 0
; COMPUTE_PGM_RSRC2:TGID_Z_EN: 0
; COMPUTE_PGM_RSRC2:TIDIG_COMP_CNT: 0
	.section	.text._ZN9rocsparseL41csrgemm_numeric_fill_block_per_row_kernelILj1024ELj64ELj8192ELj137ELj64Ell21rocsparse_complex_numIdEEEvT5_PKS3_S5_NS_24const_host_device_scalarIT6_EEPKT4_S5_PKS7_SB_S5_SD_S8_SB_S5_SD_SB_S5_PS7_21rocsparse_index_base_SF_SF_SF_bbb,"axG",@progbits,_ZN9rocsparseL41csrgemm_numeric_fill_block_per_row_kernelILj1024ELj64ELj8192ELj137ELj64Ell21rocsparse_complex_numIdEEEvT5_PKS3_S5_NS_24const_host_device_scalarIT6_EEPKT4_S5_PKS7_SB_S5_SD_S8_SB_S5_SD_SB_S5_PS7_21rocsparse_index_base_SF_SF_SF_bbb,comdat
	.globl	_ZN9rocsparseL41csrgemm_numeric_fill_block_per_row_kernelILj1024ELj64ELj8192ELj137ELj64Ell21rocsparse_complex_numIdEEEvT5_PKS3_S5_NS_24const_host_device_scalarIT6_EEPKT4_S5_PKS7_SB_S5_SD_S8_SB_S5_SD_SB_S5_PS7_21rocsparse_index_base_SF_SF_SF_bbb ; -- Begin function _ZN9rocsparseL41csrgemm_numeric_fill_block_per_row_kernelILj1024ELj64ELj8192ELj137ELj64Ell21rocsparse_complex_numIdEEEvT5_PKS3_S5_NS_24const_host_device_scalarIT6_EEPKT4_S5_PKS7_SB_S5_SD_S8_SB_S5_SD_SB_S5_PS7_21rocsparse_index_base_SF_SF_SF_bbb
	.p2align	8
	.type	_ZN9rocsparseL41csrgemm_numeric_fill_block_per_row_kernelILj1024ELj64ELj8192ELj137ELj64Ell21rocsparse_complex_numIdEEEvT5_PKS3_S5_NS_24const_host_device_scalarIT6_EEPKT4_S5_PKS7_SB_S5_SD_S8_SB_S5_SD_SB_S5_PS7_21rocsparse_index_base_SF_SF_SF_bbb,@function
_ZN9rocsparseL41csrgemm_numeric_fill_block_per_row_kernelILj1024ELj64ELj8192ELj137ELj64Ell21rocsparse_complex_numIdEEEvT5_PKS3_S5_NS_24const_host_device_scalarIT6_EEPKT4_S5_PKS7_SB_S5_SD_S8_SB_S5_SD_SB_S5_PS7_21rocsparse_index_base_SF_SF_SF_bbb: ; @_ZN9rocsparseL41csrgemm_numeric_fill_block_per_row_kernelILj1024ELj64ELj8192ELj137ELj64Ell21rocsparse_complex_numIdEEEvT5_PKS3_S5_NS_24const_host_device_scalarIT6_EEPKT4_S5_PKS7_SB_S5_SD_S8_SB_S5_SD_SB_S5_PS7_21rocsparse_index_base_SF_SF_SF_bbb
; %bb.0:
	s_mov_b32 s22, s15
	s_clause 0x3
	s_load_b32 s21, s[0:1], 0xa8
	s_load_b256 s[4:11], s[0:1], 0x8
	s_load_b128 s[12:15], s[0:1], 0x58
	s_load_b128 s[16:19], s[0:1], 0x98
	v_mov_b32_e32 v1, 0
	v_mov_b32_e32 v2, 0
	s_waitcnt lgkmcnt(0)
	s_bitcmp1_b32 s21, 0
	v_mov_b32_e32 v3, s8
	s_cselect_b32 s3, -1, 0
	s_bitcmp1_b32 s21, 16
	v_dual_mov_b32 v6, v2 :: v_dual_mov_b32 v5, v1
	s_cselect_b32 s2, -1, 0
	v_mov_b32_e32 v4, s9
	s_xor_b32 s20, s2, -1
	v_dual_mov_b32 v9, s12 :: v_dual_mov_b32 v10, s13
	v_cndmask_b32_e64 v7, 0, 1, s20
	s_bitcmp0_b32 s21, 0
	s_clause 0x1
	scratch_store_b64 off, v[3:4], off offset:16
	scratch_store_b64 off, v[9:10], off offset:24
	v_cmp_ne_u32_e32 vcc_lo, 1, v7
	v_dual_mov_b32 v8, v2 :: v_dual_mov_b32 v7, v1
	s_cbranch_scc1 .LBB153_3
; %bb.1:
	s_mov_b64 s[24:25], src_private_base
	s_and_b32 s23, s2, exec_lo
	s_cselect_b32 s23, s25, s9
	s_delay_alu instid0(SALU_CYCLE_1) | instskip(SKIP_2) | instid1(VALU_DEP_2)
	v_dual_mov_b32 v3, 16 :: v_dual_mov_b32 v4, s23
	v_dual_mov_b32 v7, s10 :: v_dual_mov_b32 v8, s11
	s_and_b32 vcc_lo, exec_lo, vcc_lo
	v_cndmask_b32_e64 v3, s8, v3, s2
	flat_load_b64 v[5:6], v[3:4]
	s_cbranch_vccnz .LBB153_3
; %bb.2:
	v_dual_mov_b32 v3, s8 :: v_dual_mov_b32 v4, s9
	flat_load_b64 v[7:8], v[3:4] offset:8
.LBB153_3:
	s_bitcmp1_b32 s21, 8
	v_dual_mov_b32 v4, v2 :: v_dual_mov_b32 v3, v1
	s_cselect_b32 s28, -1, 0
	s_bfe_u32 s8, s21, 0x10008
	s_delay_alu instid0(SALU_CYCLE_1)
	s_cmp_eq_u32 s8, 0
	s_cbranch_scc1 .LBB153_6
; %bb.4:
	s_mov_b64 s[8:9], src_private_base
	s_and_b32 s8, s2, exec_lo
	s_cselect_b32 s8, s9, s13
	s_delay_alu instid0(SALU_CYCLE_1) | instskip(SKIP_1) | instid1(VALU_DEP_1)
	v_dual_mov_b32 v1, 24 :: v_dual_mov_b32 v2, s8
	s_and_not1_b32 vcc_lo, exec_lo, s20
	v_cndmask_b32_e64 v1, s12, v1, s2
	flat_load_b64 v[3:4], v[1:2]
	v_dual_mov_b32 v1, s14 :: v_dual_mov_b32 v2, s15
	s_cbranch_vccnz .LBB153_6
; %bb.5:
	v_dual_mov_b32 v1, s12 :: v_dual_mov_b32 v2, s13
	flat_load_b64 v[1:2], v[1:2] offset:8
.LBB153_6:
	s_load_b64 s[20:21], s[0:1], 0x0
	v_lshl_add_u32 v25, v0, 4, 0
	s_mov_b32 s8, 0
	v_lshl_add_u32 v27, v0, 3, 0
	s_mov_b32 s9, s8
	s_mov_b32 s11, s8
	v_dual_mov_b32 v10, s9 :: v_dual_add_nc_u32 v13, 0x10000, v25
	s_mov_b32 s10, s8
	v_dual_mov_b32 v9, s8 :: v_dual_mov_b32 v12, s11
	s_delay_alu instid0(VALU_DEP_2)
	v_dual_mov_b32 v11, s10 :: v_dual_add_nc_u32 v14, 0x4000, v13
	v_add_nc_u32_e32 v28, 0x8000, v13
	v_add_nc_u32_e32 v26, 0x20000, v25
	;; [unrolled: 1-line block ×3, first 2 shown]
	ds_store_2addr_b64 v13, v[9:10], v[11:12] offset1:1
	ds_store_2addr_b64 v14, v[9:10], v[11:12] offset1:1
	s_mov_b32 s23, s8
	s_waitcnt lgkmcnt(0)
	v_mov_b32_e32 v15, s20
	v_dual_mov_b32 v13, s20 :: v_dual_mov_b32 v14, s21
	v_dual_mov_b32 v16, s21 :: v_dual_mov_b32 v17, s20
	;; [unrolled: 1-line block ×3, first 2 shown]
	v_mov_b32_e32 v20, s21
	v_mov_b32_e32 v22, s21
	v_dual_mov_b32 v24, s21 :: v_dual_mov_b32 v21, s20
	v_mov_b32_e32 v23, s20
	ds_store_2addr_b64 v28, v[9:10], v[11:12] offset1:1
	ds_store_2addr_b64 v29, v[9:10], v[11:12] offset1:1
	ds_store_2addr_stride64_b64 v27, v[13:14], v[15:16] offset1:16
	ds_store_2addr_stride64_b64 v27, v[17:18], v[19:20] offset0:32 offset1:48
	ds_store_2addr_stride64_b64 v27, v[21:22], v[23:24] offset0:64 offset1:80
	v_add_nc_u32_e32 v17, 0x24000, v25
	v_add_nc_u32_e32 v18, 0x28000, v25
	;; [unrolled: 1-line block ×3, first 2 shown]
	ds_store_2addr_b64 v26, v[9:10], v[11:12] offset1:1
	ds_store_2addr_b64 v17, v[9:10], v[11:12] offset1:1
	ds_store_2addr_stride64_b64 v27, v[13:14], v[15:16] offset0:96 offset1:112
	ds_store_2addr_b64 v18, v[9:10], v[11:12] offset1:1
	ds_store_2addr_b64 v19, v[9:10], v[11:12] offset1:1
	s_waitcnt vmcnt(0) lgkmcnt(0)
	s_waitcnt_vscnt null, 0x0
	s_barrier
	buffer_gl0_inv
	s_load_b64 s[4:5], s[4:5], 0x0
	v_lshrrev_b32_e32 v28, 6, v0
	s_waitcnt lgkmcnt(0)
	s_lshl_b64 s[4:5], s[4:5], 3
	s_delay_alu instid0(SALU_CYCLE_1) | instskip(SKIP_2) | instid1(SALU_CYCLE_1)
	s_add_u32 s2, s6, s4
	s_addc_u32 s6, s7, s5
	s_lshl_b64 s[4:5], s[22:23], 3
	s_add_u32 s4, s2, s4
	s_addc_u32 s5, s6, s5
	s_and_not1_b32 vcc_lo, exec_lo, s3
	s_load_b64 s[22:23], s[4:5], 0x0
	s_cbranch_vccnz .LBB153_34
; %bb.7:
	s_load_b64 s[2:3], s[0:1], 0x28
	s_waitcnt lgkmcnt(0)
	s_lshl_b64 s[4:5], s[22:23], 3
	s_mov_b32 s14, exec_lo
	s_add_u32 s2, s2, s4
	s_addc_u32 s3, s3, s5
	s_load_b128 s[4:7], s[2:3], 0x0
	v_sub_co_u32 v9, s2, v28, s16
	s_delay_alu instid0(VALU_DEP_1) | instskip(SKIP_1) | instid1(VALU_DEP_2)
	v_sub_co_ci_u32_e64 v10, null, 0, 0, s2
	s_waitcnt lgkmcnt(0)
	v_add_co_u32 v9, vcc_lo, s4, v9
	s_delay_alu instid0(VALU_DEP_2)
	v_add_co_ci_u32_e32 v10, vcc_lo, s5, v10, vcc_lo
	s_sub_u32 s2, s6, s16
	s_subb_u32 s3, s7, 0
	s_delay_alu instid0(VALU_DEP_1) | instid1(SALU_CYCLE_1)
	v_cmpx_gt_i64_e64 s[2:3], v[9:10]
	s_cbranch_execz .LBB153_33
; %bb.8:
	s_clause 0x1
	s_load_b64 s[12:13], s[0:1], 0x50
	s_load_b256 s[4:11], s[0:1], 0x30
	v_and_b32_e32 v11, 63, v0
	s_delay_alu instid0(VALU_DEP_1) | instskip(NEXT) | instid1(VALU_DEP_1)
	v_sub_co_u32 v29, s15, v11, s17
	v_sub_co_ci_u32_e64 v30, null, 0, 0, s15
	s_mov_b32 s15, 0
	s_branch .LBB153_10
.LBB153_9:                              ;   in Loop: Header=BB153_10 Depth=1
	s_or_b32 exec_lo, exec_lo, s24
	v_add_co_u32 v9, vcc_lo, v9, 16
	v_add_co_ci_u32_e32 v10, vcc_lo, 0, v10, vcc_lo
	s_delay_alu instid0(VALU_DEP_1) | instskip(SKIP_1) | instid1(SALU_CYCLE_1)
	v_cmp_le_i64_e32 vcc_lo, s[2:3], v[9:10]
	s_or_b32 s15, vcc_lo, s15
	s_and_not1_b32 exec_lo, exec_lo, s15
	s_cbranch_execz .LBB153_33
.LBB153_10:                             ; =>This Loop Header: Depth=1
                                        ;     Child Loop BB153_13 Depth 2
                                        ;       Child Loop BB153_15 Depth 3
                                        ;         Child Loop BB153_21 Depth 4
                                        ;         Child Loop BB153_23 Depth 4
	;; [unrolled: 1-line block ×4, first 2 shown]
	v_lshlrev_b64 v[11:12], 3, v[9:10]
	s_mov_b32 s24, exec_lo
	s_waitcnt lgkmcnt(0)
	s_delay_alu instid0(VALU_DEP_1) | instskip(NEXT) | instid1(VALU_DEP_2)
	v_add_co_u32 v11, vcc_lo, s4, v11
	v_add_co_ci_u32_e32 v12, vcc_lo, s5, v12, vcc_lo
	global_load_b64 v[11:12], v[11:12], off
	s_waitcnt vmcnt(0)
	v_sub_co_u32 v11, vcc_lo, v11, s16
	v_subrev_co_ci_u32_e32 v12, vcc_lo, 0, v12, vcc_lo
	s_delay_alu instid0(VALU_DEP_1) | instskip(NEXT) | instid1(VALU_DEP_1)
	v_lshlrev_b64 v[11:12], 3, v[11:12]
	v_add_co_u32 v11, vcc_lo, s8, v11
	s_delay_alu instid0(VALU_DEP_2)
	v_add_co_ci_u32_e32 v12, vcc_lo, s9, v12, vcc_lo
	global_load_b128 v[13:16], v[11:12], off
	s_waitcnt vmcnt(0)
	v_sub_co_u32 v11, vcc_lo, v15, s17
	v_subrev_co_ci_u32_e32 v12, vcc_lo, 0, v16, vcc_lo
	v_add_co_u32 v13, vcc_lo, v13, v29
	v_add_co_ci_u32_e32 v14, vcc_lo, v14, v30, vcc_lo
	s_delay_alu instid0(VALU_DEP_1)
	v_cmpx_lt_i64_e64 v[13:14], v[11:12]
	s_cbranch_execz .LBB153_9
; %bb.11:                               ;   in Loop: Header=BB153_10 Depth=1
	v_lshlrev_b64 v[15:16], 4, v[9:10]
	s_mov_b32 s25, 0
	s_delay_alu instid0(VALU_DEP_1) | instskip(NEXT) | instid1(VALU_DEP_2)
	v_add_co_u32 v15, vcc_lo, s6, v15
	v_add_co_ci_u32_e32 v16, vcc_lo, s7, v16, vcc_lo
	global_load_b128 v[17:20], v[15:16], off
	s_waitcnt vmcnt(0)
	v_mul_f64 v[15:16], v[19:20], -v[7:8]
	v_mul_f64 v[19:20], v[5:6], v[19:20]
	s_delay_alu instid0(VALU_DEP_2) | instskip(NEXT) | instid1(VALU_DEP_2)
	v_fma_f64 v[15:16], v[5:6], v[17:18], v[15:16]
	v_fma_f64 v[17:18], v[7:8], v[17:18], v[19:20]
	s_branch .LBB153_13
.LBB153_12:                             ;   in Loop: Header=BB153_13 Depth=2
	s_or_b32 exec_lo, exec_lo, s26
	v_add_co_u32 v13, vcc_lo, v13, 64
	v_add_co_ci_u32_e32 v14, vcc_lo, 0, v14, vcc_lo
	s_delay_alu instid0(VALU_DEP_1) | instskip(SKIP_1) | instid1(SALU_CYCLE_1)
	v_cmp_ge_i64_e32 vcc_lo, v[13:14], v[11:12]
	s_or_b32 s25, vcc_lo, s25
	s_and_not1_b32 exec_lo, exec_lo, s25
	s_cbranch_execz .LBB153_9
.LBB153_13:                             ;   Parent Loop BB153_10 Depth=1
                                        ; =>  This Loop Header: Depth=2
                                        ;       Child Loop BB153_15 Depth 3
                                        ;         Child Loop BB153_21 Depth 4
                                        ;         Child Loop BB153_23 Depth 4
	;; [unrolled: 1-line block ×4, first 2 shown]
	v_lshlrev_b64 v[19:20], 4, v[13:14]
	s_mov_b32 s26, 0
	s_delay_alu instid0(VALU_DEP_1) | instskip(NEXT) | instid1(VALU_DEP_2)
	v_add_co_u32 v19, vcc_lo, s12, v19
	v_add_co_ci_u32_e32 v20, vcc_lo, s13, v20, vcc_lo
	global_load_b128 v[21:24], v[19:20], off
	v_lshlrev_b64 v[19:20], 3, v[13:14]
	s_delay_alu instid0(VALU_DEP_1) | instskip(NEXT) | instid1(VALU_DEP_2)
	v_add_co_u32 v19, vcc_lo, s10, v19
	v_add_co_ci_u32_e32 v20, vcc_lo, s11, v20, vcc_lo
	global_load_b64 v[25:26], v[19:20], off
	s_waitcnt vmcnt(1)
	v_mul_f64 v[19:20], v[23:24], -v[17:18]
	v_mul_f64 v[23:24], v[15:16], v[23:24]
	s_delay_alu instid0(VALU_DEP_2) | instskip(NEXT) | instid1(VALU_DEP_2)
	v_fma_f64 v[19:20], v[15:16], v[21:22], v[19:20]
	v_fma_f64 v[21:22], v[17:18], v[21:22], v[23:24]
	s_waitcnt vmcnt(0)
	v_sub_co_u32 v23, vcc_lo, v25, s17
	v_subrev_co_ci_u32_e32 v24, vcc_lo, 0, v26, vcc_lo
	s_delay_alu instid0(VALU_DEP_2) | instskip(NEXT) | instid1(VALU_DEP_1)
	v_mul_lo_u32 v25, 0x89, v23
	v_and_b32_e32 v31, 0x1fff, v25
	s_branch .LBB153_15
.LBB153_14:                             ;   in Loop: Header=BB153_15 Depth=3
	s_or_b32 exec_lo, exec_lo, s27
	s_xor_b32 s27, s29, -1
	s_delay_alu instid0(SALU_CYCLE_1) | instskip(NEXT) | instid1(SALU_CYCLE_1)
	s_and_b32 s27, exec_lo, s27
	s_or_b32 s26, s27, s26
	s_delay_alu instid0(SALU_CYCLE_1)
	s_and_not1_b32 exec_lo, exec_lo, s26
	s_cbranch_execz .LBB153_12
.LBB153_15:                             ;   Parent Loop BB153_10 Depth=1
                                        ;     Parent Loop BB153_13 Depth=2
                                        ; =>    This Loop Header: Depth=3
                                        ;         Child Loop BB153_21 Depth 4
                                        ;         Child Loop BB153_23 Depth 4
	;; [unrolled: 1-line block ×4, first 2 shown]
	s_delay_alu instid0(VALU_DEP_1)
	v_lshl_add_u32 v32, v31, 3, 0
	s_mov_b32 s27, exec_lo
                                        ; implicit-def: $sgpr29
	ds_load_b64 v[25:26], v32
	s_waitcnt lgkmcnt(0)
	v_cmpx_ne_u64_e64 v[25:26], v[23:24]
	s_xor_b32 s27, exec_lo, s27
	s_cbranch_execz .LBB153_27
; %bb.16:                               ;   in Loop: Header=BB153_15 Depth=3
	s_mov_b32 s30, exec_lo
                                        ; implicit-def: $sgpr29
	v_cmpx_ne_u64_e64 s[20:21], v[25:26]
	s_xor_b32 s30, exec_lo, s30
; %bb.17:                               ;   in Loop: Header=BB153_15 Depth=3
	v_add_nc_u32_e32 v25, 1, v31
	s_mov_b32 s29, -1
                                        ; implicit-def: $vgpr32
	s_delay_alu instid0(VALU_DEP_1)
	v_and_b32_e32 v31, 0x1fff, v25
; %bb.18:                               ;   in Loop: Header=BB153_15 Depth=3
	s_and_not1_saveexec_b32 s30, s30
	s_cbranch_execz .LBB153_26
; %bb.19:                               ;   in Loop: Header=BB153_15 Depth=3
	v_dual_mov_b32 v26, s21 :: v_dual_mov_b32 v25, s20
	s_mov_b32 s33, -1
	s_mov_b32 s31, exec_lo
	ds_cmpstore_rtn_b64 v[25:26], v32, v[23:24], v[25:26]
	s_waitcnt lgkmcnt(0)
	v_cmpx_eq_u64_e64 s[20:21], v[25:26]
	s_cbranch_execz .LBB153_25
; %bb.20:                               ;   in Loop: Header=BB153_15 Depth=3
	v_lshlrev_b32_e32 v25, 4, v31
	s_mov_b32 s33, 0
	s_delay_alu instid0(VALU_DEP_1)
	v_add3_u32 v32, 0, v25, 0x10000
	ds_load_b64 v[25:26], v32
.LBB153_21:                             ;   Parent Loop BB153_10 Depth=1
                                        ;     Parent Loop BB153_13 Depth=2
                                        ;       Parent Loop BB153_15 Depth=3
                                        ; =>      This Inner Loop Header: Depth=4
	s_waitcnt lgkmcnt(0)
	v_add_f64 v[33:34], v[25:26], v[19:20]
	ds_cmpstore_rtn_b64 v[33:34], v32, v[33:34], v[25:26]
	s_waitcnt lgkmcnt(0)
	v_cmp_eq_u64_e32 vcc_lo, v[33:34], v[25:26]
	v_dual_mov_b32 v25, v33 :: v_dual_mov_b32 v26, v34
	s_or_b32 s33, vcc_lo, s33
	s_delay_alu instid0(SALU_CYCLE_1)
	s_and_not1_b32 exec_lo, exec_lo, s33
	s_cbranch_execnz .LBB153_21
; %bb.22:                               ;   in Loop: Header=BB153_15 Depth=3
	s_or_b32 exec_lo, exec_lo, s33
	ds_load_b64 v[25:26], v32 offset:8
	s_mov_b32 s33, 0
.LBB153_23:                             ;   Parent Loop BB153_10 Depth=1
                                        ;     Parent Loop BB153_13 Depth=2
                                        ;       Parent Loop BB153_15 Depth=3
                                        ; =>      This Inner Loop Header: Depth=4
	s_waitcnt lgkmcnt(0)
	v_add_f64 v[33:34], v[25:26], v[21:22]
	ds_cmpstore_rtn_b64 v[33:34], v32, v[33:34], v[25:26] offset:8
	s_waitcnt lgkmcnt(0)
	v_cmp_eq_u64_e32 vcc_lo, v[33:34], v[25:26]
	v_dual_mov_b32 v25, v33 :: v_dual_mov_b32 v26, v34
	s_or_b32 s33, vcc_lo, s33
	s_delay_alu instid0(SALU_CYCLE_1)
	s_and_not1_b32 exec_lo, exec_lo, s33
	s_cbranch_execnz .LBB153_23
; %bb.24:                               ;   in Loop: Header=BB153_15 Depth=3
	s_or_b32 exec_lo, exec_lo, s33
	s_delay_alu instid0(SALU_CYCLE_1)
	s_xor_b32 s33, exec_lo, -1
.LBB153_25:                             ;   in Loop: Header=BB153_15 Depth=3
	s_or_b32 exec_lo, exec_lo, s31
	s_delay_alu instid0(SALU_CYCLE_1) | instskip(SKIP_1) | instid1(SALU_CYCLE_1)
	s_and_not1_b32 s29, s29, exec_lo
	s_and_b32 s31, s33, exec_lo
	s_or_b32 s29, s29, s31
.LBB153_26:                             ;   in Loop: Header=BB153_15 Depth=3
	s_or_b32 exec_lo, exec_lo, s30
	s_delay_alu instid0(SALU_CYCLE_1)
	s_and_b32 s29, s29, exec_lo
.LBB153_27:                             ;   in Loop: Header=BB153_15 Depth=3
	s_and_not1_saveexec_b32 s27, s27
	s_cbranch_execz .LBB153_14
; %bb.28:                               ;   in Loop: Header=BB153_15 Depth=3
	v_lshlrev_b32_e32 v25, 4, v31
	s_mov_b32 s30, 0
	s_delay_alu instid0(VALU_DEP_1)
	v_add3_u32 v32, 0, v25, 0x10000
	ds_load_b64 v[25:26], v32
.LBB153_29:                             ;   Parent Loop BB153_10 Depth=1
                                        ;     Parent Loop BB153_13 Depth=2
                                        ;       Parent Loop BB153_15 Depth=3
                                        ; =>      This Inner Loop Header: Depth=4
	s_waitcnt lgkmcnt(0)
	v_add_f64 v[33:34], v[25:26], v[19:20]
	ds_cmpstore_rtn_b64 v[33:34], v32, v[33:34], v[25:26]
	s_waitcnt lgkmcnt(0)
	v_cmp_eq_u64_e32 vcc_lo, v[33:34], v[25:26]
	v_dual_mov_b32 v25, v33 :: v_dual_mov_b32 v26, v34
	s_or_b32 s30, vcc_lo, s30
	s_delay_alu instid0(SALU_CYCLE_1)
	s_and_not1_b32 exec_lo, exec_lo, s30
	s_cbranch_execnz .LBB153_29
; %bb.30:                               ;   in Loop: Header=BB153_15 Depth=3
	s_or_b32 exec_lo, exec_lo, s30
	ds_load_b64 v[25:26], v32 offset:8
	s_mov_b32 s30, 0
.LBB153_31:                             ;   Parent Loop BB153_10 Depth=1
                                        ;     Parent Loop BB153_13 Depth=2
                                        ;       Parent Loop BB153_15 Depth=3
                                        ; =>      This Inner Loop Header: Depth=4
	s_waitcnt lgkmcnt(0)
	v_add_f64 v[33:34], v[25:26], v[21:22]
	ds_cmpstore_rtn_b64 v[33:34], v32, v[33:34], v[25:26] offset:8
	s_waitcnt lgkmcnt(0)
	v_cmp_eq_u64_e32 vcc_lo, v[33:34], v[25:26]
	v_dual_mov_b32 v25, v33 :: v_dual_mov_b32 v26, v34
	s_or_b32 s30, vcc_lo, s30
	s_delay_alu instid0(SALU_CYCLE_1)
	s_and_not1_b32 exec_lo, exec_lo, s30
	s_cbranch_execnz .LBB153_31
; %bb.32:                               ;   in Loop: Header=BB153_15 Depth=3
	s_or_b32 exec_lo, exec_lo, s30
	s_delay_alu instid0(SALU_CYCLE_1)
	s_and_not1_b32 s29, s29, exec_lo
	s_branch .LBB153_14
.LBB153_33:
	s_or_b32 exec_lo, exec_lo, s14
.LBB153_34:
	s_clause 0x1
	s_load_b64 s[24:25], s[0:1], 0x90
	s_load_b64 s[26:27], s[0:1], 0x80
	s_and_not1_b32 vcc_lo, exec_lo, s28
	s_cbranch_vccnz .LBB153_59
; %bb.35:
	s_load_b64 s[2:3], s[0:1], 0x68
	s_waitcnt lgkmcnt(0)
	s_lshl_b64 s[4:5], s[22:23], 3
	s_delay_alu instid0(SALU_CYCLE_1) | instskip(SKIP_3) | instid1(VALU_DEP_1)
	s_add_u32 s2, s2, s4
	s_addc_u32 s3, s3, s5
	s_load_b128 s[4:7], s[2:3], 0x0
	v_sub_co_u32 v5, s2, v0, s19
	v_sub_co_ci_u32_e64 v6, null, 0, 0, s2
	s_waitcnt lgkmcnt(0)
	s_delay_alu instid0(VALU_DEP_2) | instskip(NEXT) | instid1(VALU_DEP_2)
	v_add_co_u32 v5, vcc_lo, s4, v5
	v_add_co_ci_u32_e32 v6, vcc_lo, s5, v6, vcc_lo
	s_sub_u32 s4, s6, s19
	s_subb_u32 s5, s7, 0
	s_mov_b32 s6, 0
	s_mov_b32 s7, exec_lo
	v_cmpx_gt_i64_e64 s[4:5], v[5:6]
	s_cbranch_execz .LBB153_58
; %bb.36:
	s_load_b128 s[0:3], s[0:1], 0x70
	s_mov_b32 s8, s19
	s_branch .LBB153_38
.LBB153_37:                             ;   in Loop: Header=BB153_38 Depth=1
	s_or_b32 exec_lo, exec_lo, s9
	v_add_co_u32 v5, vcc_lo, 0x400, v5
	v_add_co_ci_u32_e32 v6, vcc_lo, 0, v6, vcc_lo
	s_delay_alu instid0(VALU_DEP_1) | instskip(SKIP_1) | instid1(SALU_CYCLE_1)
	v_cmp_le_i64_e32 vcc_lo, s[4:5], v[5:6]
	s_or_b32 s6, vcc_lo, s6
	s_and_not1_b32 exec_lo, exec_lo, s6
	s_cbranch_execz .LBB153_58
.LBB153_38:                             ; =>This Loop Header: Depth=1
                                        ;     Child Loop BB153_40 Depth 2
                                        ;       Child Loop BB153_46 Depth 3
                                        ;       Child Loop BB153_48 Depth 3
	;; [unrolled: 1-line block ×4, first 2 shown]
	v_lshlrev_b64 v[7:8], 4, v[5:6]
	s_mov_b32 s9, 0
	s_waitcnt lgkmcnt(0)
	s_delay_alu instid0(VALU_DEP_1) | instskip(NEXT) | instid1(VALU_DEP_2)
	v_add_co_u32 v7, vcc_lo, s2, v7
	v_add_co_ci_u32_e32 v8, vcc_lo, s3, v8, vcc_lo
	global_load_b128 v[9:12], v[7:8], off
	v_lshlrev_b64 v[7:8], 3, v[5:6]
	s_delay_alu instid0(VALU_DEP_1) | instskip(NEXT) | instid1(VALU_DEP_2)
	v_add_co_u32 v7, vcc_lo, s0, v7
	v_add_co_ci_u32_e32 v8, vcc_lo, s1, v8, vcc_lo
	global_load_b64 v[13:14], v[7:8], off
	s_waitcnt vmcnt(1)
	v_mul_f64 v[7:8], v[11:12], -v[1:2]
	v_mul_f64 v[11:12], v[3:4], v[11:12]
	s_delay_alu instid0(VALU_DEP_2) | instskip(NEXT) | instid1(VALU_DEP_2)
	v_fma_f64 v[7:8], v[3:4], v[9:10], v[7:8]
	v_fma_f64 v[9:10], v[1:2], v[9:10], v[11:12]
	s_waitcnt vmcnt(0)
	v_sub_co_u32 v11, vcc_lo, v13, s8
	v_subrev_co_ci_u32_e32 v12, vcc_lo, 0, v14, vcc_lo
	s_delay_alu instid0(VALU_DEP_2) | instskip(NEXT) | instid1(VALU_DEP_1)
	v_mul_lo_u32 v13, 0x89, v11
	v_and_b32_e32 v15, 0x1fff, v13
	s_branch .LBB153_40
.LBB153_39:                             ;   in Loop: Header=BB153_40 Depth=2
	s_or_b32 exec_lo, exec_lo, s10
	s_xor_b32 s10, s11, -1
	s_delay_alu instid0(SALU_CYCLE_1) | instskip(NEXT) | instid1(SALU_CYCLE_1)
	s_and_b32 s10, exec_lo, s10
	s_or_b32 s9, s10, s9
	s_delay_alu instid0(SALU_CYCLE_1)
	s_and_not1_b32 exec_lo, exec_lo, s9
	s_cbranch_execz .LBB153_37
.LBB153_40:                             ;   Parent Loop BB153_38 Depth=1
                                        ; =>  This Loop Header: Depth=2
                                        ;       Child Loop BB153_46 Depth 3
                                        ;       Child Loop BB153_48 Depth 3
	;; [unrolled: 1-line block ×4, first 2 shown]
	s_delay_alu instid0(VALU_DEP_1)
	v_lshl_add_u32 v16, v15, 3, 0
	s_mov_b32 s10, exec_lo
                                        ; implicit-def: $sgpr11
	ds_load_b64 v[13:14], v16
	s_waitcnt lgkmcnt(0)
	v_cmpx_ne_u64_e64 v[13:14], v[11:12]
	s_xor_b32 s10, exec_lo, s10
	s_cbranch_execz .LBB153_52
; %bb.41:                               ;   in Loop: Header=BB153_40 Depth=2
	s_mov_b32 s12, exec_lo
                                        ; implicit-def: $sgpr11
	v_cmpx_ne_u64_e64 s[20:21], v[13:14]
	s_xor_b32 s12, exec_lo, s12
; %bb.42:                               ;   in Loop: Header=BB153_40 Depth=2
	v_add_nc_u32_e32 v13, 1, v15
	s_mov_b32 s11, -1
                                        ; implicit-def: $vgpr16
	s_delay_alu instid0(VALU_DEP_1)
	v_and_b32_e32 v15, 0x1fff, v13
; %bb.43:                               ;   in Loop: Header=BB153_40 Depth=2
	s_and_not1_saveexec_b32 s12, s12
	s_cbranch_execz .LBB153_51
; %bb.44:                               ;   in Loop: Header=BB153_40 Depth=2
	v_dual_mov_b32 v13, s20 :: v_dual_mov_b32 v14, s21
	s_mov_b32 s14, -1
	s_mov_b32 s13, exec_lo
	ds_cmpstore_rtn_b64 v[13:14], v16, v[11:12], v[13:14]
	s_waitcnt lgkmcnt(0)
	v_cmpx_eq_u64_e64 s[20:21], v[13:14]
	s_cbranch_execz .LBB153_50
; %bb.45:                               ;   in Loop: Header=BB153_40 Depth=2
	v_lshlrev_b32_e32 v13, 4, v15
	s_mov_b32 s14, 0
	s_delay_alu instid0(VALU_DEP_1)
	v_add3_u32 v16, 0, v13, 0x10000
	ds_load_b64 v[13:14], v16
.LBB153_46:                             ;   Parent Loop BB153_38 Depth=1
                                        ;     Parent Loop BB153_40 Depth=2
                                        ; =>    This Inner Loop Header: Depth=3
	s_waitcnt lgkmcnt(0)
	v_add_f64 v[17:18], v[13:14], v[7:8]
	ds_cmpstore_rtn_b64 v[17:18], v16, v[17:18], v[13:14]
	s_waitcnt lgkmcnt(0)
	v_cmp_eq_u64_e32 vcc_lo, v[17:18], v[13:14]
	v_dual_mov_b32 v13, v17 :: v_dual_mov_b32 v14, v18
	s_or_b32 s14, vcc_lo, s14
	s_delay_alu instid0(SALU_CYCLE_1)
	s_and_not1_b32 exec_lo, exec_lo, s14
	s_cbranch_execnz .LBB153_46
; %bb.47:                               ;   in Loop: Header=BB153_40 Depth=2
	s_or_b32 exec_lo, exec_lo, s14
	ds_load_b64 v[13:14], v16 offset:8
	s_mov_b32 s14, 0
.LBB153_48:                             ;   Parent Loop BB153_38 Depth=1
                                        ;     Parent Loop BB153_40 Depth=2
                                        ; =>    This Inner Loop Header: Depth=3
	s_waitcnt lgkmcnt(0)
	v_add_f64 v[17:18], v[13:14], v[9:10]
	ds_cmpstore_rtn_b64 v[17:18], v16, v[17:18], v[13:14] offset:8
	s_waitcnt lgkmcnt(0)
	v_cmp_eq_u64_e32 vcc_lo, v[17:18], v[13:14]
	v_dual_mov_b32 v13, v17 :: v_dual_mov_b32 v14, v18
	s_or_b32 s14, vcc_lo, s14
	s_delay_alu instid0(SALU_CYCLE_1)
	s_and_not1_b32 exec_lo, exec_lo, s14
	s_cbranch_execnz .LBB153_48
; %bb.49:                               ;   in Loop: Header=BB153_40 Depth=2
	s_or_b32 exec_lo, exec_lo, s14
	s_delay_alu instid0(SALU_CYCLE_1)
	s_xor_b32 s14, exec_lo, -1
.LBB153_50:                             ;   in Loop: Header=BB153_40 Depth=2
	s_or_b32 exec_lo, exec_lo, s13
	s_delay_alu instid0(SALU_CYCLE_1) | instskip(SKIP_1) | instid1(SALU_CYCLE_1)
	s_and_not1_b32 s11, s11, exec_lo
	s_and_b32 s13, s14, exec_lo
	s_or_b32 s11, s11, s13
.LBB153_51:                             ;   in Loop: Header=BB153_40 Depth=2
	s_or_b32 exec_lo, exec_lo, s12
	s_delay_alu instid0(SALU_CYCLE_1)
	s_and_b32 s11, s11, exec_lo
.LBB153_52:                             ;   in Loop: Header=BB153_40 Depth=2
	s_and_not1_saveexec_b32 s10, s10
	s_cbranch_execz .LBB153_39
; %bb.53:                               ;   in Loop: Header=BB153_40 Depth=2
	v_lshlrev_b32_e32 v13, 4, v15
	s_mov_b32 s12, 0
	s_delay_alu instid0(VALU_DEP_1)
	v_add3_u32 v16, 0, v13, 0x10000
	ds_load_b64 v[13:14], v16
.LBB153_54:                             ;   Parent Loop BB153_38 Depth=1
                                        ;     Parent Loop BB153_40 Depth=2
                                        ; =>    This Inner Loop Header: Depth=3
	s_waitcnt lgkmcnt(0)
	v_add_f64 v[17:18], v[13:14], v[7:8]
	ds_cmpstore_rtn_b64 v[17:18], v16, v[17:18], v[13:14]
	s_waitcnt lgkmcnt(0)
	v_cmp_eq_u64_e32 vcc_lo, v[17:18], v[13:14]
	v_dual_mov_b32 v13, v17 :: v_dual_mov_b32 v14, v18
	s_or_b32 s12, vcc_lo, s12
	s_delay_alu instid0(SALU_CYCLE_1)
	s_and_not1_b32 exec_lo, exec_lo, s12
	s_cbranch_execnz .LBB153_54
; %bb.55:                               ;   in Loop: Header=BB153_40 Depth=2
	s_or_b32 exec_lo, exec_lo, s12
	ds_load_b64 v[13:14], v16 offset:8
	s_mov_b32 s12, 0
.LBB153_56:                             ;   Parent Loop BB153_38 Depth=1
                                        ;     Parent Loop BB153_40 Depth=2
                                        ; =>    This Inner Loop Header: Depth=3
	s_waitcnt lgkmcnt(0)
	v_add_f64 v[17:18], v[13:14], v[9:10]
	ds_cmpstore_rtn_b64 v[17:18], v16, v[17:18], v[13:14] offset:8
	s_waitcnt lgkmcnt(0)
	v_cmp_eq_u64_e32 vcc_lo, v[17:18], v[13:14]
	v_dual_mov_b32 v13, v17 :: v_dual_mov_b32 v14, v18
	s_or_b32 s12, vcc_lo, s12
	s_delay_alu instid0(SALU_CYCLE_1)
	s_and_not1_b32 exec_lo, exec_lo, s12
	s_cbranch_execnz .LBB153_56
; %bb.57:                               ;   in Loop: Header=BB153_40 Depth=2
	s_or_b32 exec_lo, exec_lo, s12
	s_delay_alu instid0(SALU_CYCLE_1)
	s_and_not1_b32 s11, s11, exec_lo
	s_branch .LBB153_39
.LBB153_58:
	s_or_b32 exec_lo, exec_lo, s7
.LBB153_59:
	v_mbcnt_lo_u32_b32 v1, -1, 0
	v_dual_mov_b32 v5, 0 :: v_dual_lshlrev_b32 v2, 3, v28
	s_add_i32 s39, 0, 0x30078
	v_cmp_eq_u32_e32 vcc_lo, 0x3ff, v0
	s_delay_alu instid0(VALU_DEP_3) | instskip(NEXT) | instid1(VALU_DEP_3)
	v_xor_b32_e32 v1, 63, v1
	v_add3_u32 v10, 0, 0x30000, v2
	v_cmp_lt_u32_e64 s0, 63, v0
	v_cmp_lt_u32_e64 s1, 0x7f, v0
	;; [unrolled: 1-line block ×3, first 2 shown]
	v_lshrrev_b64 v[1:2], v1, -1
	v_dual_mov_b32 v13, s39 :: v_dual_lshlrev_b32 v2, 4, v0
	v_cmp_lt_u32_e64 s3, 0xff, v0
	v_cmp_lt_u32_e64 s4, 0x13f, v0
	;; [unrolled: 1-line block ×3, first 2 shown]
	s_delay_alu instid0(VALU_DEP_4)
	v_add3_u32 v12, v2, 0, 0x10000
	v_mov_b32_e32 v2, 0
	v_cmp_lt_u32_e64 s6, 0x1bf, v0
	v_cmp_lt_u32_e64 s7, 0x1ff, v0
	;; [unrolled: 1-line block ×9, first 2 shown]
	v_or_b32_e32 v11, 0xfffffc00, v0
	v_mov_b32_e32 v3, 0
	s_mov_b32 s17, 0
	s_add_i32 s19, 0, 0x30000
	s_add_i32 s28, 0, 0x30008
	;; [unrolled: 1-line block ×15, first 2 shown]
	s_waitcnt lgkmcnt(0)
	s_barrier
	buffer_gl0_inv
	s_branch .LBB153_61
.LBB153_60:                             ;   in Loop: Header=BB153_61 Depth=1
	s_or_b32 exec_lo, exec_lo, s15
	s_waitcnt lgkmcnt(0)
	s_barrier
	buffer_gl0_inv
	ds_load_b64 v[6:7], v13
	v_add_nc_u32_e32 v11, 0x400, v11
	v_add_nc_u32_e32 v12, 0x4000, v12
	;; [unrolled: 1-line block ×3, first 2 shown]
	s_delay_alu instid0(VALU_DEP_3) | instskip(NEXT) | instid1(VALU_DEP_1)
	v_cmp_lt_u32_e64 s15, 0x1bff, v11
	s_or_b32 s17, s15, s17
	s_waitcnt lgkmcnt(0)
	v_add_co_u32 v2, s16, v6, v2
	s_delay_alu instid0(VALU_DEP_1)
	v_add_co_ci_u32_e64 v3, s16, v7, v3, s16
	s_and_not1_b32 exec_lo, exec_lo, s17
	s_cbranch_execz .LBB153_95
.LBB153_61:                             ; =>This Inner Loop Header: Depth=1
	ds_load_b64 v[6:7], v27
	ds_load_2addr_b64 v[14:17], v12 offset1:1
	s_waitcnt lgkmcnt(1)
	v_cmp_gt_i64_e64 s15, s[20:21], v[6:7]
	s_waitcnt lgkmcnt(0)
	scratch_store_b128 off, v[14:17], off
	s_waitcnt_vscnt null, 0x0
	s_barrier
	buffer_gl0_inv
	v_and_b32_e32 v8, s15, v1
	s_bcnt1_i32_b32 s16, s15
	s_delay_alu instid0(SALU_CYCLE_1) | instskip(NEXT) | instid1(VALU_DEP_2)
	v_mov_b32_e32 v4, s16
	v_bcnt_u32_b32 v8, v8, 0
	ds_store_b64 v10, v[4:5]
	s_waitcnt lgkmcnt(0)
	s_barrier
	buffer_gl0_inv
	s_and_saveexec_b32 s16, s0
	s_cbranch_execnz .LBB153_78
; %bb.62:                               ;   in Loop: Header=BB153_61 Depth=1
	s_or_b32 exec_lo, exec_lo, s16
	s_and_saveexec_b32 s16, s1
	s_cbranch_execnz .LBB153_79
.LBB153_63:                             ;   in Loop: Header=BB153_61 Depth=1
	s_or_b32 exec_lo, exec_lo, s16
	s_and_saveexec_b32 s16, s2
	s_cbranch_execnz .LBB153_80
.LBB153_64:                             ;   in Loop: Header=BB153_61 Depth=1
	s_or_b32 exec_lo, exec_lo, s16
	s_and_saveexec_b32 s16, s3
	s_cbranch_execnz .LBB153_81
.LBB153_65:                             ;   in Loop: Header=BB153_61 Depth=1
	s_or_b32 exec_lo, exec_lo, s16
	s_and_saveexec_b32 s16, s4
	s_cbranch_execnz .LBB153_82
.LBB153_66:                             ;   in Loop: Header=BB153_61 Depth=1
	s_or_b32 exec_lo, exec_lo, s16
	s_and_saveexec_b32 s16, s5
	s_cbranch_execnz .LBB153_83
.LBB153_67:                             ;   in Loop: Header=BB153_61 Depth=1
	s_or_b32 exec_lo, exec_lo, s16
	s_and_saveexec_b32 s16, s6
	s_cbranch_execnz .LBB153_84
.LBB153_68:                             ;   in Loop: Header=BB153_61 Depth=1
	s_or_b32 exec_lo, exec_lo, s16
	s_and_saveexec_b32 s16, s7
	s_cbranch_execnz .LBB153_85
.LBB153_69:                             ;   in Loop: Header=BB153_61 Depth=1
	s_or_b32 exec_lo, exec_lo, s16
	s_and_saveexec_b32 s16, s8
	s_cbranch_execnz .LBB153_86
.LBB153_70:                             ;   in Loop: Header=BB153_61 Depth=1
	s_or_b32 exec_lo, exec_lo, s16
	s_and_saveexec_b32 s16, s9
	s_cbranch_execnz .LBB153_87
.LBB153_71:                             ;   in Loop: Header=BB153_61 Depth=1
	s_or_b32 exec_lo, exec_lo, s16
	s_and_saveexec_b32 s16, s10
	s_cbranch_execnz .LBB153_88
.LBB153_72:                             ;   in Loop: Header=BB153_61 Depth=1
	s_or_b32 exec_lo, exec_lo, s16
	s_and_saveexec_b32 s16, s11
	s_cbranch_execnz .LBB153_89
.LBB153_73:                             ;   in Loop: Header=BB153_61 Depth=1
	s_or_b32 exec_lo, exec_lo, s16
	s_and_saveexec_b32 s16, s12
	s_cbranch_execnz .LBB153_90
.LBB153_74:                             ;   in Loop: Header=BB153_61 Depth=1
	s_or_b32 exec_lo, exec_lo, s16
	s_and_saveexec_b32 s16, s13
	s_cbranch_execnz .LBB153_91
.LBB153_75:                             ;   in Loop: Header=BB153_61 Depth=1
	s_or_b32 exec_lo, exec_lo, s16
	s_and_saveexec_b32 s16, s14
	s_cbranch_execnz .LBB153_92
.LBB153_76:                             ;   in Loop: Header=BB153_61 Depth=1
	s_or_b32 exec_lo, exec_lo, s16
	v_ashrrev_i32_e32 v9, 31, v8
	s_and_saveexec_b32 s16, s15
	s_cbranch_execnz .LBB153_93
.LBB153_77:                             ;   in Loop: Header=BB153_61 Depth=1
	s_or_b32 exec_lo, exec_lo, s16
	s_and_saveexec_b32 s15, vcc_lo
	s_cbranch_execz .LBB153_60
	s_branch .LBB153_94
.LBB153_78:                             ;   in Loop: Header=BB153_61 Depth=1
	v_mov_b32_e32 v4, s19
	ds_load_b32 v4, v4
	s_waitcnt lgkmcnt(0)
	v_add_nc_u32_e32 v8, v4, v8
	s_or_b32 exec_lo, exec_lo, s16
	s_and_saveexec_b32 s16, s1
	s_cbranch_execz .LBB153_63
.LBB153_79:                             ;   in Loop: Header=BB153_61 Depth=1
	v_mov_b32_e32 v4, s28
	ds_load_b32 v4, v4
	s_waitcnt lgkmcnt(0)
	v_add_nc_u32_e32 v8, v8, v4
	s_or_b32 exec_lo, exec_lo, s16
	s_and_saveexec_b32 s16, s2
	s_cbranch_execz .LBB153_64
.LBB153_80:                             ;   in Loop: Header=BB153_61 Depth=1
	v_mov_b32_e32 v4, s29
	ds_load_b32 v4, v4
	s_waitcnt lgkmcnt(0)
	v_add_nc_u32_e32 v8, v8, v4
	s_or_b32 exec_lo, exec_lo, s16
	s_and_saveexec_b32 s16, s3
	s_cbranch_execz .LBB153_65
.LBB153_81:                             ;   in Loop: Header=BB153_61 Depth=1
	v_mov_b32_e32 v4, s30
	ds_load_b32 v4, v4
	s_waitcnt lgkmcnt(0)
	v_add_nc_u32_e32 v8, v8, v4
	s_or_b32 exec_lo, exec_lo, s16
	s_and_saveexec_b32 s16, s4
	s_cbranch_execz .LBB153_66
.LBB153_82:                             ;   in Loop: Header=BB153_61 Depth=1
	v_mov_b32_e32 v4, s31
	ds_load_b32 v4, v4
	s_waitcnt lgkmcnt(0)
	v_add_nc_u32_e32 v8, v8, v4
	s_or_b32 exec_lo, exec_lo, s16
	s_and_saveexec_b32 s16, s5
	s_cbranch_execz .LBB153_67
.LBB153_83:                             ;   in Loop: Header=BB153_61 Depth=1
	v_mov_b32_e32 v4, s33
	ds_load_b32 v4, v4
	s_waitcnt lgkmcnt(0)
	v_add_nc_u32_e32 v8, v8, v4
	s_or_b32 exec_lo, exec_lo, s16
	s_and_saveexec_b32 s16, s6
	s_cbranch_execz .LBB153_68
.LBB153_84:                             ;   in Loop: Header=BB153_61 Depth=1
	v_mov_b32_e32 v4, s34
	ds_load_b32 v4, v4
	s_waitcnt lgkmcnt(0)
	v_add_nc_u32_e32 v8, v8, v4
	s_or_b32 exec_lo, exec_lo, s16
	s_and_saveexec_b32 s16, s7
	s_cbranch_execz .LBB153_69
.LBB153_85:                             ;   in Loop: Header=BB153_61 Depth=1
	v_mov_b32_e32 v4, s35
	ds_load_b32 v4, v4
	s_waitcnt lgkmcnt(0)
	v_add_nc_u32_e32 v8, v8, v4
	s_or_b32 exec_lo, exec_lo, s16
	s_and_saveexec_b32 s16, s8
	s_cbranch_execz .LBB153_70
.LBB153_86:                             ;   in Loop: Header=BB153_61 Depth=1
	v_mov_b32_e32 v4, s36
	ds_load_b32 v4, v4
	s_waitcnt lgkmcnt(0)
	v_add_nc_u32_e32 v8, v8, v4
	s_or_b32 exec_lo, exec_lo, s16
	s_and_saveexec_b32 s16, s9
	s_cbranch_execz .LBB153_71
.LBB153_87:                             ;   in Loop: Header=BB153_61 Depth=1
	v_mov_b32_e32 v4, s37
	ds_load_b32 v4, v4
	s_waitcnt lgkmcnt(0)
	v_add_nc_u32_e32 v8, v8, v4
	s_or_b32 exec_lo, exec_lo, s16
	s_and_saveexec_b32 s16, s10
	s_cbranch_execz .LBB153_72
.LBB153_88:                             ;   in Loop: Header=BB153_61 Depth=1
	v_mov_b32_e32 v4, s38
	ds_load_b32 v4, v4
	s_waitcnt lgkmcnt(0)
	v_add_nc_u32_e32 v8, v8, v4
	s_or_b32 exec_lo, exec_lo, s16
	s_and_saveexec_b32 s16, s11
	s_cbranch_execz .LBB153_73
.LBB153_89:                             ;   in Loop: Header=BB153_61 Depth=1
	v_mov_b32_e32 v4, s40
	ds_load_b32 v4, v4
	s_waitcnt lgkmcnt(0)
	v_add_nc_u32_e32 v8, v8, v4
	s_or_b32 exec_lo, exec_lo, s16
	s_and_saveexec_b32 s16, s12
	s_cbranch_execz .LBB153_74
.LBB153_90:                             ;   in Loop: Header=BB153_61 Depth=1
	v_mov_b32_e32 v4, s41
	ds_load_b32 v4, v4
	s_waitcnt lgkmcnt(0)
	v_add_nc_u32_e32 v8, v8, v4
	s_or_b32 exec_lo, exec_lo, s16
	s_and_saveexec_b32 s16, s13
	s_cbranch_execz .LBB153_75
.LBB153_91:                             ;   in Loop: Header=BB153_61 Depth=1
	v_mov_b32_e32 v4, s42
	ds_load_b32 v4, v4
	s_waitcnt lgkmcnt(0)
	v_add_nc_u32_e32 v8, v8, v4
	s_or_b32 exec_lo, exec_lo, s16
	s_and_saveexec_b32 s16, s14
	s_cbranch_execz .LBB153_76
.LBB153_92:                             ;   in Loop: Header=BB153_61 Depth=1
	v_mov_b32_e32 v4, s43
	ds_load_b32 v4, v4
	s_waitcnt lgkmcnt(0)
	v_add_nc_u32_e32 v8, v8, v4
	s_or_b32 exec_lo, exec_lo, s16
	s_delay_alu instid0(VALU_DEP_1)
	v_ashrrev_i32_e32 v9, 31, v8
	s_and_saveexec_b32 s16, s15
	s_cbranch_execz .LBB153_77
.LBB153_93:                             ;   in Loop: Header=BB153_61 Depth=1
	scratch_load_b128 v[14:17], off, off
	v_add3_u32 v4, v2, -1, v8
	s_delay_alu instid0(VALU_DEP_1) | instskip(SKIP_1) | instid1(VALU_DEP_2)
	v_lshlrev_b32_e32 v18, 4, v4
	v_lshl_add_u32 v4, v4, 3, 0
	v_add3_u32 v18, 0, v18, 0x10000
	ds_store_b64 v4, v[6:7]
	s_waitcnt vmcnt(0)
	ds_store_2addr_b64 v18, v[14:15], v[16:17] offset1:1
	s_or_b32 exec_lo, exec_lo, s16
	s_and_saveexec_b32 s15, vcc_lo
	s_cbranch_execz .LBB153_60
.LBB153_94:                             ;   in Loop: Header=BB153_61 Depth=1
	v_mov_b32_e32 v4, s39
	ds_store_b64 v4, v[8:9]
	s_branch .LBB153_60
.LBB153_95:
	s_or_b32 exec_lo, exec_lo, s17
	s_lshl_b64 s[0:1], s[22:23], 3
	v_mov_b32_e32 v1, 0
	s_add_u32 s0, s26, s0
	s_addc_u32 s1, s27, s1
	s_mov_b32 s6, exec_lo
	s_load_b128 s[0:3], s[0:1], 0x0
	s_waitcnt lgkmcnt(0)
	s_sub_u32 s4, s2, s0
	s_subb_u32 s5, s3, s1
	s_delay_alu instid0(SALU_CYCLE_1)
	v_cmpx_gt_i64_e64 s[4:5], v[0:1]
	s_cbranch_execz .LBB153_105
; %bb.96:
	s_sub_u32 s8, s0, s18
	s_subb_u32 s9, s1, 0
	s_and_b32 s6, s4, 7
	s_sub_u32 s0, s0, s2
	s_subb_u32 s1, s1, s3
	s_mov_b32 s7, 0
	v_cmp_lt_u64_e64 s12, s[0:1], -7
	s_and_b32 s2, s4, -8
	s_cmp_lg_u64 s[6:7], 0
	s_mov_b32 s3, s5
	s_cselect_b32 s13, -1, 0
	s_mov_b32 s14, s7
	s_branch .LBB153_98
.LBB153_97:                             ;   in Loop: Header=BB153_98 Depth=1
	s_waitcnt lgkmcnt(0)
	v_lshlrev_b32_e32 v2, 4, v0
	v_add_co_u32 v0, vcc_lo, 0x400, v0
	v_add_co_ci_u32_e32 v1, vcc_lo, 0, v1, vcc_lo
	s_delay_alu instid0(VALU_DEP_3) | instskip(NEXT) | instid1(VALU_DEP_2)
	v_add3_u32 v2, 0, v2, 0x10000
	v_cmp_le_i64_e32 vcc_lo, s[4:5], v[0:1]
	ds_load_2addr_b64 v[6:9], v2 offset1:1
	v_lshlrev_b64 v[2:3], 4, v[4:5]
	s_or_b32 s14, vcc_lo, s14
	s_delay_alu instid0(VALU_DEP_1) | instskip(NEXT) | instid1(VALU_DEP_1)
	v_add_co_u32 v2, s0, s24, v2
	v_add_co_ci_u32_e64 v3, s0, s25, v3, s0
	s_waitcnt lgkmcnt(0)
	global_store_b128 v[2:3], v[6:9], off
	s_and_not1_b32 exec_lo, exec_lo, s14
	s_cbranch_execz .LBB153_105
.LBB153_98:                             ; =>This Loop Header: Depth=1
                                        ;     Child Loop BB153_100 Depth 2
                                        ;     Child Loop BB153_104 Depth 2
	v_lshl_add_u32 v2, v0, 3, 0
	v_dual_mov_b32 v4, s8 :: v_dual_mov_b32 v5, s9
	s_and_not1_b32 vcc_lo, exec_lo, s12
	s_mov_b64 s[0:1], 0
	ds_load_b64 v[2:3], v2
	s_cbranch_vccnz .LBB153_102
; %bb.99:                               ;   in Loop: Header=BB153_98 Depth=1
	v_dual_mov_b32 v4, s8 :: v_dual_mov_b32 v5, s9
	s_mov_b64 s[10:11], 0
	s_mov_b32 s1, 0
.LBB153_100:                            ;   Parent Loop BB153_98 Depth=1
                                        ; =>  This Inner Loop Header: Depth=2
	s_delay_alu instid0(SALU_CYCLE_1)
	v_mov_b32_e32 v18, s1
	s_add_u32 s10, s10, 8
	s_addc_u32 s11, s11, 0
	s_add_i32 s1, s1, 64
	s_cmp_eq_u64 s[2:3], s[10:11]
	ds_load_2addr_b64 v[6:9], v18 offset1:1
	ds_load_2addr_b64 v[10:13], v18 offset0:2 offset1:3
	ds_load_2addr_b64 v[14:17], v18 offset0:4 offset1:5
	;; [unrolled: 1-line block ×3, first 2 shown]
	s_waitcnt lgkmcnt(3)
	v_cmp_gt_i64_e32 vcc_lo, v[2:3], v[6:7]
	v_cndmask_b32_e64 v6, 0, 1, vcc_lo
	v_cmp_gt_i64_e32 vcc_lo, v[2:3], v[8:9]
	v_cndmask_b32_e64 v7, 0, 1, vcc_lo
	s_waitcnt lgkmcnt(2)
	v_cmp_gt_i64_e32 vcc_lo, v[2:3], v[10:11]
	v_cndmask_b32_e64 v8, 0, 1, vcc_lo
	v_cmp_gt_i64_e32 vcc_lo, v[2:3], v[12:13]
	v_cndmask_b32_e64 v9, 0, 1, vcc_lo
	s_waitcnt lgkmcnt(1)
	v_cmp_gt_i64_e32 vcc_lo, v[2:3], v[14:15]
	v_cndmask_b32_e64 v10, 0, 1, vcc_lo
	v_add_co_u32 v4, vcc_lo, v4, v6
	v_add_co_ci_u32_e32 v5, vcc_lo, 0, v5, vcc_lo
	v_cmp_gt_i64_e32 vcc_lo, v[2:3], v[16:17]
	s_delay_alu instid0(VALU_DEP_3) | instskip(NEXT) | instid1(VALU_DEP_1)
	v_add_co_u32 v4, s0, v4, v7
	v_add_co_ci_u32_e64 v5, s0, 0, v5, s0
	v_cndmask_b32_e64 v6, 0, 1, vcc_lo
	s_delay_alu instid0(VALU_DEP_3) | instskip(NEXT) | instid1(VALU_DEP_3)
	v_add_co_u32 v4, vcc_lo, v4, v8
	v_add_co_ci_u32_e32 v5, vcc_lo, 0, v5, vcc_lo
	s_waitcnt lgkmcnt(0)
	v_cmp_gt_i64_e32 vcc_lo, v[2:3], v[18:19]
	s_delay_alu instid0(VALU_DEP_3) | instskip(NEXT) | instid1(VALU_DEP_1)
	v_add_co_u32 v4, s0, v4, v9
	v_add_co_ci_u32_e64 v5, s0, 0, v5, s0
	v_cndmask_b32_e64 v7, 0, 1, vcc_lo
	s_delay_alu instid0(VALU_DEP_3) | instskip(NEXT) | instid1(VALU_DEP_3)
	v_add_co_u32 v4, vcc_lo, v4, v10
	v_add_co_ci_u32_e32 v5, vcc_lo, 0, v5, vcc_lo
	v_cmp_gt_i64_e32 vcc_lo, v[2:3], v[20:21]
	s_delay_alu instid0(VALU_DEP_3) | instskip(NEXT) | instid1(VALU_DEP_1)
	v_add_co_u32 v4, s0, v4, v6
	v_add_co_ci_u32_e64 v5, s0, 0, v5, s0
	v_cndmask_b32_e64 v6, 0, 1, vcc_lo
	s_delay_alu instid0(VALU_DEP_3) | instskip(NEXT) | instid1(VALU_DEP_3)
	v_add_co_u32 v4, vcc_lo, v4, v7
	v_add_co_ci_u32_e32 v5, vcc_lo, 0, v5, vcc_lo
	s_delay_alu instid0(VALU_DEP_2) | instskip(NEXT) | instid1(VALU_DEP_2)
	v_add_co_u32 v4, vcc_lo, v4, v6
	v_add_co_ci_u32_e32 v5, vcc_lo, 0, v5, vcc_lo
	s_cbranch_scc0 .LBB153_100
; %bb.101:                              ;   in Loop: Header=BB153_98 Depth=1
	s_mov_b64 s[0:1], s[2:3]
.LBB153_102:                            ;   in Loop: Header=BB153_98 Depth=1
	s_and_not1_b32 vcc_lo, exec_lo, s13
	s_cbranch_vccnz .LBB153_97
; %bb.103:                              ;   in Loop: Header=BB153_98 Depth=1
	s_lshl_b32 s0, s0, 3
	s_delay_alu instid0(SALU_CYCLE_1)
	s_add_i32 s10, s0, 0
	s_mov_b64 s[0:1], s[6:7]
.LBB153_104:                            ;   Parent Loop BB153_98 Depth=1
                                        ; =>  This Inner Loop Header: Depth=2
	v_mov_b32_e32 v6, s10
	s_add_i32 s10, s10, 8
	s_add_u32 s0, s0, -1
	s_addc_u32 s1, s1, -1
	s_delay_alu instid0(SALU_CYCLE_1) | instskip(SKIP_4) | instid1(VALU_DEP_1)
	s_cmp_lg_u64 s[0:1], 0
	ds_load_b64 v[6:7], v6
	s_waitcnt lgkmcnt(0)
	v_cmp_gt_i64_e32 vcc_lo, v[2:3], v[6:7]
	v_cndmask_b32_e64 v6, 0, 1, vcc_lo
	v_add_co_u32 v4, vcc_lo, v4, v6
	v_add_co_ci_u32_e32 v5, vcc_lo, 0, v5, vcc_lo
	s_cbranch_scc1 .LBB153_104
	s_branch .LBB153_97
.LBB153_105:
	s_nop 0
	s_sendmsg sendmsg(MSG_DEALLOC_VGPRS)
	s_endpgm
	.section	.rodata,"a",@progbits
	.p2align	6, 0x0
	.amdhsa_kernel _ZN9rocsparseL41csrgemm_numeric_fill_block_per_row_kernelILj1024ELj64ELj8192ELj137ELj64Ell21rocsparse_complex_numIdEEEvT5_PKS3_S5_NS_24const_host_device_scalarIT6_EEPKT4_S5_PKS7_SB_S5_SD_S8_SB_S5_SD_SB_S5_PS7_21rocsparse_index_base_SF_SF_SF_bbb
		.amdhsa_group_segment_fixed_size 0
		.amdhsa_private_segment_fixed_size 40
		.amdhsa_kernarg_size 172
		.amdhsa_user_sgpr_count 15
		.amdhsa_user_sgpr_dispatch_ptr 0
		.amdhsa_user_sgpr_queue_ptr 0
		.amdhsa_user_sgpr_kernarg_segment_ptr 1
		.amdhsa_user_sgpr_dispatch_id 0
		.amdhsa_user_sgpr_private_segment_size 0
		.amdhsa_wavefront_size32 1
		.amdhsa_uses_dynamic_stack 0
		.amdhsa_enable_private_segment 1
		.amdhsa_system_sgpr_workgroup_id_x 1
		.amdhsa_system_sgpr_workgroup_id_y 0
		.amdhsa_system_sgpr_workgroup_id_z 0
		.amdhsa_system_sgpr_workgroup_info 0
		.amdhsa_system_vgpr_workitem_id 0
		.amdhsa_next_free_vgpr 35
		.amdhsa_next_free_sgpr 44
		.amdhsa_reserve_vcc 1
		.amdhsa_float_round_mode_32 0
		.amdhsa_float_round_mode_16_64 0
		.amdhsa_float_denorm_mode_32 3
		.amdhsa_float_denorm_mode_16_64 3
		.amdhsa_dx10_clamp 1
		.amdhsa_ieee_mode 1
		.amdhsa_fp16_overflow 0
		.amdhsa_workgroup_processor_mode 1
		.amdhsa_memory_ordered 1
		.amdhsa_forward_progress 0
		.amdhsa_shared_vgpr_count 0
		.amdhsa_exception_fp_ieee_invalid_op 0
		.amdhsa_exception_fp_denorm_src 0
		.amdhsa_exception_fp_ieee_div_zero 0
		.amdhsa_exception_fp_ieee_overflow 0
		.amdhsa_exception_fp_ieee_underflow 0
		.amdhsa_exception_fp_ieee_inexact 0
		.amdhsa_exception_int_div_zero 0
	.end_amdhsa_kernel
	.section	.text._ZN9rocsparseL41csrgemm_numeric_fill_block_per_row_kernelILj1024ELj64ELj8192ELj137ELj64Ell21rocsparse_complex_numIdEEEvT5_PKS3_S5_NS_24const_host_device_scalarIT6_EEPKT4_S5_PKS7_SB_S5_SD_S8_SB_S5_SD_SB_S5_PS7_21rocsparse_index_base_SF_SF_SF_bbb,"axG",@progbits,_ZN9rocsparseL41csrgemm_numeric_fill_block_per_row_kernelILj1024ELj64ELj8192ELj137ELj64Ell21rocsparse_complex_numIdEEEvT5_PKS3_S5_NS_24const_host_device_scalarIT6_EEPKT4_S5_PKS7_SB_S5_SD_S8_SB_S5_SD_SB_S5_PS7_21rocsparse_index_base_SF_SF_SF_bbb,comdat
.Lfunc_end153:
	.size	_ZN9rocsparseL41csrgemm_numeric_fill_block_per_row_kernelILj1024ELj64ELj8192ELj137ELj64Ell21rocsparse_complex_numIdEEEvT5_PKS3_S5_NS_24const_host_device_scalarIT6_EEPKT4_S5_PKS7_SB_S5_SD_S8_SB_S5_SD_SB_S5_PS7_21rocsparse_index_base_SF_SF_SF_bbb, .Lfunc_end153-_ZN9rocsparseL41csrgemm_numeric_fill_block_per_row_kernelILj1024ELj64ELj8192ELj137ELj64Ell21rocsparse_complex_numIdEEEvT5_PKS3_S5_NS_24const_host_device_scalarIT6_EEPKT4_S5_PKS7_SB_S5_SD_S8_SB_S5_SD_SB_S5_PS7_21rocsparse_index_base_SF_SF_SF_bbb
                                        ; -- End function
	.section	.AMDGPU.csdata,"",@progbits
; Kernel info:
; codeLenInByte = 4788
; NumSgprs: 46
; NumVgprs: 35
; ScratchSize: 40
; MemoryBound: 0
; FloatMode: 240
; IeeeMode: 1
; LDSByteSize: 0 bytes/workgroup (compile time only)
; SGPRBlocks: 5
; VGPRBlocks: 4
; NumSGPRsForWavesPerEU: 46
; NumVGPRsForWavesPerEU: 35
; Occupancy: 16
; WaveLimiterHint : 1
; COMPUTE_PGM_RSRC2:SCRATCH_EN: 1
; COMPUTE_PGM_RSRC2:USER_SGPR: 15
; COMPUTE_PGM_RSRC2:TRAP_HANDLER: 0
; COMPUTE_PGM_RSRC2:TGID_X_EN: 1
; COMPUTE_PGM_RSRC2:TGID_Y_EN: 0
; COMPUTE_PGM_RSRC2:TGID_Z_EN: 0
; COMPUTE_PGM_RSRC2:TIDIG_COMP_CNT: 0
	.section	.text._ZN9rocsparseL41csrgemm_numeric_fill_block_per_row_kernelILj1024ELj64ELj16384ELj137ELj32Ell21rocsparse_complex_numIdEEEvT5_PKS3_S5_NS_24const_host_device_scalarIT6_EEPKT4_S5_PKS7_SB_S5_SD_S8_SB_S5_SD_SB_S5_PS7_21rocsparse_index_base_SF_SF_SF_bbb,"axG",@progbits,_ZN9rocsparseL41csrgemm_numeric_fill_block_per_row_kernelILj1024ELj64ELj16384ELj137ELj32Ell21rocsparse_complex_numIdEEEvT5_PKS3_S5_NS_24const_host_device_scalarIT6_EEPKT4_S5_PKS7_SB_S5_SD_S8_SB_S5_SD_SB_S5_PS7_21rocsparse_index_base_SF_SF_SF_bbb,comdat
	.globl	_ZN9rocsparseL41csrgemm_numeric_fill_block_per_row_kernelILj1024ELj64ELj16384ELj137ELj32Ell21rocsparse_complex_numIdEEEvT5_PKS3_S5_NS_24const_host_device_scalarIT6_EEPKT4_S5_PKS7_SB_S5_SD_S8_SB_S5_SD_SB_S5_PS7_21rocsparse_index_base_SF_SF_SF_bbb ; -- Begin function _ZN9rocsparseL41csrgemm_numeric_fill_block_per_row_kernelILj1024ELj64ELj16384ELj137ELj32Ell21rocsparse_complex_numIdEEEvT5_PKS3_S5_NS_24const_host_device_scalarIT6_EEPKT4_S5_PKS7_SB_S5_SD_S8_SB_S5_SD_SB_S5_PS7_21rocsparse_index_base_SF_SF_SF_bbb
	.p2align	8
	.type	_ZN9rocsparseL41csrgemm_numeric_fill_block_per_row_kernelILj1024ELj64ELj16384ELj137ELj32Ell21rocsparse_complex_numIdEEEvT5_PKS3_S5_NS_24const_host_device_scalarIT6_EEPKT4_S5_PKS7_SB_S5_SD_S8_SB_S5_SD_SB_S5_PS7_21rocsparse_index_base_SF_SF_SF_bbb,@function
_ZN9rocsparseL41csrgemm_numeric_fill_block_per_row_kernelILj1024ELj64ELj16384ELj137ELj32Ell21rocsparse_complex_numIdEEEvT5_PKS3_S5_NS_24const_host_device_scalarIT6_EEPKT4_S5_PKS7_SB_S5_SD_S8_SB_S5_SD_SB_S5_PS7_21rocsparse_index_base_SF_SF_SF_bbb: ; @_ZN9rocsparseL41csrgemm_numeric_fill_block_per_row_kernelILj1024ELj64ELj16384ELj137ELj32Ell21rocsparse_complex_numIdEEEvT5_PKS3_S5_NS_24const_host_device_scalarIT6_EEPKT4_S5_PKS7_SB_S5_SD_S8_SB_S5_SD_SB_S5_PS7_21rocsparse_index_base_SF_SF_SF_bbb
; %bb.0:
	s_clause 0x3
	s_load_b32 s27, s[0:1], 0xa8
	s_load_b128 s[4:7], s[0:1], 0x18
	s_load_b128 s[16:19], s[0:1], 0x58
	;; [unrolled: 1-line block ×3, first 2 shown]
	v_mov_b32_e32 v1, 0
	v_mov_b32_e32 v2, 0
	s_mov_b32 s24, s15
	s_waitcnt lgkmcnt(0)
	s_bitcmp1_b32 s27, 0
	v_mov_b32_e32 v3, s4
	s_cselect_b32 s26, -1, 0
	s_bitcmp1_b32 s27, 16
	v_dual_mov_b32 v6, v2 :: v_dual_mov_b32 v5, v1
	s_cselect_b32 s2, -1, 0
	v_mov_b32_e32 v4, s5
	s_xor_b32 s25, s2, -1
	v_dual_mov_b32 v9, s16 :: v_dual_mov_b32 v10, s17
	v_cndmask_b32_e64 v7, 0, 1, s25
	s_bitcmp0_b32 s27, 0
	s_clause 0x1
	scratch_store_b64 off, v[3:4], off offset:16
	scratch_store_b64 off, v[9:10], off offset:24
	v_cmp_ne_u32_e32 vcc_lo, 1, v7
	v_dual_mov_b32 v8, v2 :: v_dual_mov_b32 v7, v1
	s_cbranch_scc1 .LBB154_3
; %bb.1:
	s_mov_b64 s[8:9], src_private_base
	s_and_b32 s3, s2, exec_lo
	s_cselect_b32 s3, s9, s5
	s_delay_alu instid0(SALU_CYCLE_1) | instskip(SKIP_2) | instid1(VALU_DEP_2)
	v_dual_mov_b32 v3, 16 :: v_dual_mov_b32 v4, s3
	v_dual_mov_b32 v8, s7 :: v_dual_mov_b32 v7, s6
	s_and_b32 vcc_lo, exec_lo, vcc_lo
	v_cndmask_b32_e64 v3, s4, v3, s2
	flat_load_b64 v[5:6], v[3:4]
	s_cbranch_vccnz .LBB154_3
; %bb.2:
	v_dual_mov_b32 v3, s4 :: v_dual_mov_b32 v4, s5
	flat_load_b64 v[7:8], v[3:4] offset:8
.LBB154_3:
	s_clause 0x4
	s_load_b64 s[34:35], s[0:1], 0x90
	s_load_b256 s[36:43], s[0:1], 0x68
	s_load_b128 s[12:15], s[0:1], 0x48
	s_load_b128 s[20:23], s[0:1], 0x8
	s_load_b256 s[4:11], s[0:1], 0x28
	s_bitcmp1_b32 s27, 8
	v_dual_mov_b32 v4, v2 :: v_dual_mov_b32 v3, v1
	s_cselect_b32 s3, -1, 0
	s_bfe_u32 s27, s27, 0x10008
	s_delay_alu instid0(SALU_CYCLE_1)
	s_cmp_eq_u32 s27, 0
	s_cbranch_scc1 .LBB154_6
; %bb.4:
	s_mov_b64 s[28:29], src_private_base
	s_and_b32 s27, s2, exec_lo
	s_cselect_b32 s27, s29, s17
	s_delay_alu instid0(SALU_CYCLE_1) | instskip(SKIP_1) | instid1(VALU_DEP_1)
	v_dual_mov_b32 v1, 24 :: v_dual_mov_b32 v2, s27
	s_and_not1_b32 vcc_lo, exec_lo, s25
	v_cndmask_b32_e64 v1, s16, v1, s2
	flat_load_b64 v[3:4], v[1:2]
	v_dual_mov_b32 v1, s18 :: v_dual_mov_b32 v2, s19
	s_cbranch_vccnz .LBB154_6
; %bb.5:
	v_dual_mov_b32 v1, s16 :: v_dual_mov_b32 v2, s17
	flat_load_b64 v[1:2], v[1:2] offset:8
.LBB154_6:
	s_load_b64 s[48:49], s[0:1], 0x0
	s_mov_b32 s0, 0
	v_or_b32_e32 v27, 0xfffffc00, v0
	v_lshl_add_u32 v28, v0, 3, 0
	s_mov_b32 s1, s0
	s_delay_alu instid0(SALU_CYCLE_1)
	v_dual_mov_b32 v10, s1 :: v_dual_lshlrev_b32 v29, 4, v0
	s_mov_b32 s16, s0
	s_mov_b32 s17, s0
	v_dual_mov_b32 v11, s16 :: v_dual_mov_b32 v16, v28
	v_dual_mov_b32 v9, s0 :: v_dual_mov_b32 v12, s17
	v_add3_u32 v15, v29, 0, 0x20008
	v_mov_b32_e32 v17, v27
	s_waitcnt lgkmcnt(0)
	v_dual_mov_b32 v13, s48 :: v_dual_mov_b32 v14, s49
.LBB154_7:                              ; =>This Inner Loop Header: Depth=1
	s_delay_alu instid0(VALU_DEP_2)
	v_add_nc_u32_e32 v17, 0x400, v17
	ds_store_b64 v16, v[13:14]
	v_add_nc_u32_e32 v18, -8, v15
	v_add_nc_u32_e32 v15, 0x4000, v15
	v_add_nc_u32_e32 v16, 0x2000, v16
	v_cmp_lt_u32_e32 vcc_lo, 0x3bff, v17
	ds_store_2addr_b64 v18, v[9:10], v[11:12] offset1:1
	s_or_b32 s0, vcc_lo, s0
	s_delay_alu instid0(SALU_CYCLE_1)
	s_and_not1_b32 exec_lo, exec_lo, s0
	s_cbranch_execnz .LBB154_7
; %bb.8:
	s_or_b32 exec_lo, exec_lo, s0
	s_waitcnt vmcnt(0) lgkmcnt(0)
	s_waitcnt_vscnt null, 0x0
	s_barrier
	buffer_gl0_inv
	s_load_b64 s[0:1], s[20:21], 0x0
	s_mov_b32 s25, 0
	s_waitcnt lgkmcnt(0)
	s_lshl_b64 s[0:1], s[0:1], 3
	s_delay_alu instid0(SALU_CYCLE_1) | instskip(SKIP_2) | instid1(SALU_CYCLE_1)
	s_add_u32 s2, s22, s0
	s_addc_u32 s16, s23, s1
	s_lshl_b64 s[0:1], s[24:25], 3
	s_add_u32 s0, s2, s0
	s_addc_u32 s1, s16, s1
	s_and_b32 vcc_lo, exec_lo, s26
	s_load_b64 s[50:51], s[0:1], 0x0
	s_cbranch_vccz .LBB154_36
; %bb.9:
	s_waitcnt lgkmcnt(0)
	s_lshl_b64 s[0:1], s[50:51], 3
	v_lshrrev_b32_e32 v9, 6, v0
	s_add_u32 s0, s4, s0
	s_addc_u32 s1, s5, s1
	s_mov_b32 s2, exec_lo
	s_load_b128 s[16:19], s[0:1], 0x0
	v_sub_co_u32 v9, s0, v9, s44
	s_delay_alu instid0(VALU_DEP_1) | instskip(SKIP_1) | instid1(VALU_DEP_2)
	v_sub_co_ci_u32_e64 v10, null, 0, 0, s0
	s_waitcnt lgkmcnt(0)
	v_add_co_u32 v9, vcc_lo, s16, v9
	s_delay_alu instid0(VALU_DEP_2)
	v_add_co_ci_u32_e32 v10, vcc_lo, s17, v10, vcc_lo
	s_sub_u32 s0, s18, s44
	s_subb_u32 s1, s19, 0
	s_delay_alu instid0(VALU_DEP_1) | instid1(SALU_CYCLE_1)
	v_cmpx_gt_i64_e64 s[0:1], v[9:10]
	s_cbranch_execz .LBB154_35
; %bb.10:
	v_and_b32_e32 v11, 63, v0
	s_mov_b32 s5, s45
	s_delay_alu instid0(VALU_DEP_1) | instskip(NEXT) | instid1(VALU_DEP_1)
	v_sub_co_u32 v30, s4, v11, s45
	v_sub_co_ci_u32_e64 v31, null, 0, 0, s4
	s_mov_b32 s4, 0
	s_branch .LBB154_12
.LBB154_11:                             ;   in Loop: Header=BB154_12 Depth=1
	s_or_b32 exec_lo, exec_lo, s16
	v_add_co_u32 v9, vcc_lo, v9, 16
	v_add_co_ci_u32_e32 v10, vcc_lo, 0, v10, vcc_lo
	s_delay_alu instid0(VALU_DEP_1) | instskip(SKIP_1) | instid1(SALU_CYCLE_1)
	v_cmp_le_i64_e32 vcc_lo, s[0:1], v[9:10]
	s_or_b32 s4, vcc_lo, s4
	s_and_not1_b32 exec_lo, exec_lo, s4
	s_cbranch_execz .LBB154_35
.LBB154_12:                             ; =>This Loop Header: Depth=1
                                        ;     Child Loop BB154_15 Depth 2
                                        ;       Child Loop BB154_17 Depth 3
                                        ;         Child Loop BB154_23 Depth 4
                                        ;         Child Loop BB154_25 Depth 4
	;; [unrolled: 1-line block ×4, first 2 shown]
	v_lshlrev_b64 v[11:12], 3, v[9:10]
	s_mov_b32 s16, exec_lo
	s_delay_alu instid0(VALU_DEP_1) | instskip(NEXT) | instid1(VALU_DEP_2)
	v_add_co_u32 v11, vcc_lo, s6, v11
	v_add_co_ci_u32_e32 v12, vcc_lo, s7, v12, vcc_lo
	global_load_b64 v[11:12], v[11:12], off
	s_waitcnt vmcnt(0)
	v_sub_co_u32 v11, vcc_lo, v11, s44
	v_subrev_co_ci_u32_e32 v12, vcc_lo, 0, v12, vcc_lo
	s_delay_alu instid0(VALU_DEP_1) | instskip(NEXT) | instid1(VALU_DEP_1)
	v_lshlrev_b64 v[11:12], 3, v[11:12]
	v_add_co_u32 v11, vcc_lo, s10, v11
	s_delay_alu instid0(VALU_DEP_2)
	v_add_co_ci_u32_e32 v12, vcc_lo, s11, v12, vcc_lo
	global_load_b128 v[13:16], v[11:12], off
	s_waitcnt vmcnt(0)
	v_sub_co_u32 v11, vcc_lo, v15, s5
	v_subrev_co_ci_u32_e32 v12, vcc_lo, 0, v16, vcc_lo
	v_add_co_u32 v13, vcc_lo, v13, v30
	v_add_co_ci_u32_e32 v14, vcc_lo, v14, v31, vcc_lo
	s_delay_alu instid0(VALU_DEP_1)
	v_cmpx_lt_i64_e64 v[13:14], v[11:12]
	s_cbranch_execz .LBB154_11
; %bb.13:                               ;   in Loop: Header=BB154_12 Depth=1
	v_lshlrev_b64 v[15:16], 4, v[9:10]
	s_mov_b32 s17, 0
	s_delay_alu instid0(VALU_DEP_1) | instskip(NEXT) | instid1(VALU_DEP_2)
	v_add_co_u32 v15, vcc_lo, s8, v15
	v_add_co_ci_u32_e32 v16, vcc_lo, s9, v16, vcc_lo
	global_load_b128 v[17:20], v[15:16], off
	s_waitcnt vmcnt(0)
	v_mul_f64 v[15:16], v[19:20], -v[7:8]
	v_mul_f64 v[19:20], v[5:6], v[19:20]
	s_delay_alu instid0(VALU_DEP_2) | instskip(NEXT) | instid1(VALU_DEP_2)
	v_fma_f64 v[15:16], v[5:6], v[17:18], v[15:16]
	v_fma_f64 v[17:18], v[7:8], v[17:18], v[19:20]
	s_branch .LBB154_15
.LBB154_14:                             ;   in Loop: Header=BB154_15 Depth=2
	s_or_b32 exec_lo, exec_lo, s18
	v_add_co_u32 v13, vcc_lo, v13, 64
	v_add_co_ci_u32_e32 v14, vcc_lo, 0, v14, vcc_lo
	s_delay_alu instid0(VALU_DEP_1) | instskip(SKIP_1) | instid1(SALU_CYCLE_1)
	v_cmp_ge_i64_e32 vcc_lo, v[13:14], v[11:12]
	s_or_b32 s17, vcc_lo, s17
	s_and_not1_b32 exec_lo, exec_lo, s17
	s_cbranch_execz .LBB154_11
.LBB154_15:                             ;   Parent Loop BB154_12 Depth=1
                                        ; =>  This Loop Header: Depth=2
                                        ;       Child Loop BB154_17 Depth 3
                                        ;         Child Loop BB154_23 Depth 4
                                        ;         Child Loop BB154_25 Depth 4
	;; [unrolled: 1-line block ×4, first 2 shown]
	v_lshlrev_b64 v[19:20], 4, v[13:14]
	s_mov_b32 s18, 0
	s_delay_alu instid0(VALU_DEP_1) | instskip(NEXT) | instid1(VALU_DEP_2)
	v_add_co_u32 v19, vcc_lo, s14, v19
	v_add_co_ci_u32_e32 v20, vcc_lo, s15, v20, vcc_lo
	global_load_b128 v[21:24], v[19:20], off
	v_lshlrev_b64 v[19:20], 3, v[13:14]
	s_delay_alu instid0(VALU_DEP_1) | instskip(NEXT) | instid1(VALU_DEP_2)
	v_add_co_u32 v19, vcc_lo, s12, v19
	v_add_co_ci_u32_e32 v20, vcc_lo, s13, v20, vcc_lo
	global_load_b64 v[25:26], v[19:20], off
	s_waitcnt vmcnt(1)
	v_mul_f64 v[19:20], v[23:24], -v[17:18]
	v_mul_f64 v[23:24], v[15:16], v[23:24]
	s_delay_alu instid0(VALU_DEP_2) | instskip(NEXT) | instid1(VALU_DEP_2)
	v_fma_f64 v[19:20], v[15:16], v[21:22], v[19:20]
	v_fma_f64 v[21:22], v[17:18], v[21:22], v[23:24]
	s_waitcnt vmcnt(0)
	v_sub_co_u32 v23, vcc_lo, v25, s5
	v_subrev_co_ci_u32_e32 v24, vcc_lo, 0, v26, vcc_lo
	s_delay_alu instid0(VALU_DEP_2) | instskip(NEXT) | instid1(VALU_DEP_1)
	v_mul_lo_u32 v25, 0x89, v23
	v_and_b32_e32 v32, 0x3fff, v25
	s_branch .LBB154_17
.LBB154_16:                             ;   in Loop: Header=BB154_17 Depth=3
	s_or_b32 exec_lo, exec_lo, s19
	s_xor_b32 s19, s20, -1
	s_delay_alu instid0(SALU_CYCLE_1) | instskip(NEXT) | instid1(SALU_CYCLE_1)
	s_and_b32 s19, exec_lo, s19
	s_or_b32 s18, s19, s18
	s_delay_alu instid0(SALU_CYCLE_1)
	s_and_not1_b32 exec_lo, exec_lo, s18
	s_cbranch_execz .LBB154_14
.LBB154_17:                             ;   Parent Loop BB154_12 Depth=1
                                        ;     Parent Loop BB154_15 Depth=2
                                        ; =>    This Loop Header: Depth=3
                                        ;         Child Loop BB154_23 Depth 4
                                        ;         Child Loop BB154_25 Depth 4
	;; [unrolled: 1-line block ×4, first 2 shown]
	s_delay_alu instid0(VALU_DEP_1)
	v_lshl_add_u32 v33, v32, 3, 0
	s_mov_b32 s19, exec_lo
                                        ; implicit-def: $sgpr20
	ds_load_b64 v[25:26], v33
	s_waitcnt lgkmcnt(0)
	v_cmpx_ne_u64_e64 v[25:26], v[23:24]
	s_xor_b32 s19, exec_lo, s19
	s_cbranch_execz .LBB154_29
; %bb.18:                               ;   in Loop: Header=BB154_17 Depth=3
	s_mov_b32 s21, exec_lo
                                        ; implicit-def: $sgpr20
	v_cmpx_ne_u64_e64 s[48:49], v[25:26]
	s_xor_b32 s21, exec_lo, s21
; %bb.19:                               ;   in Loop: Header=BB154_17 Depth=3
	v_add_nc_u32_e32 v25, 1, v32
	s_mov_b32 s20, -1
                                        ; implicit-def: $vgpr33
	s_delay_alu instid0(VALU_DEP_1)
	v_and_b32_e32 v32, 0x3fff, v25
; %bb.20:                               ;   in Loop: Header=BB154_17 Depth=3
	s_and_not1_saveexec_b32 s21, s21
	s_cbranch_execz .LBB154_28
; %bb.21:                               ;   in Loop: Header=BB154_17 Depth=3
	v_dual_mov_b32 v25, s48 :: v_dual_mov_b32 v26, s49
	s_mov_b32 s23, -1
	s_mov_b32 s22, exec_lo
	ds_cmpstore_rtn_b64 v[25:26], v33, v[23:24], v[25:26]
	s_waitcnt lgkmcnt(0)
	v_cmpx_eq_u64_e64 s[48:49], v[25:26]
	s_cbranch_execz .LBB154_27
; %bb.22:                               ;   in Loop: Header=BB154_17 Depth=3
	v_lshlrev_b32_e32 v25, 4, v32
	s_mov_b32 s23, 0
	s_delay_alu instid0(VALU_DEP_1)
	v_add3_u32 v33, 0, v25, 0x20000
	ds_load_b64 v[25:26], v33
.LBB154_23:                             ;   Parent Loop BB154_12 Depth=1
                                        ;     Parent Loop BB154_15 Depth=2
                                        ;       Parent Loop BB154_17 Depth=3
                                        ; =>      This Inner Loop Header: Depth=4
	s_waitcnt lgkmcnt(0)
	v_add_f64 v[34:35], v[25:26], v[19:20]
	ds_cmpstore_rtn_b64 v[34:35], v33, v[34:35], v[25:26]
	s_waitcnt lgkmcnt(0)
	v_cmp_eq_u64_e32 vcc_lo, v[34:35], v[25:26]
	v_dual_mov_b32 v25, v34 :: v_dual_mov_b32 v26, v35
	s_or_b32 s23, vcc_lo, s23
	s_delay_alu instid0(SALU_CYCLE_1)
	s_and_not1_b32 exec_lo, exec_lo, s23
	s_cbranch_execnz .LBB154_23
; %bb.24:                               ;   in Loop: Header=BB154_17 Depth=3
	s_or_b32 exec_lo, exec_lo, s23
	ds_load_b64 v[25:26], v33 offset:8
	s_mov_b32 s23, 0
.LBB154_25:                             ;   Parent Loop BB154_12 Depth=1
                                        ;     Parent Loop BB154_15 Depth=2
                                        ;       Parent Loop BB154_17 Depth=3
                                        ; =>      This Inner Loop Header: Depth=4
	s_waitcnt lgkmcnt(0)
	v_add_f64 v[34:35], v[25:26], v[21:22]
	ds_cmpstore_rtn_b64 v[34:35], v33, v[34:35], v[25:26] offset:8
	s_waitcnt lgkmcnt(0)
	v_cmp_eq_u64_e32 vcc_lo, v[34:35], v[25:26]
	v_dual_mov_b32 v25, v34 :: v_dual_mov_b32 v26, v35
	s_or_b32 s23, vcc_lo, s23
	s_delay_alu instid0(SALU_CYCLE_1)
	s_and_not1_b32 exec_lo, exec_lo, s23
	s_cbranch_execnz .LBB154_25
; %bb.26:                               ;   in Loop: Header=BB154_17 Depth=3
	s_or_b32 exec_lo, exec_lo, s23
	s_delay_alu instid0(SALU_CYCLE_1)
	s_xor_b32 s23, exec_lo, -1
.LBB154_27:                             ;   in Loop: Header=BB154_17 Depth=3
	s_or_b32 exec_lo, exec_lo, s22
	s_delay_alu instid0(SALU_CYCLE_1) | instskip(SKIP_1) | instid1(SALU_CYCLE_1)
	s_and_not1_b32 s20, s20, exec_lo
	s_and_b32 s22, s23, exec_lo
	s_or_b32 s20, s20, s22
.LBB154_28:                             ;   in Loop: Header=BB154_17 Depth=3
	s_or_b32 exec_lo, exec_lo, s21
	s_delay_alu instid0(SALU_CYCLE_1)
	s_and_b32 s20, s20, exec_lo
.LBB154_29:                             ;   in Loop: Header=BB154_17 Depth=3
	s_and_not1_saveexec_b32 s19, s19
	s_cbranch_execz .LBB154_16
; %bb.30:                               ;   in Loop: Header=BB154_17 Depth=3
	v_lshlrev_b32_e32 v25, 4, v32
	s_mov_b32 s21, 0
	s_delay_alu instid0(VALU_DEP_1)
	v_add3_u32 v33, 0, v25, 0x20000
	ds_load_b64 v[25:26], v33
.LBB154_31:                             ;   Parent Loop BB154_12 Depth=1
                                        ;     Parent Loop BB154_15 Depth=2
                                        ;       Parent Loop BB154_17 Depth=3
                                        ; =>      This Inner Loop Header: Depth=4
	s_waitcnt lgkmcnt(0)
	v_add_f64 v[34:35], v[25:26], v[19:20]
	ds_cmpstore_rtn_b64 v[34:35], v33, v[34:35], v[25:26]
	s_waitcnt lgkmcnt(0)
	v_cmp_eq_u64_e32 vcc_lo, v[34:35], v[25:26]
	v_dual_mov_b32 v25, v34 :: v_dual_mov_b32 v26, v35
	s_or_b32 s21, vcc_lo, s21
	s_delay_alu instid0(SALU_CYCLE_1)
	s_and_not1_b32 exec_lo, exec_lo, s21
	s_cbranch_execnz .LBB154_31
; %bb.32:                               ;   in Loop: Header=BB154_17 Depth=3
	s_or_b32 exec_lo, exec_lo, s21
	ds_load_b64 v[25:26], v33 offset:8
	s_mov_b32 s21, 0
.LBB154_33:                             ;   Parent Loop BB154_12 Depth=1
                                        ;     Parent Loop BB154_15 Depth=2
                                        ;       Parent Loop BB154_17 Depth=3
                                        ; =>      This Inner Loop Header: Depth=4
	s_waitcnt lgkmcnt(0)
	v_add_f64 v[34:35], v[25:26], v[21:22]
	ds_cmpstore_rtn_b64 v[34:35], v33, v[34:35], v[25:26] offset:8
	s_waitcnt lgkmcnt(0)
	v_cmp_eq_u64_e32 vcc_lo, v[34:35], v[25:26]
	v_dual_mov_b32 v25, v34 :: v_dual_mov_b32 v26, v35
	s_or_b32 s21, vcc_lo, s21
	s_delay_alu instid0(SALU_CYCLE_1)
	s_and_not1_b32 exec_lo, exec_lo, s21
	s_cbranch_execnz .LBB154_33
; %bb.34:                               ;   in Loop: Header=BB154_17 Depth=3
	s_or_b32 exec_lo, exec_lo, s21
	s_delay_alu instid0(SALU_CYCLE_1)
	s_and_not1_b32 s20, s20, exec_lo
	s_branch .LBB154_16
.LBB154_35:
	s_or_b32 exec_lo, exec_lo, s2
.LBB154_36:
	s_delay_alu instid0(SALU_CYCLE_1)
	s_and_not1_b32 vcc_lo, exec_lo, s3
	s_cbranch_vccnz .LBB154_61
; %bb.37:
	s_waitcnt lgkmcnt(0)
	s_lshl_b64 s[0:1], s[50:51], 3
	v_sub_co_u32 v5, s4, v0, s47
	s_add_u32 s0, s36, s0
	s_addc_u32 s1, s37, s1
	v_sub_co_ci_u32_e64 v6, null, 0, 0, s4
	s_load_b128 s[0:3], s[0:1], 0x0
	s_waitcnt lgkmcnt(0)
	v_add_co_u32 v5, vcc_lo, s0, v5
	s_delay_alu instid0(VALU_DEP_2)
	v_add_co_ci_u32_e32 v6, vcc_lo, s1, v6, vcc_lo
	s_sub_u32 s0, s2, s47
	s_subb_u32 s1, s3, 0
	s_mov_b32 s2, 0
	s_mov_b32 s3, exec_lo
	v_cmpx_gt_i64_e64 s[0:1], v[5:6]
	s_cbranch_execz .LBB154_60
; %bb.38:
	s_mov_b32 s4, s47
	s_branch .LBB154_40
.LBB154_39:                             ;   in Loop: Header=BB154_40 Depth=1
	s_or_b32 exec_lo, exec_lo, s5
	v_add_co_u32 v5, vcc_lo, 0x400, v5
	v_add_co_ci_u32_e32 v6, vcc_lo, 0, v6, vcc_lo
	s_delay_alu instid0(VALU_DEP_1) | instskip(SKIP_1) | instid1(SALU_CYCLE_1)
	v_cmp_le_i64_e32 vcc_lo, s[0:1], v[5:6]
	s_or_b32 s2, vcc_lo, s2
	s_and_not1_b32 exec_lo, exec_lo, s2
	s_cbranch_execz .LBB154_60
.LBB154_40:                             ; =>This Loop Header: Depth=1
                                        ;     Child Loop BB154_42 Depth 2
                                        ;       Child Loop BB154_48 Depth 3
                                        ;       Child Loop BB154_50 Depth 3
	;; [unrolled: 1-line block ×4, first 2 shown]
	v_lshlrev_b64 v[7:8], 4, v[5:6]
	s_mov_b32 s5, 0
	s_delay_alu instid0(VALU_DEP_1) | instskip(NEXT) | instid1(VALU_DEP_2)
	v_add_co_u32 v7, vcc_lo, s40, v7
	v_add_co_ci_u32_e32 v8, vcc_lo, s41, v8, vcc_lo
	global_load_b128 v[9:12], v[7:8], off
	v_lshlrev_b64 v[7:8], 3, v[5:6]
	s_delay_alu instid0(VALU_DEP_1) | instskip(NEXT) | instid1(VALU_DEP_2)
	v_add_co_u32 v7, vcc_lo, s38, v7
	v_add_co_ci_u32_e32 v8, vcc_lo, s39, v8, vcc_lo
	global_load_b64 v[13:14], v[7:8], off
	s_waitcnt vmcnt(1)
	v_mul_f64 v[7:8], v[11:12], -v[1:2]
	v_mul_f64 v[11:12], v[3:4], v[11:12]
	s_delay_alu instid0(VALU_DEP_2) | instskip(NEXT) | instid1(VALU_DEP_2)
	v_fma_f64 v[7:8], v[3:4], v[9:10], v[7:8]
	v_fma_f64 v[9:10], v[1:2], v[9:10], v[11:12]
	s_waitcnt vmcnt(0)
	v_sub_co_u32 v11, vcc_lo, v13, s4
	v_subrev_co_ci_u32_e32 v12, vcc_lo, 0, v14, vcc_lo
	s_delay_alu instid0(VALU_DEP_2) | instskip(NEXT) | instid1(VALU_DEP_1)
	v_mul_lo_u32 v13, 0x89, v11
	v_and_b32_e32 v15, 0x3fff, v13
	s_branch .LBB154_42
.LBB154_41:                             ;   in Loop: Header=BB154_42 Depth=2
	s_or_b32 exec_lo, exec_lo, s6
	s_xor_b32 s6, s7, -1
	s_delay_alu instid0(SALU_CYCLE_1) | instskip(NEXT) | instid1(SALU_CYCLE_1)
	s_and_b32 s6, exec_lo, s6
	s_or_b32 s5, s6, s5
	s_delay_alu instid0(SALU_CYCLE_1)
	s_and_not1_b32 exec_lo, exec_lo, s5
	s_cbranch_execz .LBB154_39
.LBB154_42:                             ;   Parent Loop BB154_40 Depth=1
                                        ; =>  This Loop Header: Depth=2
                                        ;       Child Loop BB154_48 Depth 3
                                        ;       Child Loop BB154_50 Depth 3
	;; [unrolled: 1-line block ×4, first 2 shown]
	s_delay_alu instid0(VALU_DEP_1)
	v_lshl_add_u32 v16, v15, 3, 0
	s_mov_b32 s6, exec_lo
                                        ; implicit-def: $sgpr7
	ds_load_b64 v[13:14], v16
	s_waitcnt lgkmcnt(0)
	v_cmpx_ne_u64_e64 v[13:14], v[11:12]
	s_xor_b32 s6, exec_lo, s6
	s_cbranch_execz .LBB154_54
; %bb.43:                               ;   in Loop: Header=BB154_42 Depth=2
	s_mov_b32 s8, exec_lo
                                        ; implicit-def: $sgpr7
	v_cmpx_ne_u64_e64 s[48:49], v[13:14]
	s_xor_b32 s8, exec_lo, s8
; %bb.44:                               ;   in Loop: Header=BB154_42 Depth=2
	v_add_nc_u32_e32 v13, 1, v15
	s_mov_b32 s7, -1
                                        ; implicit-def: $vgpr16
	s_delay_alu instid0(VALU_DEP_1)
	v_and_b32_e32 v15, 0x3fff, v13
; %bb.45:                               ;   in Loop: Header=BB154_42 Depth=2
	s_and_not1_saveexec_b32 s8, s8
	s_cbranch_execz .LBB154_53
; %bb.46:                               ;   in Loop: Header=BB154_42 Depth=2
	v_dual_mov_b32 v13, s48 :: v_dual_mov_b32 v14, s49
	s_mov_b32 s10, -1
	s_mov_b32 s9, exec_lo
	ds_cmpstore_rtn_b64 v[13:14], v16, v[11:12], v[13:14]
	s_waitcnt lgkmcnt(0)
	v_cmpx_eq_u64_e64 s[48:49], v[13:14]
	s_cbranch_execz .LBB154_52
; %bb.47:                               ;   in Loop: Header=BB154_42 Depth=2
	v_lshlrev_b32_e32 v13, 4, v15
	s_mov_b32 s10, 0
	s_delay_alu instid0(VALU_DEP_1)
	v_add3_u32 v16, 0, v13, 0x20000
	ds_load_b64 v[13:14], v16
.LBB154_48:                             ;   Parent Loop BB154_40 Depth=1
                                        ;     Parent Loop BB154_42 Depth=2
                                        ; =>    This Inner Loop Header: Depth=3
	s_waitcnt lgkmcnt(0)
	v_add_f64 v[17:18], v[13:14], v[7:8]
	ds_cmpstore_rtn_b64 v[17:18], v16, v[17:18], v[13:14]
	s_waitcnt lgkmcnt(0)
	v_cmp_eq_u64_e32 vcc_lo, v[17:18], v[13:14]
	v_dual_mov_b32 v13, v17 :: v_dual_mov_b32 v14, v18
	s_or_b32 s10, vcc_lo, s10
	s_delay_alu instid0(SALU_CYCLE_1)
	s_and_not1_b32 exec_lo, exec_lo, s10
	s_cbranch_execnz .LBB154_48
; %bb.49:                               ;   in Loop: Header=BB154_42 Depth=2
	s_or_b32 exec_lo, exec_lo, s10
	ds_load_b64 v[13:14], v16 offset:8
	s_mov_b32 s10, 0
.LBB154_50:                             ;   Parent Loop BB154_40 Depth=1
                                        ;     Parent Loop BB154_42 Depth=2
                                        ; =>    This Inner Loop Header: Depth=3
	s_waitcnt lgkmcnt(0)
	v_add_f64 v[17:18], v[13:14], v[9:10]
	ds_cmpstore_rtn_b64 v[17:18], v16, v[17:18], v[13:14] offset:8
	s_waitcnt lgkmcnt(0)
	v_cmp_eq_u64_e32 vcc_lo, v[17:18], v[13:14]
	v_dual_mov_b32 v13, v17 :: v_dual_mov_b32 v14, v18
	s_or_b32 s10, vcc_lo, s10
	s_delay_alu instid0(SALU_CYCLE_1)
	s_and_not1_b32 exec_lo, exec_lo, s10
	s_cbranch_execnz .LBB154_50
; %bb.51:                               ;   in Loop: Header=BB154_42 Depth=2
	s_or_b32 exec_lo, exec_lo, s10
	s_delay_alu instid0(SALU_CYCLE_1)
	s_xor_b32 s10, exec_lo, -1
.LBB154_52:                             ;   in Loop: Header=BB154_42 Depth=2
	s_or_b32 exec_lo, exec_lo, s9
	s_delay_alu instid0(SALU_CYCLE_1) | instskip(SKIP_1) | instid1(SALU_CYCLE_1)
	s_and_not1_b32 s7, s7, exec_lo
	s_and_b32 s9, s10, exec_lo
	s_or_b32 s7, s7, s9
.LBB154_53:                             ;   in Loop: Header=BB154_42 Depth=2
	s_or_b32 exec_lo, exec_lo, s8
	s_delay_alu instid0(SALU_CYCLE_1)
	s_and_b32 s7, s7, exec_lo
.LBB154_54:                             ;   in Loop: Header=BB154_42 Depth=2
	s_and_not1_saveexec_b32 s6, s6
	s_cbranch_execz .LBB154_41
; %bb.55:                               ;   in Loop: Header=BB154_42 Depth=2
	v_lshlrev_b32_e32 v13, 4, v15
	s_mov_b32 s8, 0
	s_delay_alu instid0(VALU_DEP_1)
	v_add3_u32 v16, 0, v13, 0x20000
	ds_load_b64 v[13:14], v16
.LBB154_56:                             ;   Parent Loop BB154_40 Depth=1
                                        ;     Parent Loop BB154_42 Depth=2
                                        ; =>    This Inner Loop Header: Depth=3
	s_waitcnt lgkmcnt(0)
	v_add_f64 v[17:18], v[13:14], v[7:8]
	ds_cmpstore_rtn_b64 v[17:18], v16, v[17:18], v[13:14]
	s_waitcnt lgkmcnt(0)
	v_cmp_eq_u64_e32 vcc_lo, v[17:18], v[13:14]
	v_dual_mov_b32 v13, v17 :: v_dual_mov_b32 v14, v18
	s_or_b32 s8, vcc_lo, s8
	s_delay_alu instid0(SALU_CYCLE_1)
	s_and_not1_b32 exec_lo, exec_lo, s8
	s_cbranch_execnz .LBB154_56
; %bb.57:                               ;   in Loop: Header=BB154_42 Depth=2
	s_or_b32 exec_lo, exec_lo, s8
	ds_load_b64 v[13:14], v16 offset:8
	s_mov_b32 s8, 0
.LBB154_58:                             ;   Parent Loop BB154_40 Depth=1
                                        ;     Parent Loop BB154_42 Depth=2
                                        ; =>    This Inner Loop Header: Depth=3
	s_waitcnt lgkmcnt(0)
	v_add_f64 v[17:18], v[13:14], v[9:10]
	ds_cmpstore_rtn_b64 v[17:18], v16, v[17:18], v[13:14] offset:8
	s_waitcnt lgkmcnt(0)
	v_cmp_eq_u64_e32 vcc_lo, v[17:18], v[13:14]
	v_dual_mov_b32 v13, v17 :: v_dual_mov_b32 v14, v18
	s_or_b32 s8, vcc_lo, s8
	s_delay_alu instid0(SALU_CYCLE_1)
	s_and_not1_b32 exec_lo, exec_lo, s8
	s_cbranch_execnz .LBB154_58
; %bb.59:                               ;   in Loop: Header=BB154_42 Depth=2
	s_or_b32 exec_lo, exec_lo, s8
	s_delay_alu instid0(SALU_CYCLE_1)
	s_and_not1_b32 s7, s7, exec_lo
	s_branch .LBB154_41
.LBB154_60:
	s_or_b32 exec_lo, exec_lo, s3
.LBB154_61:
	v_mbcnt_lo_u32_b32 v1, -1, 0
	v_lshrrev_b32_e32 v2, 2, v0
	s_add_i32 s71, 0, 0x600f8
	v_cmp_eq_u32_e32 vcc_lo, 0x3ff, v0
	v_cmp_lt_u32_e64 s0, 31, v0
	v_xor_b32_e32 v1, 63, v1
	v_dual_mov_b32 v12, s71 :: v_dual_and_b32 v3, 0xf8, v2
	v_cmp_lt_u32_e64 s1, 63, v0
	v_cmp_lt_u32_e64 s2, 0x5f, v0
	s_delay_alu instid0(VALU_DEP_4) | instskip(NEXT) | instid1(VALU_DEP_4)
	v_lshrrev_b64 v[1:2], v1, -1
	v_add3_u32 v10, 0, 0x60000, v3
	v_dual_mov_b32 v2, 0 :: v_dual_mov_b32 v5, 0
	v_cmp_lt_u32_e64 s3, 0x7f, v0
	v_cmp_lt_u32_e64 s4, 0x9f, v0
	;; [unrolled: 1-line block ×28, first 2 shown]
	v_add3_u32 v11, v29, 0, 0x20000
	v_mov_b32_e32 v3, 0
	s_mov_b32 s36, 0
	s_add_i32 s37, 0, 0x60000
	s_add_i32 s38, 0, 0x60008
	;; [unrolled: 1-line block ×31, first 2 shown]
	s_waitcnt lgkmcnt(0)
	s_barrier
	buffer_gl0_inv
	s_branch .LBB154_63
.LBB154_62:                             ;   in Loop: Header=BB154_63 Depth=1
	s_or_b32 exec_lo, exec_lo, s31
	s_waitcnt lgkmcnt(0)
	s_barrier
	buffer_gl0_inv
	ds_load_b64 v[6:7], v12
	v_add_nc_u32_e32 v27, 0x400, v27
	v_add_nc_u32_e32 v11, 0x4000, v11
	;; [unrolled: 1-line block ×3, first 2 shown]
	s_delay_alu instid0(VALU_DEP_3) | instskip(NEXT) | instid1(VALU_DEP_1)
	v_cmp_lt_u32_e64 s31, 0x3bff, v27
	s_or_b32 s36, s31, s36
	s_waitcnt lgkmcnt(0)
	v_add_co_u32 v2, s33, v6, v2
	s_delay_alu instid0(VALU_DEP_1)
	v_add_co_ci_u32_e64 v3, s33, v7, v3, s33
	s_and_not1_b32 exec_lo, exec_lo, s36
	s_cbranch_execz .LBB154_129
.LBB154_63:                             ; =>This Inner Loop Header: Depth=1
	ds_load_b64 v[6:7], v28
	ds_load_2addr_b64 v[13:16], v11 offset1:1
	s_waitcnt lgkmcnt(1)
	v_cmp_gt_i64_e64 s31, s[48:49], v[6:7]
	s_waitcnt lgkmcnt(0)
	scratch_store_b128 off, v[13:16], off
	s_waitcnt_vscnt null, 0x0
	s_barrier
	buffer_gl0_inv
	v_and_b32_e32 v8, s31, v1
	s_bcnt1_i32_b32 s33, s31
	s_delay_alu instid0(SALU_CYCLE_1) | instskip(NEXT) | instid1(VALU_DEP_2)
	v_mov_b32_e32 v4, s33
	v_bcnt_u32_b32 v8, v8, 0
	ds_store_b64 v10, v[4:5]
	s_waitcnt lgkmcnt(0)
	s_barrier
	buffer_gl0_inv
	s_and_saveexec_b32 s33, s0
	s_cbranch_execnz .LBB154_96
; %bb.64:                               ;   in Loop: Header=BB154_63 Depth=1
	s_or_b32 exec_lo, exec_lo, s33
	s_and_saveexec_b32 s33, s1
	s_cbranch_execnz .LBB154_97
.LBB154_65:                             ;   in Loop: Header=BB154_63 Depth=1
	s_or_b32 exec_lo, exec_lo, s33
	s_and_saveexec_b32 s33, s2
	s_cbranch_execnz .LBB154_98
.LBB154_66:                             ;   in Loop: Header=BB154_63 Depth=1
	s_or_b32 exec_lo, exec_lo, s33
	s_and_saveexec_b32 s33, s3
	s_cbranch_execnz .LBB154_99
.LBB154_67:                             ;   in Loop: Header=BB154_63 Depth=1
	s_or_b32 exec_lo, exec_lo, s33
	s_and_saveexec_b32 s33, s4
	s_cbranch_execnz .LBB154_100
.LBB154_68:                             ;   in Loop: Header=BB154_63 Depth=1
	s_or_b32 exec_lo, exec_lo, s33
	s_and_saveexec_b32 s33, s5
	s_cbranch_execnz .LBB154_101
.LBB154_69:                             ;   in Loop: Header=BB154_63 Depth=1
	s_or_b32 exec_lo, exec_lo, s33
	s_and_saveexec_b32 s33, s6
	s_cbranch_execnz .LBB154_102
.LBB154_70:                             ;   in Loop: Header=BB154_63 Depth=1
	s_or_b32 exec_lo, exec_lo, s33
	s_and_saveexec_b32 s33, s7
	s_cbranch_execnz .LBB154_103
.LBB154_71:                             ;   in Loop: Header=BB154_63 Depth=1
	s_or_b32 exec_lo, exec_lo, s33
	s_and_saveexec_b32 s33, s8
	s_cbranch_execnz .LBB154_104
.LBB154_72:                             ;   in Loop: Header=BB154_63 Depth=1
	s_or_b32 exec_lo, exec_lo, s33
	s_and_saveexec_b32 s33, s9
	s_cbranch_execnz .LBB154_105
.LBB154_73:                             ;   in Loop: Header=BB154_63 Depth=1
	s_or_b32 exec_lo, exec_lo, s33
	s_and_saveexec_b32 s33, s10
	s_cbranch_execnz .LBB154_106
.LBB154_74:                             ;   in Loop: Header=BB154_63 Depth=1
	s_or_b32 exec_lo, exec_lo, s33
	s_and_saveexec_b32 s33, s11
	s_cbranch_execnz .LBB154_107
.LBB154_75:                             ;   in Loop: Header=BB154_63 Depth=1
	s_or_b32 exec_lo, exec_lo, s33
	s_and_saveexec_b32 s33, s12
	s_cbranch_execnz .LBB154_108
.LBB154_76:                             ;   in Loop: Header=BB154_63 Depth=1
	s_or_b32 exec_lo, exec_lo, s33
	s_and_saveexec_b32 s33, s13
	s_cbranch_execnz .LBB154_109
.LBB154_77:                             ;   in Loop: Header=BB154_63 Depth=1
	s_or_b32 exec_lo, exec_lo, s33
	s_and_saveexec_b32 s33, s14
	s_cbranch_execnz .LBB154_110
.LBB154_78:                             ;   in Loop: Header=BB154_63 Depth=1
	s_or_b32 exec_lo, exec_lo, s33
	s_and_saveexec_b32 s33, s15
	s_cbranch_execnz .LBB154_111
.LBB154_79:                             ;   in Loop: Header=BB154_63 Depth=1
	s_or_b32 exec_lo, exec_lo, s33
	s_and_saveexec_b32 s33, s16
	s_cbranch_execnz .LBB154_112
.LBB154_80:                             ;   in Loop: Header=BB154_63 Depth=1
	s_or_b32 exec_lo, exec_lo, s33
	s_and_saveexec_b32 s33, s17
	s_cbranch_execnz .LBB154_113
.LBB154_81:                             ;   in Loop: Header=BB154_63 Depth=1
	s_or_b32 exec_lo, exec_lo, s33
	s_and_saveexec_b32 s33, s18
	s_cbranch_execnz .LBB154_114
.LBB154_82:                             ;   in Loop: Header=BB154_63 Depth=1
	s_or_b32 exec_lo, exec_lo, s33
	s_and_saveexec_b32 s33, s19
	s_cbranch_execnz .LBB154_115
.LBB154_83:                             ;   in Loop: Header=BB154_63 Depth=1
	s_or_b32 exec_lo, exec_lo, s33
	s_and_saveexec_b32 s33, s20
	s_cbranch_execnz .LBB154_116
.LBB154_84:                             ;   in Loop: Header=BB154_63 Depth=1
	s_or_b32 exec_lo, exec_lo, s33
	s_and_saveexec_b32 s33, s21
	s_cbranch_execnz .LBB154_117
.LBB154_85:                             ;   in Loop: Header=BB154_63 Depth=1
	s_or_b32 exec_lo, exec_lo, s33
	s_and_saveexec_b32 s33, s22
	s_cbranch_execnz .LBB154_118
.LBB154_86:                             ;   in Loop: Header=BB154_63 Depth=1
	s_or_b32 exec_lo, exec_lo, s33
	s_and_saveexec_b32 s33, s23
	s_cbranch_execnz .LBB154_119
.LBB154_87:                             ;   in Loop: Header=BB154_63 Depth=1
	s_or_b32 exec_lo, exec_lo, s33
	s_and_saveexec_b32 s33, s24
	s_cbranch_execnz .LBB154_120
.LBB154_88:                             ;   in Loop: Header=BB154_63 Depth=1
	s_or_b32 exec_lo, exec_lo, s33
	s_and_saveexec_b32 s33, s25
	s_cbranch_execnz .LBB154_121
.LBB154_89:                             ;   in Loop: Header=BB154_63 Depth=1
	s_or_b32 exec_lo, exec_lo, s33
	s_and_saveexec_b32 s33, s26
	s_cbranch_execnz .LBB154_122
.LBB154_90:                             ;   in Loop: Header=BB154_63 Depth=1
	s_or_b32 exec_lo, exec_lo, s33
	s_and_saveexec_b32 s33, s27
	s_cbranch_execnz .LBB154_123
.LBB154_91:                             ;   in Loop: Header=BB154_63 Depth=1
	s_or_b32 exec_lo, exec_lo, s33
	s_and_saveexec_b32 s33, s28
	s_cbranch_execnz .LBB154_124
.LBB154_92:                             ;   in Loop: Header=BB154_63 Depth=1
	s_or_b32 exec_lo, exec_lo, s33
	s_and_saveexec_b32 s33, s29
	s_cbranch_execnz .LBB154_125
.LBB154_93:                             ;   in Loop: Header=BB154_63 Depth=1
	s_or_b32 exec_lo, exec_lo, s33
	s_and_saveexec_b32 s33, s30
	s_cbranch_execnz .LBB154_126
.LBB154_94:                             ;   in Loop: Header=BB154_63 Depth=1
	s_or_b32 exec_lo, exec_lo, s33
	v_ashrrev_i32_e32 v9, 31, v8
	s_and_saveexec_b32 s33, s31
	s_cbranch_execnz .LBB154_127
.LBB154_95:                             ;   in Loop: Header=BB154_63 Depth=1
	s_or_b32 exec_lo, exec_lo, s33
	s_and_saveexec_b32 s31, vcc_lo
	s_cbranch_execz .LBB154_62
	s_branch .LBB154_128
.LBB154_96:                             ;   in Loop: Header=BB154_63 Depth=1
	v_mov_b32_e32 v4, s37
	ds_load_b32 v4, v4
	s_waitcnt lgkmcnt(0)
	v_add_nc_u32_e32 v8, v4, v8
	s_or_b32 exec_lo, exec_lo, s33
	s_and_saveexec_b32 s33, s1
	s_cbranch_execz .LBB154_65
.LBB154_97:                             ;   in Loop: Header=BB154_63 Depth=1
	v_mov_b32_e32 v4, s38
	ds_load_b32 v4, v4
	s_waitcnt lgkmcnt(0)
	v_add_nc_u32_e32 v8, v8, v4
	s_or_b32 exec_lo, exec_lo, s33
	s_and_saveexec_b32 s33, s2
	s_cbranch_execz .LBB154_66
.LBB154_98:                             ;   in Loop: Header=BB154_63 Depth=1
	v_mov_b32_e32 v4, s39
	ds_load_b32 v4, v4
	s_waitcnt lgkmcnt(0)
	v_add_nc_u32_e32 v8, v8, v4
	s_or_b32 exec_lo, exec_lo, s33
	s_and_saveexec_b32 s33, s3
	s_cbranch_execz .LBB154_67
.LBB154_99:                             ;   in Loop: Header=BB154_63 Depth=1
	v_mov_b32_e32 v4, s40
	ds_load_b32 v4, v4
	s_waitcnt lgkmcnt(0)
	v_add_nc_u32_e32 v8, v8, v4
	s_or_b32 exec_lo, exec_lo, s33
	s_and_saveexec_b32 s33, s4
	s_cbranch_execz .LBB154_68
.LBB154_100:                            ;   in Loop: Header=BB154_63 Depth=1
	v_mov_b32_e32 v4, s41
	ds_load_b32 v4, v4
	s_waitcnt lgkmcnt(0)
	v_add_nc_u32_e32 v8, v8, v4
	s_or_b32 exec_lo, exec_lo, s33
	s_and_saveexec_b32 s33, s5
	s_cbranch_execz .LBB154_69
.LBB154_101:                            ;   in Loop: Header=BB154_63 Depth=1
	v_mov_b32_e32 v4, s44
	ds_load_b32 v4, v4
	s_waitcnt lgkmcnt(0)
	v_add_nc_u32_e32 v8, v8, v4
	s_or_b32 exec_lo, exec_lo, s33
	s_and_saveexec_b32 s33, s6
	s_cbranch_execz .LBB154_70
.LBB154_102:                            ;   in Loop: Header=BB154_63 Depth=1
	v_mov_b32_e32 v4, s45
	ds_load_b32 v4, v4
	s_waitcnt lgkmcnt(0)
	v_add_nc_u32_e32 v8, v8, v4
	s_or_b32 exec_lo, exec_lo, s33
	s_and_saveexec_b32 s33, s7
	s_cbranch_execz .LBB154_71
.LBB154_103:                            ;   in Loop: Header=BB154_63 Depth=1
	v_mov_b32_e32 v4, s47
	ds_load_b32 v4, v4
	s_waitcnt lgkmcnt(0)
	v_add_nc_u32_e32 v8, v8, v4
	s_or_b32 exec_lo, exec_lo, s33
	s_and_saveexec_b32 s33, s8
	s_cbranch_execz .LBB154_72
.LBB154_104:                            ;   in Loop: Header=BB154_63 Depth=1
	v_mov_b32_e32 v4, s52
	ds_load_b32 v4, v4
	s_waitcnt lgkmcnt(0)
	v_add_nc_u32_e32 v8, v8, v4
	s_or_b32 exec_lo, exec_lo, s33
	s_and_saveexec_b32 s33, s9
	s_cbranch_execz .LBB154_73
.LBB154_105:                            ;   in Loop: Header=BB154_63 Depth=1
	v_mov_b32_e32 v4, s53
	ds_load_b32 v4, v4
	s_waitcnt lgkmcnt(0)
	v_add_nc_u32_e32 v8, v8, v4
	s_or_b32 exec_lo, exec_lo, s33
	s_and_saveexec_b32 s33, s10
	s_cbranch_execz .LBB154_74
.LBB154_106:                            ;   in Loop: Header=BB154_63 Depth=1
	v_mov_b32_e32 v4, s54
	ds_load_b32 v4, v4
	s_waitcnt lgkmcnt(0)
	v_add_nc_u32_e32 v8, v8, v4
	s_or_b32 exec_lo, exec_lo, s33
	s_and_saveexec_b32 s33, s11
	s_cbranch_execz .LBB154_75
.LBB154_107:                            ;   in Loop: Header=BB154_63 Depth=1
	v_mov_b32_e32 v4, s55
	ds_load_b32 v4, v4
	s_waitcnt lgkmcnt(0)
	v_add_nc_u32_e32 v8, v8, v4
	s_or_b32 exec_lo, exec_lo, s33
	s_and_saveexec_b32 s33, s12
	s_cbranch_execz .LBB154_76
.LBB154_108:                            ;   in Loop: Header=BB154_63 Depth=1
	v_mov_b32_e32 v4, s56
	ds_load_b32 v4, v4
	s_waitcnt lgkmcnt(0)
	v_add_nc_u32_e32 v8, v8, v4
	s_or_b32 exec_lo, exec_lo, s33
	s_and_saveexec_b32 s33, s13
	s_cbranch_execz .LBB154_77
.LBB154_109:                            ;   in Loop: Header=BB154_63 Depth=1
	v_mov_b32_e32 v4, s57
	ds_load_b32 v4, v4
	s_waitcnt lgkmcnt(0)
	v_add_nc_u32_e32 v8, v8, v4
	s_or_b32 exec_lo, exec_lo, s33
	s_and_saveexec_b32 s33, s14
	s_cbranch_execz .LBB154_78
.LBB154_110:                            ;   in Loop: Header=BB154_63 Depth=1
	v_mov_b32_e32 v4, s58
	ds_load_b32 v4, v4
	s_waitcnt lgkmcnt(0)
	v_add_nc_u32_e32 v8, v8, v4
	s_or_b32 exec_lo, exec_lo, s33
	s_and_saveexec_b32 s33, s15
	s_cbranch_execz .LBB154_79
.LBB154_111:                            ;   in Loop: Header=BB154_63 Depth=1
	v_mov_b32_e32 v4, s59
	ds_load_b32 v4, v4
	s_waitcnt lgkmcnt(0)
	v_add_nc_u32_e32 v8, v8, v4
	s_or_b32 exec_lo, exec_lo, s33
	s_and_saveexec_b32 s33, s16
	s_cbranch_execz .LBB154_80
.LBB154_112:                            ;   in Loop: Header=BB154_63 Depth=1
	v_mov_b32_e32 v4, s60
	ds_load_b32 v4, v4
	s_waitcnt lgkmcnt(0)
	v_add_nc_u32_e32 v8, v8, v4
	s_or_b32 exec_lo, exec_lo, s33
	s_and_saveexec_b32 s33, s17
	s_cbranch_execz .LBB154_81
.LBB154_113:                            ;   in Loop: Header=BB154_63 Depth=1
	v_mov_b32_e32 v4, s61
	ds_load_b32 v4, v4
	s_waitcnt lgkmcnt(0)
	v_add_nc_u32_e32 v8, v8, v4
	s_or_b32 exec_lo, exec_lo, s33
	s_and_saveexec_b32 s33, s18
	s_cbranch_execz .LBB154_82
.LBB154_114:                            ;   in Loop: Header=BB154_63 Depth=1
	v_mov_b32_e32 v4, s62
	ds_load_b32 v4, v4
	s_waitcnt lgkmcnt(0)
	v_add_nc_u32_e32 v8, v8, v4
	s_or_b32 exec_lo, exec_lo, s33
	s_and_saveexec_b32 s33, s19
	s_cbranch_execz .LBB154_83
.LBB154_115:                            ;   in Loop: Header=BB154_63 Depth=1
	v_mov_b32_e32 v4, s63
	ds_load_b32 v4, v4
	s_waitcnt lgkmcnt(0)
	v_add_nc_u32_e32 v8, v8, v4
	s_or_b32 exec_lo, exec_lo, s33
	s_and_saveexec_b32 s33, s20
	s_cbranch_execz .LBB154_84
.LBB154_116:                            ;   in Loop: Header=BB154_63 Depth=1
	v_mov_b32_e32 v4, s64
	ds_load_b32 v4, v4
	s_waitcnt lgkmcnt(0)
	v_add_nc_u32_e32 v8, v8, v4
	s_or_b32 exec_lo, exec_lo, s33
	s_and_saveexec_b32 s33, s21
	s_cbranch_execz .LBB154_85
.LBB154_117:                            ;   in Loop: Header=BB154_63 Depth=1
	v_mov_b32_e32 v4, s65
	ds_load_b32 v4, v4
	s_waitcnt lgkmcnt(0)
	v_add_nc_u32_e32 v8, v8, v4
	s_or_b32 exec_lo, exec_lo, s33
	s_and_saveexec_b32 s33, s22
	s_cbranch_execz .LBB154_86
.LBB154_118:                            ;   in Loop: Header=BB154_63 Depth=1
	v_mov_b32_e32 v4, s66
	ds_load_b32 v4, v4
	s_waitcnt lgkmcnt(0)
	v_add_nc_u32_e32 v8, v8, v4
	s_or_b32 exec_lo, exec_lo, s33
	s_and_saveexec_b32 s33, s23
	s_cbranch_execz .LBB154_87
.LBB154_119:                            ;   in Loop: Header=BB154_63 Depth=1
	v_mov_b32_e32 v4, s67
	ds_load_b32 v4, v4
	s_waitcnt lgkmcnt(0)
	v_add_nc_u32_e32 v8, v8, v4
	s_or_b32 exec_lo, exec_lo, s33
	s_and_saveexec_b32 s33, s24
	s_cbranch_execz .LBB154_88
.LBB154_120:                            ;   in Loop: Header=BB154_63 Depth=1
	v_mov_b32_e32 v4, s68
	ds_load_b32 v4, v4
	s_waitcnt lgkmcnt(0)
	v_add_nc_u32_e32 v8, v8, v4
	s_or_b32 exec_lo, exec_lo, s33
	s_and_saveexec_b32 s33, s25
	s_cbranch_execz .LBB154_89
.LBB154_121:                            ;   in Loop: Header=BB154_63 Depth=1
	v_mov_b32_e32 v4, s69
	ds_load_b32 v4, v4
	s_waitcnt lgkmcnt(0)
	v_add_nc_u32_e32 v8, v8, v4
	s_or_b32 exec_lo, exec_lo, s33
	s_and_saveexec_b32 s33, s26
	s_cbranch_execz .LBB154_90
.LBB154_122:                            ;   in Loop: Header=BB154_63 Depth=1
	v_mov_b32_e32 v4, s70
	ds_load_b32 v4, v4
	s_waitcnt lgkmcnt(0)
	v_add_nc_u32_e32 v8, v8, v4
	s_or_b32 exec_lo, exec_lo, s33
	s_and_saveexec_b32 s33, s27
	s_cbranch_execz .LBB154_91
.LBB154_123:                            ;   in Loop: Header=BB154_63 Depth=1
	v_mov_b32_e32 v4, s72
	ds_load_b32 v4, v4
	s_waitcnt lgkmcnt(0)
	v_add_nc_u32_e32 v8, v8, v4
	s_or_b32 exec_lo, exec_lo, s33
	s_and_saveexec_b32 s33, s28
	s_cbranch_execz .LBB154_92
.LBB154_124:                            ;   in Loop: Header=BB154_63 Depth=1
	v_mov_b32_e32 v4, s73
	ds_load_b32 v4, v4
	s_waitcnt lgkmcnt(0)
	v_add_nc_u32_e32 v8, v8, v4
	s_or_b32 exec_lo, exec_lo, s33
	s_and_saveexec_b32 s33, s29
	s_cbranch_execz .LBB154_93
.LBB154_125:                            ;   in Loop: Header=BB154_63 Depth=1
	v_mov_b32_e32 v4, s74
	ds_load_b32 v4, v4
	s_waitcnt lgkmcnt(0)
	v_add_nc_u32_e32 v8, v8, v4
	s_or_b32 exec_lo, exec_lo, s33
	s_and_saveexec_b32 s33, s30
	s_cbranch_execz .LBB154_94
.LBB154_126:                            ;   in Loop: Header=BB154_63 Depth=1
	v_mov_b32_e32 v4, s75
	ds_load_b32 v4, v4
	s_waitcnt lgkmcnt(0)
	v_add_nc_u32_e32 v8, v8, v4
	s_or_b32 exec_lo, exec_lo, s33
	s_delay_alu instid0(VALU_DEP_1)
	v_ashrrev_i32_e32 v9, 31, v8
	s_and_saveexec_b32 s33, s31
	s_cbranch_execz .LBB154_95
.LBB154_127:                            ;   in Loop: Header=BB154_63 Depth=1
	scratch_load_b128 v[13:16], off, off
	v_add3_u32 v4, v2, -1, v8
	s_delay_alu instid0(VALU_DEP_1) | instskip(SKIP_1) | instid1(VALU_DEP_2)
	v_lshlrev_b32_e32 v17, 4, v4
	v_lshl_add_u32 v4, v4, 3, 0
	v_add3_u32 v17, 0, v17, 0x20000
	ds_store_b64 v4, v[6:7]
	s_waitcnt vmcnt(0)
	ds_store_2addr_b64 v17, v[13:14], v[15:16] offset1:1
	s_or_b32 exec_lo, exec_lo, s33
	s_and_saveexec_b32 s31, vcc_lo
	s_cbranch_execz .LBB154_62
.LBB154_128:                            ;   in Loop: Header=BB154_63 Depth=1
	v_mov_b32_e32 v4, s71
	ds_store_b64 v4, v[8:9]
	s_branch .LBB154_62
.LBB154_129:
	s_or_b32 exec_lo, exec_lo, s36
	s_lshl_b64 s[0:1], s[50:51], 3
	v_mov_b32_e32 v1, 0
	s_add_u32 s0, s42, s0
	s_addc_u32 s1, s43, s1
	s_mov_b32 s6, exec_lo
	s_load_b128 s[0:3], s[0:1], 0x0
	s_waitcnt lgkmcnt(0)
	s_sub_u32 s4, s2, s0
	s_subb_u32 s5, s3, s1
	s_delay_alu instid0(SALU_CYCLE_1)
	v_cmpx_gt_i64_e64 s[4:5], v[0:1]
	s_cbranch_execz .LBB154_139
; %bb.130:
	s_sub_u32 s8, s0, s46
	s_subb_u32 s9, s1, 0
	s_and_b32 s6, s4, 7
	s_sub_u32 s0, s0, s2
	s_subb_u32 s1, s1, s3
	s_mov_b32 s7, 0
	v_cmp_lt_u64_e64 s12, s[0:1], -7
	s_and_b32 s2, s4, -8
	s_cmp_lg_u64 s[6:7], 0
	s_mov_b32 s3, s5
	s_cselect_b32 s13, -1, 0
	s_mov_b32 s14, s7
	s_branch .LBB154_132
.LBB154_131:                            ;   in Loop: Header=BB154_132 Depth=1
	s_waitcnt lgkmcnt(0)
	v_lshlrev_b32_e32 v2, 4, v0
	v_add_co_u32 v0, vcc_lo, 0x400, v0
	v_add_co_ci_u32_e32 v1, vcc_lo, 0, v1, vcc_lo
	s_delay_alu instid0(VALU_DEP_3) | instskip(NEXT) | instid1(VALU_DEP_2)
	v_add3_u32 v2, 0, v2, 0x20000
	v_cmp_le_i64_e32 vcc_lo, s[4:5], v[0:1]
	ds_load_2addr_b64 v[6:9], v2 offset1:1
	v_lshlrev_b64 v[2:3], 4, v[4:5]
	s_or_b32 s14, vcc_lo, s14
	s_delay_alu instid0(VALU_DEP_1) | instskip(NEXT) | instid1(VALU_DEP_1)
	v_add_co_u32 v2, s0, s34, v2
	v_add_co_ci_u32_e64 v3, s0, s35, v3, s0
	s_waitcnt lgkmcnt(0)
	global_store_b128 v[2:3], v[6:9], off
	s_and_not1_b32 exec_lo, exec_lo, s14
	s_cbranch_execz .LBB154_139
.LBB154_132:                            ; =>This Loop Header: Depth=1
                                        ;     Child Loop BB154_134 Depth 2
                                        ;     Child Loop BB154_138 Depth 2
	v_lshl_add_u32 v2, v0, 3, 0
	v_dual_mov_b32 v4, s8 :: v_dual_mov_b32 v5, s9
	s_and_not1_b32 vcc_lo, exec_lo, s12
	s_mov_b64 s[0:1], 0
	ds_load_b64 v[2:3], v2
	s_cbranch_vccnz .LBB154_136
; %bb.133:                              ;   in Loop: Header=BB154_132 Depth=1
	v_dual_mov_b32 v4, s8 :: v_dual_mov_b32 v5, s9
	s_mov_b64 s[10:11], 0
	s_mov_b32 s1, 0
.LBB154_134:                            ;   Parent Loop BB154_132 Depth=1
                                        ; =>  This Inner Loop Header: Depth=2
	s_delay_alu instid0(SALU_CYCLE_1)
	v_mov_b32_e32 v18, s1
	s_add_u32 s10, s10, 8
	s_addc_u32 s11, s11, 0
	s_add_i32 s1, s1, 64
	s_cmp_eq_u64 s[2:3], s[10:11]
	ds_load_2addr_b64 v[6:9], v18 offset1:1
	ds_load_2addr_b64 v[10:13], v18 offset0:2 offset1:3
	ds_load_2addr_b64 v[14:17], v18 offset0:4 offset1:5
	;; [unrolled: 1-line block ×3, first 2 shown]
	s_waitcnt lgkmcnt(3)
	v_cmp_gt_i64_e32 vcc_lo, v[2:3], v[6:7]
	v_cndmask_b32_e64 v6, 0, 1, vcc_lo
	v_cmp_gt_i64_e32 vcc_lo, v[2:3], v[8:9]
	v_cndmask_b32_e64 v7, 0, 1, vcc_lo
	s_waitcnt lgkmcnt(2)
	v_cmp_gt_i64_e32 vcc_lo, v[2:3], v[10:11]
	v_cndmask_b32_e64 v8, 0, 1, vcc_lo
	v_cmp_gt_i64_e32 vcc_lo, v[2:3], v[12:13]
	v_cndmask_b32_e64 v9, 0, 1, vcc_lo
	s_waitcnt lgkmcnt(1)
	v_cmp_gt_i64_e32 vcc_lo, v[2:3], v[14:15]
	v_cndmask_b32_e64 v10, 0, 1, vcc_lo
	v_add_co_u32 v4, vcc_lo, v4, v6
	v_add_co_ci_u32_e32 v5, vcc_lo, 0, v5, vcc_lo
	v_cmp_gt_i64_e32 vcc_lo, v[2:3], v[16:17]
	s_delay_alu instid0(VALU_DEP_3) | instskip(NEXT) | instid1(VALU_DEP_1)
	v_add_co_u32 v4, s0, v4, v7
	v_add_co_ci_u32_e64 v5, s0, 0, v5, s0
	v_cndmask_b32_e64 v6, 0, 1, vcc_lo
	s_delay_alu instid0(VALU_DEP_3) | instskip(NEXT) | instid1(VALU_DEP_3)
	v_add_co_u32 v4, vcc_lo, v4, v8
	v_add_co_ci_u32_e32 v5, vcc_lo, 0, v5, vcc_lo
	s_waitcnt lgkmcnt(0)
	v_cmp_gt_i64_e32 vcc_lo, v[2:3], v[18:19]
	s_delay_alu instid0(VALU_DEP_3) | instskip(NEXT) | instid1(VALU_DEP_1)
	v_add_co_u32 v4, s0, v4, v9
	v_add_co_ci_u32_e64 v5, s0, 0, v5, s0
	v_cndmask_b32_e64 v7, 0, 1, vcc_lo
	s_delay_alu instid0(VALU_DEP_3) | instskip(NEXT) | instid1(VALU_DEP_3)
	v_add_co_u32 v4, vcc_lo, v4, v10
	v_add_co_ci_u32_e32 v5, vcc_lo, 0, v5, vcc_lo
	v_cmp_gt_i64_e32 vcc_lo, v[2:3], v[20:21]
	s_delay_alu instid0(VALU_DEP_3) | instskip(NEXT) | instid1(VALU_DEP_1)
	v_add_co_u32 v4, s0, v4, v6
	v_add_co_ci_u32_e64 v5, s0, 0, v5, s0
	v_cndmask_b32_e64 v6, 0, 1, vcc_lo
	s_delay_alu instid0(VALU_DEP_3) | instskip(NEXT) | instid1(VALU_DEP_3)
	v_add_co_u32 v4, vcc_lo, v4, v7
	v_add_co_ci_u32_e32 v5, vcc_lo, 0, v5, vcc_lo
	s_delay_alu instid0(VALU_DEP_2) | instskip(NEXT) | instid1(VALU_DEP_2)
	v_add_co_u32 v4, vcc_lo, v4, v6
	v_add_co_ci_u32_e32 v5, vcc_lo, 0, v5, vcc_lo
	s_cbranch_scc0 .LBB154_134
; %bb.135:                              ;   in Loop: Header=BB154_132 Depth=1
	s_mov_b64 s[0:1], s[2:3]
.LBB154_136:                            ;   in Loop: Header=BB154_132 Depth=1
	s_and_not1_b32 vcc_lo, exec_lo, s13
	s_cbranch_vccnz .LBB154_131
; %bb.137:                              ;   in Loop: Header=BB154_132 Depth=1
	s_lshl_b32 s0, s0, 3
	s_delay_alu instid0(SALU_CYCLE_1)
	s_add_i32 s10, s0, 0
	s_mov_b64 s[0:1], s[6:7]
.LBB154_138:                            ;   Parent Loop BB154_132 Depth=1
                                        ; =>  This Inner Loop Header: Depth=2
	v_mov_b32_e32 v6, s10
	s_add_i32 s10, s10, 8
	s_add_u32 s0, s0, -1
	s_addc_u32 s1, s1, -1
	s_delay_alu instid0(SALU_CYCLE_1) | instskip(SKIP_4) | instid1(VALU_DEP_1)
	s_cmp_lg_u64 s[0:1], 0
	ds_load_b64 v[6:7], v6
	s_waitcnt lgkmcnt(0)
	v_cmp_gt_i64_e32 vcc_lo, v[2:3], v[6:7]
	v_cndmask_b32_e64 v6, 0, 1, vcc_lo
	v_add_co_u32 v4, vcc_lo, v4, v6
	v_add_co_ci_u32_e32 v5, vcc_lo, 0, v5, vcc_lo
	s_cbranch_scc1 .LBB154_138
	s_branch .LBB154_131
.LBB154_139:
	s_nop 0
	s_sendmsg sendmsg(MSG_DEALLOC_VGPRS)
	s_endpgm
	.section	.rodata,"a",@progbits
	.p2align	6, 0x0
	.amdhsa_kernel _ZN9rocsparseL41csrgemm_numeric_fill_block_per_row_kernelILj1024ELj64ELj16384ELj137ELj32Ell21rocsparse_complex_numIdEEEvT5_PKS3_S5_NS_24const_host_device_scalarIT6_EEPKT4_S5_PKS7_SB_S5_SD_S8_SB_S5_SD_SB_S5_PS7_21rocsparse_index_base_SF_SF_SF_bbb
		.amdhsa_group_segment_fixed_size 0
		.amdhsa_private_segment_fixed_size 40
		.amdhsa_kernarg_size 172
		.amdhsa_user_sgpr_count 15
		.amdhsa_user_sgpr_dispatch_ptr 0
		.amdhsa_user_sgpr_queue_ptr 0
		.amdhsa_user_sgpr_kernarg_segment_ptr 1
		.amdhsa_user_sgpr_dispatch_id 0
		.amdhsa_user_sgpr_private_segment_size 0
		.amdhsa_wavefront_size32 1
		.amdhsa_uses_dynamic_stack 0
		.amdhsa_enable_private_segment 1
		.amdhsa_system_sgpr_workgroup_id_x 1
		.amdhsa_system_sgpr_workgroup_id_y 0
		.amdhsa_system_sgpr_workgroup_id_z 0
		.amdhsa_system_sgpr_workgroup_info 0
		.amdhsa_system_vgpr_workitem_id 0
		.amdhsa_next_free_vgpr 36
		.amdhsa_next_free_sgpr 76
		.amdhsa_reserve_vcc 1
		.amdhsa_float_round_mode_32 0
		.amdhsa_float_round_mode_16_64 0
		.amdhsa_float_denorm_mode_32 3
		.amdhsa_float_denorm_mode_16_64 3
		.amdhsa_dx10_clamp 1
		.amdhsa_ieee_mode 1
		.amdhsa_fp16_overflow 0
		.amdhsa_workgroup_processor_mode 1
		.amdhsa_memory_ordered 1
		.amdhsa_forward_progress 0
		.amdhsa_shared_vgpr_count 0
		.amdhsa_exception_fp_ieee_invalid_op 0
		.amdhsa_exception_fp_denorm_src 0
		.amdhsa_exception_fp_ieee_div_zero 0
		.amdhsa_exception_fp_ieee_overflow 0
		.amdhsa_exception_fp_ieee_underflow 0
		.amdhsa_exception_fp_ieee_inexact 0
		.amdhsa_exception_int_div_zero 0
	.end_amdhsa_kernel
	.section	.text._ZN9rocsparseL41csrgemm_numeric_fill_block_per_row_kernelILj1024ELj64ELj16384ELj137ELj32Ell21rocsparse_complex_numIdEEEvT5_PKS3_S5_NS_24const_host_device_scalarIT6_EEPKT4_S5_PKS7_SB_S5_SD_S8_SB_S5_SD_SB_S5_PS7_21rocsparse_index_base_SF_SF_SF_bbb,"axG",@progbits,_ZN9rocsparseL41csrgemm_numeric_fill_block_per_row_kernelILj1024ELj64ELj16384ELj137ELj32Ell21rocsparse_complex_numIdEEEvT5_PKS3_S5_NS_24const_host_device_scalarIT6_EEPKT4_S5_PKS7_SB_S5_SD_S8_SB_S5_SD_SB_S5_PS7_21rocsparse_index_base_SF_SF_SF_bbb,comdat
.Lfunc_end154:
	.size	_ZN9rocsparseL41csrgemm_numeric_fill_block_per_row_kernelILj1024ELj64ELj16384ELj137ELj32Ell21rocsparse_complex_numIdEEEvT5_PKS3_S5_NS_24const_host_device_scalarIT6_EEPKT4_S5_PKS7_SB_S5_SD_S8_SB_S5_SD_SB_S5_PS7_21rocsparse_index_base_SF_SF_SF_bbb, .Lfunc_end154-_ZN9rocsparseL41csrgemm_numeric_fill_block_per_row_kernelILj1024ELj64ELj16384ELj137ELj32Ell21rocsparse_complex_numIdEEEvT5_PKS3_S5_NS_24const_host_device_scalarIT6_EEPKT4_S5_PKS7_SB_S5_SD_S8_SB_S5_SD_SB_S5_PS7_21rocsparse_index_base_SF_SF_SF_bbb
                                        ; -- End function
	.section	.AMDGPU.csdata,"",@progbits
; Kernel info:
; codeLenInByte = 5676
; NumSgprs: 78
; NumVgprs: 36
; ScratchSize: 40
; MemoryBound: 0
; FloatMode: 240
; IeeeMode: 1
; LDSByteSize: 0 bytes/workgroup (compile time only)
; SGPRBlocks: 9
; VGPRBlocks: 4
; NumSGPRsForWavesPerEU: 78
; NumVGPRsForWavesPerEU: 36
; Occupancy: 16
; WaveLimiterHint : 1
; COMPUTE_PGM_RSRC2:SCRATCH_EN: 1
; COMPUTE_PGM_RSRC2:USER_SGPR: 15
; COMPUTE_PGM_RSRC2:TRAP_HANDLER: 0
; COMPUTE_PGM_RSRC2:TGID_X_EN: 1
; COMPUTE_PGM_RSRC2:TGID_Y_EN: 0
; COMPUTE_PGM_RSRC2:TGID_Z_EN: 0
; COMPUTE_PGM_RSRC2:TIDIG_COMP_CNT: 0
	.section	.text._ZN9rocsparseL41csrgemm_numeric_fill_block_per_row_kernelILj1024ELj64ELj16384ELj137ELj64Ell21rocsparse_complex_numIdEEEvT5_PKS3_S5_NS_24const_host_device_scalarIT6_EEPKT4_S5_PKS7_SB_S5_SD_S8_SB_S5_SD_SB_S5_PS7_21rocsparse_index_base_SF_SF_SF_bbb,"axG",@progbits,_ZN9rocsparseL41csrgemm_numeric_fill_block_per_row_kernelILj1024ELj64ELj16384ELj137ELj64Ell21rocsparse_complex_numIdEEEvT5_PKS3_S5_NS_24const_host_device_scalarIT6_EEPKT4_S5_PKS7_SB_S5_SD_S8_SB_S5_SD_SB_S5_PS7_21rocsparse_index_base_SF_SF_SF_bbb,comdat
	.globl	_ZN9rocsparseL41csrgemm_numeric_fill_block_per_row_kernelILj1024ELj64ELj16384ELj137ELj64Ell21rocsparse_complex_numIdEEEvT5_PKS3_S5_NS_24const_host_device_scalarIT6_EEPKT4_S5_PKS7_SB_S5_SD_S8_SB_S5_SD_SB_S5_PS7_21rocsparse_index_base_SF_SF_SF_bbb ; -- Begin function _ZN9rocsparseL41csrgemm_numeric_fill_block_per_row_kernelILj1024ELj64ELj16384ELj137ELj64Ell21rocsparse_complex_numIdEEEvT5_PKS3_S5_NS_24const_host_device_scalarIT6_EEPKT4_S5_PKS7_SB_S5_SD_S8_SB_S5_SD_SB_S5_PS7_21rocsparse_index_base_SF_SF_SF_bbb
	.p2align	8
	.type	_ZN9rocsparseL41csrgemm_numeric_fill_block_per_row_kernelILj1024ELj64ELj16384ELj137ELj64Ell21rocsparse_complex_numIdEEEvT5_PKS3_S5_NS_24const_host_device_scalarIT6_EEPKT4_S5_PKS7_SB_S5_SD_S8_SB_S5_SD_SB_S5_PS7_21rocsparse_index_base_SF_SF_SF_bbb,@function
_ZN9rocsparseL41csrgemm_numeric_fill_block_per_row_kernelILj1024ELj64ELj16384ELj137ELj64Ell21rocsparse_complex_numIdEEEvT5_PKS3_S5_NS_24const_host_device_scalarIT6_EEPKT4_S5_PKS7_SB_S5_SD_S8_SB_S5_SD_SB_S5_PS7_21rocsparse_index_base_SF_SF_SF_bbb: ; @_ZN9rocsparseL41csrgemm_numeric_fill_block_per_row_kernelILj1024ELj64ELj16384ELj137ELj64Ell21rocsparse_complex_numIdEEEvT5_PKS3_S5_NS_24const_host_device_scalarIT6_EEPKT4_S5_PKS7_SB_S5_SD_S8_SB_S5_SD_SB_S5_PS7_21rocsparse_index_base_SF_SF_SF_bbb
; %bb.0:
	s_clause 0x3
	s_load_b32 s42, s[0:1], 0xa8
	s_load_b128 s[4:7], s[0:1], 0x18
	s_load_b128 s[28:31], s[0:1], 0x58
	;; [unrolled: 1-line block ×3, first 2 shown]
	v_mov_b32_e32 v1, 0
	v_mov_b32_e32 v2, 0
	s_mov_b32 s40, s15
	s_waitcnt lgkmcnt(0)
	s_bitcmp1_b32 s42, 0
	v_mov_b32_e32 v3, s4
	s_cselect_b32 s33, -1, 0
	s_bitcmp1_b32 s42, 16
	v_dual_mov_b32 v6, v2 :: v_dual_mov_b32 v5, v1
	s_cselect_b32 s2, -1, 0
	v_mov_b32_e32 v4, s5
	s_xor_b32 s41, s2, -1
	v_dual_mov_b32 v9, s28 :: v_dual_mov_b32 v10, s29
	v_cndmask_b32_e64 v7, 0, 1, s41
	s_bitcmp0_b32 s42, 0
	s_clause 0x1
	scratch_store_b64 off, v[3:4], off offset:16
	scratch_store_b64 off, v[9:10], off offset:24
	v_cmp_ne_u32_e32 vcc_lo, 1, v7
	v_dual_mov_b32 v8, v2 :: v_dual_mov_b32 v7, v1
	s_cbranch_scc1 .LBB155_3
; %bb.1:
	s_mov_b64 s[8:9], src_private_base
	s_and_b32 s3, s2, exec_lo
	s_cselect_b32 s3, s9, s5
	s_delay_alu instid0(SALU_CYCLE_1) | instskip(SKIP_2) | instid1(VALU_DEP_2)
	v_dual_mov_b32 v3, 16 :: v_dual_mov_b32 v4, s3
	v_dual_mov_b32 v8, s7 :: v_dual_mov_b32 v7, s6
	s_and_b32 vcc_lo, exec_lo, vcc_lo
	v_cndmask_b32_e64 v3, s4, v3, s2
	flat_load_b64 v[5:6], v[3:4]
	s_cbranch_vccnz .LBB155_3
; %bb.2:
	v_dual_mov_b32 v3, s4 :: v_dual_mov_b32 v4, s5
	flat_load_b64 v[7:8], v[3:4] offset:8
.LBB155_3:
	s_clause 0x4
	s_load_b64 s[34:35], s[0:1], 0x90
	s_load_b256 s[12:19], s[0:1], 0x68
	s_load_b128 s[24:27], s[0:1], 0x48
	s_load_b128 s[36:39], s[0:1], 0x8
	s_load_b256 s[4:11], s[0:1], 0x28
	s_bitcmp1_b32 s42, 8
	v_dual_mov_b32 v4, v2 :: v_dual_mov_b32 v3, v1
	s_cselect_b32 s3, -1, 0
	s_bfe_u32 s42, s42, 0x10008
	s_delay_alu instid0(SALU_CYCLE_1)
	s_cmp_eq_u32 s42, 0
	s_cbranch_scc1 .LBB155_6
; %bb.4:
	s_mov_b64 s[42:43], src_private_base
	s_and_b32 s42, s2, exec_lo
	s_cselect_b32 s42, s43, s29
	s_delay_alu instid0(SALU_CYCLE_1) | instskip(SKIP_1) | instid1(VALU_DEP_1)
	v_dual_mov_b32 v1, 24 :: v_dual_mov_b32 v2, s42
	s_and_not1_b32 vcc_lo, exec_lo, s41
	v_cndmask_b32_e64 v1, s28, v1, s2
	flat_load_b64 v[3:4], v[1:2]
	v_dual_mov_b32 v1, s30 :: v_dual_mov_b32 v2, s31
	s_cbranch_vccnz .LBB155_6
; %bb.5:
	v_dual_mov_b32 v1, s28 :: v_dual_mov_b32 v2, s29
	flat_load_b64 v[1:2], v[1:2] offset:8
.LBB155_6:
	s_load_b64 s[28:29], s[0:1], 0x0
	s_mov_b32 s0, 0
	v_or_b32_e32 v27, 0xfffffc00, v0
	v_lshl_add_u32 v28, v0, 3, 0
	s_mov_b32 s1, s0
	s_delay_alu instid0(SALU_CYCLE_1)
	v_dual_mov_b32 v10, s1 :: v_dual_lshlrev_b32 v29, 4, v0
	s_mov_b32 s30, s0
	s_mov_b32 s31, s0
	v_dual_mov_b32 v11, s30 :: v_dual_mov_b32 v16, v28
	v_dual_mov_b32 v9, s0 :: v_dual_mov_b32 v12, s31
	v_add3_u32 v15, v29, 0, 0x20008
	v_mov_b32_e32 v17, v27
	s_waitcnt lgkmcnt(0)
	v_dual_mov_b32 v13, s28 :: v_dual_mov_b32 v14, s29
.LBB155_7:                              ; =>This Inner Loop Header: Depth=1
	s_delay_alu instid0(VALU_DEP_2)
	v_add_nc_u32_e32 v17, 0x400, v17
	ds_store_b64 v16, v[13:14]
	v_add_nc_u32_e32 v18, -8, v15
	v_add_nc_u32_e32 v15, 0x4000, v15
	v_add_nc_u32_e32 v16, 0x2000, v16
	v_cmp_lt_u32_e32 vcc_lo, 0x3bff, v17
	ds_store_2addr_b64 v18, v[9:10], v[11:12] offset1:1
	s_or_b32 s0, vcc_lo, s0
	s_delay_alu instid0(SALU_CYCLE_1)
	s_and_not1_b32 exec_lo, exec_lo, s0
	s_cbranch_execnz .LBB155_7
; %bb.8:
	s_or_b32 exec_lo, exec_lo, s0
	s_waitcnt vmcnt(0) lgkmcnt(0)
	s_waitcnt_vscnt null, 0x0
	s_barrier
	buffer_gl0_inv
	s_load_b64 s[0:1], s[36:37], 0x0
	s_mov_b32 s41, 0
	v_lshrrev_b32_e32 v30, 6, v0
	s_waitcnt lgkmcnt(0)
	s_lshl_b64 s[0:1], s[0:1], 3
	s_delay_alu instid0(SALU_CYCLE_1) | instskip(SKIP_2) | instid1(SALU_CYCLE_1)
	s_add_u32 s2, s38, s0
	s_addc_u32 s30, s39, s1
	s_lshl_b64 s[0:1], s[40:41], 3
	s_add_u32 s0, s2, s0
	s_addc_u32 s1, s30, s1
	s_and_b32 vcc_lo, exec_lo, s33
	s_load_b64 s[30:31], s[0:1], 0x0
	s_cbranch_vccz .LBB155_36
; %bb.9:
	s_waitcnt lgkmcnt(0)
	s_lshl_b64 s[0:1], s[30:31], 3
	s_mov_b32 s2, exec_lo
	s_add_u32 s0, s4, s0
	s_addc_u32 s1, s5, s1
	s_load_b128 s[36:39], s[0:1], 0x0
	v_sub_co_u32 v9, s0, v30, s20
	s_delay_alu instid0(VALU_DEP_1) | instskip(SKIP_1) | instid1(VALU_DEP_2)
	v_sub_co_ci_u32_e64 v10, null, 0, 0, s0
	s_waitcnt lgkmcnt(0)
	v_add_co_u32 v9, vcc_lo, s36, v9
	s_delay_alu instid0(VALU_DEP_2)
	v_add_co_ci_u32_e32 v10, vcc_lo, s37, v10, vcc_lo
	s_sub_u32 s0, s38, s20
	s_subb_u32 s1, s39, 0
	s_delay_alu instid0(VALU_DEP_1) | instid1(SALU_CYCLE_1)
	v_cmpx_gt_i64_e64 s[0:1], v[9:10]
	s_cbranch_execz .LBB155_35
; %bb.10:
	v_and_b32_e32 v11, 63, v0
	s_mov_b32 s5, s21
	s_delay_alu instid0(VALU_DEP_1) | instskip(NEXT) | instid1(VALU_DEP_1)
	v_sub_co_u32 v31, s4, v11, s21
	v_sub_co_ci_u32_e64 v32, null, 0, 0, s4
	s_mov_b32 s4, 0
	s_branch .LBB155_12
.LBB155_11:                             ;   in Loop: Header=BB155_12 Depth=1
	s_or_b32 exec_lo, exec_lo, s21
	v_add_co_u32 v9, vcc_lo, v9, 16
	v_add_co_ci_u32_e32 v10, vcc_lo, 0, v10, vcc_lo
	s_delay_alu instid0(VALU_DEP_1) | instskip(SKIP_1) | instid1(SALU_CYCLE_1)
	v_cmp_le_i64_e32 vcc_lo, s[0:1], v[9:10]
	s_or_b32 s4, vcc_lo, s4
	s_and_not1_b32 exec_lo, exec_lo, s4
	s_cbranch_execz .LBB155_35
.LBB155_12:                             ; =>This Loop Header: Depth=1
                                        ;     Child Loop BB155_15 Depth 2
                                        ;       Child Loop BB155_17 Depth 3
                                        ;         Child Loop BB155_23 Depth 4
                                        ;         Child Loop BB155_25 Depth 4
	;; [unrolled: 1-line block ×4, first 2 shown]
	v_lshlrev_b64 v[11:12], 3, v[9:10]
	s_mov_b32 s21, exec_lo
	s_delay_alu instid0(VALU_DEP_1) | instskip(NEXT) | instid1(VALU_DEP_2)
	v_add_co_u32 v11, vcc_lo, s6, v11
	v_add_co_ci_u32_e32 v12, vcc_lo, s7, v12, vcc_lo
	global_load_b64 v[11:12], v[11:12], off
	s_waitcnt vmcnt(0)
	v_sub_co_u32 v11, vcc_lo, v11, s20
	v_subrev_co_ci_u32_e32 v12, vcc_lo, 0, v12, vcc_lo
	s_delay_alu instid0(VALU_DEP_1) | instskip(NEXT) | instid1(VALU_DEP_1)
	v_lshlrev_b64 v[11:12], 3, v[11:12]
	v_add_co_u32 v11, vcc_lo, s10, v11
	s_delay_alu instid0(VALU_DEP_2)
	v_add_co_ci_u32_e32 v12, vcc_lo, s11, v12, vcc_lo
	global_load_b128 v[13:16], v[11:12], off
	s_waitcnt vmcnt(0)
	v_sub_co_u32 v11, vcc_lo, v15, s5
	v_subrev_co_ci_u32_e32 v12, vcc_lo, 0, v16, vcc_lo
	v_add_co_u32 v13, vcc_lo, v13, v31
	v_add_co_ci_u32_e32 v14, vcc_lo, v14, v32, vcc_lo
	s_delay_alu instid0(VALU_DEP_1)
	v_cmpx_lt_i64_e64 v[13:14], v[11:12]
	s_cbranch_execz .LBB155_11
; %bb.13:                               ;   in Loop: Header=BB155_12 Depth=1
	v_lshlrev_b64 v[15:16], 4, v[9:10]
	s_mov_b32 s33, 0
	s_delay_alu instid0(VALU_DEP_1) | instskip(NEXT) | instid1(VALU_DEP_2)
	v_add_co_u32 v15, vcc_lo, s8, v15
	v_add_co_ci_u32_e32 v16, vcc_lo, s9, v16, vcc_lo
	global_load_b128 v[17:20], v[15:16], off
	s_waitcnt vmcnt(0)
	v_mul_f64 v[15:16], v[19:20], -v[7:8]
	v_mul_f64 v[19:20], v[5:6], v[19:20]
	s_delay_alu instid0(VALU_DEP_2) | instskip(NEXT) | instid1(VALU_DEP_2)
	v_fma_f64 v[15:16], v[5:6], v[17:18], v[15:16]
	v_fma_f64 v[17:18], v[7:8], v[17:18], v[19:20]
	s_branch .LBB155_15
.LBB155_14:                             ;   in Loop: Header=BB155_15 Depth=2
	s_or_b32 exec_lo, exec_lo, s36
	v_add_co_u32 v13, vcc_lo, v13, 64
	v_add_co_ci_u32_e32 v14, vcc_lo, 0, v14, vcc_lo
	s_delay_alu instid0(VALU_DEP_1) | instskip(SKIP_1) | instid1(SALU_CYCLE_1)
	v_cmp_ge_i64_e32 vcc_lo, v[13:14], v[11:12]
	s_or_b32 s33, vcc_lo, s33
	s_and_not1_b32 exec_lo, exec_lo, s33
	s_cbranch_execz .LBB155_11
.LBB155_15:                             ;   Parent Loop BB155_12 Depth=1
                                        ; =>  This Loop Header: Depth=2
                                        ;       Child Loop BB155_17 Depth 3
                                        ;         Child Loop BB155_23 Depth 4
                                        ;         Child Loop BB155_25 Depth 4
	;; [unrolled: 1-line block ×4, first 2 shown]
	v_lshlrev_b64 v[19:20], 4, v[13:14]
	s_mov_b32 s36, 0
	s_delay_alu instid0(VALU_DEP_1) | instskip(NEXT) | instid1(VALU_DEP_2)
	v_add_co_u32 v19, vcc_lo, s26, v19
	v_add_co_ci_u32_e32 v20, vcc_lo, s27, v20, vcc_lo
	global_load_b128 v[21:24], v[19:20], off
	v_lshlrev_b64 v[19:20], 3, v[13:14]
	s_delay_alu instid0(VALU_DEP_1) | instskip(NEXT) | instid1(VALU_DEP_2)
	v_add_co_u32 v19, vcc_lo, s24, v19
	v_add_co_ci_u32_e32 v20, vcc_lo, s25, v20, vcc_lo
	global_load_b64 v[25:26], v[19:20], off
	s_waitcnt vmcnt(1)
	v_mul_f64 v[19:20], v[23:24], -v[17:18]
	v_mul_f64 v[23:24], v[15:16], v[23:24]
	s_delay_alu instid0(VALU_DEP_2) | instskip(NEXT) | instid1(VALU_DEP_2)
	v_fma_f64 v[19:20], v[15:16], v[21:22], v[19:20]
	v_fma_f64 v[21:22], v[17:18], v[21:22], v[23:24]
	s_waitcnt vmcnt(0)
	v_sub_co_u32 v23, vcc_lo, v25, s5
	v_subrev_co_ci_u32_e32 v24, vcc_lo, 0, v26, vcc_lo
	s_delay_alu instid0(VALU_DEP_2) | instskip(NEXT) | instid1(VALU_DEP_1)
	v_mul_lo_u32 v25, 0x89, v23
	v_and_b32_e32 v33, 0x3fff, v25
	s_branch .LBB155_17
.LBB155_16:                             ;   in Loop: Header=BB155_17 Depth=3
	s_or_b32 exec_lo, exec_lo, s37
	s_xor_b32 s37, s38, -1
	s_delay_alu instid0(SALU_CYCLE_1) | instskip(NEXT) | instid1(SALU_CYCLE_1)
	s_and_b32 s37, exec_lo, s37
	s_or_b32 s36, s37, s36
	s_delay_alu instid0(SALU_CYCLE_1)
	s_and_not1_b32 exec_lo, exec_lo, s36
	s_cbranch_execz .LBB155_14
.LBB155_17:                             ;   Parent Loop BB155_12 Depth=1
                                        ;     Parent Loop BB155_15 Depth=2
                                        ; =>    This Loop Header: Depth=3
                                        ;         Child Loop BB155_23 Depth 4
                                        ;         Child Loop BB155_25 Depth 4
	;; [unrolled: 1-line block ×4, first 2 shown]
	s_delay_alu instid0(VALU_DEP_1)
	v_lshl_add_u32 v34, v33, 3, 0
	s_mov_b32 s37, exec_lo
                                        ; implicit-def: $sgpr38
	ds_load_b64 v[25:26], v34
	s_waitcnt lgkmcnt(0)
	v_cmpx_ne_u64_e64 v[25:26], v[23:24]
	s_xor_b32 s37, exec_lo, s37
	s_cbranch_execz .LBB155_29
; %bb.18:                               ;   in Loop: Header=BB155_17 Depth=3
	s_mov_b32 s39, exec_lo
                                        ; implicit-def: $sgpr38
	v_cmpx_ne_u64_e64 s[28:29], v[25:26]
	s_xor_b32 s39, exec_lo, s39
; %bb.19:                               ;   in Loop: Header=BB155_17 Depth=3
	v_add_nc_u32_e32 v25, 1, v33
	s_mov_b32 s38, -1
                                        ; implicit-def: $vgpr34
	s_delay_alu instid0(VALU_DEP_1)
	v_and_b32_e32 v33, 0x3fff, v25
; %bb.20:                               ;   in Loop: Header=BB155_17 Depth=3
	s_and_not1_saveexec_b32 s39, s39
	s_cbranch_execz .LBB155_28
; %bb.21:                               ;   in Loop: Header=BB155_17 Depth=3
	v_dual_mov_b32 v25, s28 :: v_dual_mov_b32 v26, s29
	s_mov_b32 s41, -1
	s_mov_b32 s40, exec_lo
	ds_cmpstore_rtn_b64 v[25:26], v34, v[23:24], v[25:26]
	s_waitcnt lgkmcnt(0)
	v_cmpx_eq_u64_e64 s[28:29], v[25:26]
	s_cbranch_execz .LBB155_27
; %bb.22:                               ;   in Loop: Header=BB155_17 Depth=3
	v_lshlrev_b32_e32 v25, 4, v33
	s_mov_b32 s41, 0
	s_delay_alu instid0(VALU_DEP_1)
	v_add3_u32 v34, 0, v25, 0x20000
	ds_load_b64 v[25:26], v34
.LBB155_23:                             ;   Parent Loop BB155_12 Depth=1
                                        ;     Parent Loop BB155_15 Depth=2
                                        ;       Parent Loop BB155_17 Depth=3
                                        ; =>      This Inner Loop Header: Depth=4
	s_waitcnt lgkmcnt(0)
	v_add_f64 v[35:36], v[25:26], v[19:20]
	ds_cmpstore_rtn_b64 v[35:36], v34, v[35:36], v[25:26]
	s_waitcnt lgkmcnt(0)
	v_cmp_eq_u64_e32 vcc_lo, v[35:36], v[25:26]
	v_dual_mov_b32 v25, v35 :: v_dual_mov_b32 v26, v36
	s_or_b32 s41, vcc_lo, s41
	s_delay_alu instid0(SALU_CYCLE_1)
	s_and_not1_b32 exec_lo, exec_lo, s41
	s_cbranch_execnz .LBB155_23
; %bb.24:                               ;   in Loop: Header=BB155_17 Depth=3
	s_or_b32 exec_lo, exec_lo, s41
	ds_load_b64 v[25:26], v34 offset:8
	s_mov_b32 s41, 0
.LBB155_25:                             ;   Parent Loop BB155_12 Depth=1
                                        ;     Parent Loop BB155_15 Depth=2
                                        ;       Parent Loop BB155_17 Depth=3
                                        ; =>      This Inner Loop Header: Depth=4
	s_waitcnt lgkmcnt(0)
	v_add_f64 v[35:36], v[25:26], v[21:22]
	ds_cmpstore_rtn_b64 v[35:36], v34, v[35:36], v[25:26] offset:8
	s_waitcnt lgkmcnt(0)
	v_cmp_eq_u64_e32 vcc_lo, v[35:36], v[25:26]
	v_dual_mov_b32 v25, v35 :: v_dual_mov_b32 v26, v36
	s_or_b32 s41, vcc_lo, s41
	s_delay_alu instid0(SALU_CYCLE_1)
	s_and_not1_b32 exec_lo, exec_lo, s41
	s_cbranch_execnz .LBB155_25
; %bb.26:                               ;   in Loop: Header=BB155_17 Depth=3
	s_or_b32 exec_lo, exec_lo, s41
	s_delay_alu instid0(SALU_CYCLE_1)
	s_xor_b32 s41, exec_lo, -1
.LBB155_27:                             ;   in Loop: Header=BB155_17 Depth=3
	s_or_b32 exec_lo, exec_lo, s40
	s_delay_alu instid0(SALU_CYCLE_1) | instskip(SKIP_1) | instid1(SALU_CYCLE_1)
	s_and_not1_b32 s38, s38, exec_lo
	s_and_b32 s40, s41, exec_lo
	s_or_b32 s38, s38, s40
.LBB155_28:                             ;   in Loop: Header=BB155_17 Depth=3
	s_or_b32 exec_lo, exec_lo, s39
	s_delay_alu instid0(SALU_CYCLE_1)
	s_and_b32 s38, s38, exec_lo
.LBB155_29:                             ;   in Loop: Header=BB155_17 Depth=3
	s_and_not1_saveexec_b32 s37, s37
	s_cbranch_execz .LBB155_16
; %bb.30:                               ;   in Loop: Header=BB155_17 Depth=3
	v_lshlrev_b32_e32 v25, 4, v33
	s_mov_b32 s39, 0
	s_delay_alu instid0(VALU_DEP_1)
	v_add3_u32 v34, 0, v25, 0x20000
	ds_load_b64 v[25:26], v34
.LBB155_31:                             ;   Parent Loop BB155_12 Depth=1
                                        ;     Parent Loop BB155_15 Depth=2
                                        ;       Parent Loop BB155_17 Depth=3
                                        ; =>      This Inner Loop Header: Depth=4
	s_waitcnt lgkmcnt(0)
	v_add_f64 v[35:36], v[25:26], v[19:20]
	ds_cmpstore_rtn_b64 v[35:36], v34, v[35:36], v[25:26]
	s_waitcnt lgkmcnt(0)
	v_cmp_eq_u64_e32 vcc_lo, v[35:36], v[25:26]
	v_dual_mov_b32 v25, v35 :: v_dual_mov_b32 v26, v36
	s_or_b32 s39, vcc_lo, s39
	s_delay_alu instid0(SALU_CYCLE_1)
	s_and_not1_b32 exec_lo, exec_lo, s39
	s_cbranch_execnz .LBB155_31
; %bb.32:                               ;   in Loop: Header=BB155_17 Depth=3
	s_or_b32 exec_lo, exec_lo, s39
	ds_load_b64 v[25:26], v34 offset:8
	s_mov_b32 s39, 0
.LBB155_33:                             ;   Parent Loop BB155_12 Depth=1
                                        ;     Parent Loop BB155_15 Depth=2
                                        ;       Parent Loop BB155_17 Depth=3
                                        ; =>      This Inner Loop Header: Depth=4
	s_waitcnt lgkmcnt(0)
	v_add_f64 v[35:36], v[25:26], v[21:22]
	ds_cmpstore_rtn_b64 v[35:36], v34, v[35:36], v[25:26] offset:8
	s_waitcnt lgkmcnt(0)
	v_cmp_eq_u64_e32 vcc_lo, v[35:36], v[25:26]
	v_dual_mov_b32 v25, v35 :: v_dual_mov_b32 v26, v36
	s_or_b32 s39, vcc_lo, s39
	s_delay_alu instid0(SALU_CYCLE_1)
	s_and_not1_b32 exec_lo, exec_lo, s39
	s_cbranch_execnz .LBB155_33
; %bb.34:                               ;   in Loop: Header=BB155_17 Depth=3
	s_or_b32 exec_lo, exec_lo, s39
	s_delay_alu instid0(SALU_CYCLE_1)
	s_and_not1_b32 s38, s38, exec_lo
	s_branch .LBB155_16
.LBB155_35:
	s_or_b32 exec_lo, exec_lo, s2
.LBB155_36:
	s_delay_alu instid0(SALU_CYCLE_1)
	s_and_not1_b32 vcc_lo, exec_lo, s3
	s_cbranch_vccnz .LBB155_61
; %bb.37:
	s_waitcnt lgkmcnt(0)
	s_lshl_b64 s[0:1], s[30:31], 3
	v_sub_co_u32 v5, s4, v0, s23
	s_add_u32 s0, s12, s0
	s_addc_u32 s1, s13, s1
	v_sub_co_ci_u32_e64 v6, null, 0, 0, s4
	s_load_b128 s[0:3], s[0:1], 0x0
	s_waitcnt lgkmcnt(0)
	v_add_co_u32 v5, vcc_lo, s0, v5
	s_delay_alu instid0(VALU_DEP_2)
	v_add_co_ci_u32_e32 v6, vcc_lo, s1, v6, vcc_lo
	s_sub_u32 s0, s2, s23
	s_subb_u32 s1, s3, 0
	s_mov_b32 s2, 0
	s_mov_b32 s3, exec_lo
	v_cmpx_gt_i64_e64 s[0:1], v[5:6]
	s_cbranch_execz .LBB155_60
; %bb.38:
	s_mov_b32 s4, s23
	s_branch .LBB155_40
.LBB155_39:                             ;   in Loop: Header=BB155_40 Depth=1
	s_or_b32 exec_lo, exec_lo, s5
	v_add_co_u32 v5, vcc_lo, 0x400, v5
	v_add_co_ci_u32_e32 v6, vcc_lo, 0, v6, vcc_lo
	s_delay_alu instid0(VALU_DEP_1) | instskip(SKIP_1) | instid1(SALU_CYCLE_1)
	v_cmp_le_i64_e32 vcc_lo, s[0:1], v[5:6]
	s_or_b32 s2, vcc_lo, s2
	s_and_not1_b32 exec_lo, exec_lo, s2
	s_cbranch_execz .LBB155_60
.LBB155_40:                             ; =>This Loop Header: Depth=1
                                        ;     Child Loop BB155_42 Depth 2
                                        ;       Child Loop BB155_48 Depth 3
                                        ;       Child Loop BB155_50 Depth 3
	;; [unrolled: 1-line block ×4, first 2 shown]
	v_lshlrev_b64 v[7:8], 4, v[5:6]
	s_mov_b32 s5, 0
	s_delay_alu instid0(VALU_DEP_1) | instskip(NEXT) | instid1(VALU_DEP_2)
	v_add_co_u32 v7, vcc_lo, s16, v7
	v_add_co_ci_u32_e32 v8, vcc_lo, s17, v8, vcc_lo
	global_load_b128 v[9:12], v[7:8], off
	v_lshlrev_b64 v[7:8], 3, v[5:6]
	s_delay_alu instid0(VALU_DEP_1) | instskip(NEXT) | instid1(VALU_DEP_2)
	v_add_co_u32 v7, vcc_lo, s14, v7
	v_add_co_ci_u32_e32 v8, vcc_lo, s15, v8, vcc_lo
	global_load_b64 v[13:14], v[7:8], off
	s_waitcnt vmcnt(1)
	v_mul_f64 v[7:8], v[11:12], -v[1:2]
	v_mul_f64 v[11:12], v[3:4], v[11:12]
	s_delay_alu instid0(VALU_DEP_2) | instskip(NEXT) | instid1(VALU_DEP_2)
	v_fma_f64 v[7:8], v[3:4], v[9:10], v[7:8]
	v_fma_f64 v[9:10], v[1:2], v[9:10], v[11:12]
	s_waitcnt vmcnt(0)
	v_sub_co_u32 v11, vcc_lo, v13, s4
	v_subrev_co_ci_u32_e32 v12, vcc_lo, 0, v14, vcc_lo
	s_delay_alu instid0(VALU_DEP_2) | instskip(NEXT) | instid1(VALU_DEP_1)
	v_mul_lo_u32 v13, 0x89, v11
	v_and_b32_e32 v15, 0x3fff, v13
	s_branch .LBB155_42
.LBB155_41:                             ;   in Loop: Header=BB155_42 Depth=2
	s_or_b32 exec_lo, exec_lo, s6
	s_xor_b32 s6, s7, -1
	s_delay_alu instid0(SALU_CYCLE_1) | instskip(NEXT) | instid1(SALU_CYCLE_1)
	s_and_b32 s6, exec_lo, s6
	s_or_b32 s5, s6, s5
	s_delay_alu instid0(SALU_CYCLE_1)
	s_and_not1_b32 exec_lo, exec_lo, s5
	s_cbranch_execz .LBB155_39
.LBB155_42:                             ;   Parent Loop BB155_40 Depth=1
                                        ; =>  This Loop Header: Depth=2
                                        ;       Child Loop BB155_48 Depth 3
                                        ;       Child Loop BB155_50 Depth 3
	;; [unrolled: 1-line block ×4, first 2 shown]
	s_delay_alu instid0(VALU_DEP_1)
	v_lshl_add_u32 v16, v15, 3, 0
	s_mov_b32 s6, exec_lo
                                        ; implicit-def: $sgpr7
	ds_load_b64 v[13:14], v16
	s_waitcnt lgkmcnt(0)
	v_cmpx_ne_u64_e64 v[13:14], v[11:12]
	s_xor_b32 s6, exec_lo, s6
	s_cbranch_execz .LBB155_54
; %bb.43:                               ;   in Loop: Header=BB155_42 Depth=2
	s_mov_b32 s8, exec_lo
                                        ; implicit-def: $sgpr7
	v_cmpx_ne_u64_e64 s[28:29], v[13:14]
	s_xor_b32 s8, exec_lo, s8
; %bb.44:                               ;   in Loop: Header=BB155_42 Depth=2
	v_add_nc_u32_e32 v13, 1, v15
	s_mov_b32 s7, -1
                                        ; implicit-def: $vgpr16
	s_delay_alu instid0(VALU_DEP_1)
	v_and_b32_e32 v15, 0x3fff, v13
; %bb.45:                               ;   in Loop: Header=BB155_42 Depth=2
	s_and_not1_saveexec_b32 s8, s8
	s_cbranch_execz .LBB155_53
; %bb.46:                               ;   in Loop: Header=BB155_42 Depth=2
	v_dual_mov_b32 v13, s28 :: v_dual_mov_b32 v14, s29
	s_mov_b32 s10, -1
	s_mov_b32 s9, exec_lo
	ds_cmpstore_rtn_b64 v[13:14], v16, v[11:12], v[13:14]
	s_waitcnt lgkmcnt(0)
	v_cmpx_eq_u64_e64 s[28:29], v[13:14]
	s_cbranch_execz .LBB155_52
; %bb.47:                               ;   in Loop: Header=BB155_42 Depth=2
	v_lshlrev_b32_e32 v13, 4, v15
	s_mov_b32 s10, 0
	s_delay_alu instid0(VALU_DEP_1)
	v_add3_u32 v16, 0, v13, 0x20000
	ds_load_b64 v[13:14], v16
.LBB155_48:                             ;   Parent Loop BB155_40 Depth=1
                                        ;     Parent Loop BB155_42 Depth=2
                                        ; =>    This Inner Loop Header: Depth=3
	s_waitcnt lgkmcnt(0)
	v_add_f64 v[17:18], v[13:14], v[7:8]
	ds_cmpstore_rtn_b64 v[17:18], v16, v[17:18], v[13:14]
	s_waitcnt lgkmcnt(0)
	v_cmp_eq_u64_e32 vcc_lo, v[17:18], v[13:14]
	v_dual_mov_b32 v13, v17 :: v_dual_mov_b32 v14, v18
	s_or_b32 s10, vcc_lo, s10
	s_delay_alu instid0(SALU_CYCLE_1)
	s_and_not1_b32 exec_lo, exec_lo, s10
	s_cbranch_execnz .LBB155_48
; %bb.49:                               ;   in Loop: Header=BB155_42 Depth=2
	s_or_b32 exec_lo, exec_lo, s10
	ds_load_b64 v[13:14], v16 offset:8
	s_mov_b32 s10, 0
.LBB155_50:                             ;   Parent Loop BB155_40 Depth=1
                                        ;     Parent Loop BB155_42 Depth=2
                                        ; =>    This Inner Loop Header: Depth=3
	s_waitcnt lgkmcnt(0)
	v_add_f64 v[17:18], v[13:14], v[9:10]
	ds_cmpstore_rtn_b64 v[17:18], v16, v[17:18], v[13:14] offset:8
	s_waitcnt lgkmcnt(0)
	v_cmp_eq_u64_e32 vcc_lo, v[17:18], v[13:14]
	v_dual_mov_b32 v13, v17 :: v_dual_mov_b32 v14, v18
	s_or_b32 s10, vcc_lo, s10
	s_delay_alu instid0(SALU_CYCLE_1)
	s_and_not1_b32 exec_lo, exec_lo, s10
	s_cbranch_execnz .LBB155_50
; %bb.51:                               ;   in Loop: Header=BB155_42 Depth=2
	s_or_b32 exec_lo, exec_lo, s10
	s_delay_alu instid0(SALU_CYCLE_1)
	s_xor_b32 s10, exec_lo, -1
.LBB155_52:                             ;   in Loop: Header=BB155_42 Depth=2
	s_or_b32 exec_lo, exec_lo, s9
	s_delay_alu instid0(SALU_CYCLE_1) | instskip(SKIP_1) | instid1(SALU_CYCLE_1)
	s_and_not1_b32 s7, s7, exec_lo
	s_and_b32 s9, s10, exec_lo
	s_or_b32 s7, s7, s9
.LBB155_53:                             ;   in Loop: Header=BB155_42 Depth=2
	s_or_b32 exec_lo, exec_lo, s8
	s_delay_alu instid0(SALU_CYCLE_1)
	s_and_b32 s7, s7, exec_lo
.LBB155_54:                             ;   in Loop: Header=BB155_42 Depth=2
	s_and_not1_saveexec_b32 s6, s6
	s_cbranch_execz .LBB155_41
; %bb.55:                               ;   in Loop: Header=BB155_42 Depth=2
	v_lshlrev_b32_e32 v13, 4, v15
	s_mov_b32 s8, 0
	s_delay_alu instid0(VALU_DEP_1)
	v_add3_u32 v16, 0, v13, 0x20000
	ds_load_b64 v[13:14], v16
.LBB155_56:                             ;   Parent Loop BB155_40 Depth=1
                                        ;     Parent Loop BB155_42 Depth=2
                                        ; =>    This Inner Loop Header: Depth=3
	s_waitcnt lgkmcnt(0)
	v_add_f64 v[17:18], v[13:14], v[7:8]
	ds_cmpstore_rtn_b64 v[17:18], v16, v[17:18], v[13:14]
	s_waitcnt lgkmcnt(0)
	v_cmp_eq_u64_e32 vcc_lo, v[17:18], v[13:14]
	v_dual_mov_b32 v13, v17 :: v_dual_mov_b32 v14, v18
	s_or_b32 s8, vcc_lo, s8
	s_delay_alu instid0(SALU_CYCLE_1)
	s_and_not1_b32 exec_lo, exec_lo, s8
	s_cbranch_execnz .LBB155_56
; %bb.57:                               ;   in Loop: Header=BB155_42 Depth=2
	s_or_b32 exec_lo, exec_lo, s8
	ds_load_b64 v[13:14], v16 offset:8
	s_mov_b32 s8, 0
.LBB155_58:                             ;   Parent Loop BB155_40 Depth=1
                                        ;     Parent Loop BB155_42 Depth=2
                                        ; =>    This Inner Loop Header: Depth=3
	s_waitcnt lgkmcnt(0)
	v_add_f64 v[17:18], v[13:14], v[9:10]
	ds_cmpstore_rtn_b64 v[17:18], v16, v[17:18], v[13:14] offset:8
	s_waitcnt lgkmcnt(0)
	v_cmp_eq_u64_e32 vcc_lo, v[17:18], v[13:14]
	v_dual_mov_b32 v13, v17 :: v_dual_mov_b32 v14, v18
	s_or_b32 s8, vcc_lo, s8
	s_delay_alu instid0(SALU_CYCLE_1)
	s_and_not1_b32 exec_lo, exec_lo, s8
	s_cbranch_execnz .LBB155_58
; %bb.59:                               ;   in Loop: Header=BB155_42 Depth=2
	s_or_b32 exec_lo, exec_lo, s8
	s_delay_alu instid0(SALU_CYCLE_1)
	s_and_not1_b32 s7, s7, exec_lo
	s_branch .LBB155_41
.LBB155_60:
	s_or_b32 exec_lo, exec_lo, s3
.LBB155_61:
	v_mbcnt_lo_u32_b32 v1, -1, 0
	v_dual_mov_b32 v5, 0 :: v_dual_lshlrev_b32 v2, 3, v30
	s_add_i32 s39, 0, 0x60078
	v_cmp_eq_u32_e32 vcc_lo, 0x3ff, v0
	s_delay_alu instid0(VALU_DEP_3) | instskip(NEXT) | instid1(VALU_DEP_3)
	v_xor_b32_e32 v1, 63, v1
	v_add3_u32 v10, 0, 0x60000, v2
	v_cmp_lt_u32_e64 s0, 63, v0
	v_cmp_lt_u32_e64 s1, 0x7f, v0
	;; [unrolled: 1-line block ×3, first 2 shown]
	v_lshrrev_b64 v[1:2], v1, -1
	v_mov_b32_e32 v2, 0
	v_cmp_lt_u32_e64 s3, 0xff, v0
	v_cmp_lt_u32_e64 s4, 0x13f, v0
	;; [unrolled: 1-line block ×12, first 2 shown]
	v_add3_u32 v11, v29, 0, 0x20000
	v_dual_mov_b32 v3, 0 :: v_dual_mov_b32 v12, s39
	s_mov_b32 s17, 0
	s_add_i32 s20, 0, 0x60000
	s_add_i32 s21, 0, 0x60008
	;; [unrolled: 1-line block ×15, first 2 shown]
	s_waitcnt lgkmcnt(0)
	s_barrier
	buffer_gl0_inv
	s_branch .LBB155_63
.LBB155_62:                             ;   in Loop: Header=BB155_63 Depth=1
	s_or_b32 exec_lo, exec_lo, s15
	s_waitcnt lgkmcnt(0)
	s_barrier
	buffer_gl0_inv
	ds_load_b64 v[6:7], v12
	v_add_nc_u32_e32 v27, 0x400, v27
	v_add_nc_u32_e32 v11, 0x4000, v11
	;; [unrolled: 1-line block ×3, first 2 shown]
	s_delay_alu instid0(VALU_DEP_3) | instskip(NEXT) | instid1(VALU_DEP_1)
	v_cmp_lt_u32_e64 s15, 0x3bff, v27
	s_or_b32 s17, s15, s17
	s_waitcnt lgkmcnt(0)
	v_add_co_u32 v2, s16, v6, v2
	s_delay_alu instid0(VALU_DEP_1)
	v_add_co_ci_u32_e64 v3, s16, v7, v3, s16
	s_and_not1_b32 exec_lo, exec_lo, s17
	s_cbranch_execz .LBB155_97
.LBB155_63:                             ; =>This Inner Loop Header: Depth=1
	ds_load_b64 v[6:7], v28
	ds_load_2addr_b64 v[13:16], v11 offset1:1
	s_waitcnt lgkmcnt(1)
	v_cmp_gt_i64_e64 s15, s[28:29], v[6:7]
	s_waitcnt lgkmcnt(0)
	scratch_store_b128 off, v[13:16], off
	s_waitcnt_vscnt null, 0x0
	s_barrier
	buffer_gl0_inv
	v_and_b32_e32 v8, s15, v1
	s_bcnt1_i32_b32 s16, s15
	s_delay_alu instid0(SALU_CYCLE_1) | instskip(NEXT) | instid1(VALU_DEP_2)
	v_mov_b32_e32 v4, s16
	v_bcnt_u32_b32 v8, v8, 0
	ds_store_b64 v10, v[4:5]
	s_waitcnt lgkmcnt(0)
	s_barrier
	buffer_gl0_inv
	s_and_saveexec_b32 s16, s0
	s_cbranch_execnz .LBB155_80
; %bb.64:                               ;   in Loop: Header=BB155_63 Depth=1
	s_or_b32 exec_lo, exec_lo, s16
	s_and_saveexec_b32 s16, s1
	s_cbranch_execnz .LBB155_81
.LBB155_65:                             ;   in Loop: Header=BB155_63 Depth=1
	s_or_b32 exec_lo, exec_lo, s16
	s_and_saveexec_b32 s16, s2
	s_cbranch_execnz .LBB155_82
.LBB155_66:                             ;   in Loop: Header=BB155_63 Depth=1
	s_or_b32 exec_lo, exec_lo, s16
	s_and_saveexec_b32 s16, s3
	s_cbranch_execnz .LBB155_83
.LBB155_67:                             ;   in Loop: Header=BB155_63 Depth=1
	s_or_b32 exec_lo, exec_lo, s16
	s_and_saveexec_b32 s16, s4
	s_cbranch_execnz .LBB155_84
.LBB155_68:                             ;   in Loop: Header=BB155_63 Depth=1
	s_or_b32 exec_lo, exec_lo, s16
	s_and_saveexec_b32 s16, s5
	s_cbranch_execnz .LBB155_85
.LBB155_69:                             ;   in Loop: Header=BB155_63 Depth=1
	s_or_b32 exec_lo, exec_lo, s16
	s_and_saveexec_b32 s16, s6
	s_cbranch_execnz .LBB155_86
.LBB155_70:                             ;   in Loop: Header=BB155_63 Depth=1
	s_or_b32 exec_lo, exec_lo, s16
	s_and_saveexec_b32 s16, s7
	s_cbranch_execnz .LBB155_87
.LBB155_71:                             ;   in Loop: Header=BB155_63 Depth=1
	s_or_b32 exec_lo, exec_lo, s16
	s_and_saveexec_b32 s16, s8
	s_cbranch_execnz .LBB155_88
.LBB155_72:                             ;   in Loop: Header=BB155_63 Depth=1
	s_or_b32 exec_lo, exec_lo, s16
	s_and_saveexec_b32 s16, s9
	s_cbranch_execnz .LBB155_89
.LBB155_73:                             ;   in Loop: Header=BB155_63 Depth=1
	s_or_b32 exec_lo, exec_lo, s16
	s_and_saveexec_b32 s16, s10
	s_cbranch_execnz .LBB155_90
.LBB155_74:                             ;   in Loop: Header=BB155_63 Depth=1
	s_or_b32 exec_lo, exec_lo, s16
	s_and_saveexec_b32 s16, s11
	s_cbranch_execnz .LBB155_91
.LBB155_75:                             ;   in Loop: Header=BB155_63 Depth=1
	s_or_b32 exec_lo, exec_lo, s16
	s_and_saveexec_b32 s16, s12
	s_cbranch_execnz .LBB155_92
.LBB155_76:                             ;   in Loop: Header=BB155_63 Depth=1
	s_or_b32 exec_lo, exec_lo, s16
	s_and_saveexec_b32 s16, s13
	s_cbranch_execnz .LBB155_93
.LBB155_77:                             ;   in Loop: Header=BB155_63 Depth=1
	s_or_b32 exec_lo, exec_lo, s16
	s_and_saveexec_b32 s16, s14
	s_cbranch_execnz .LBB155_94
.LBB155_78:                             ;   in Loop: Header=BB155_63 Depth=1
	s_or_b32 exec_lo, exec_lo, s16
	v_ashrrev_i32_e32 v9, 31, v8
	s_and_saveexec_b32 s16, s15
	s_cbranch_execnz .LBB155_95
.LBB155_79:                             ;   in Loop: Header=BB155_63 Depth=1
	s_or_b32 exec_lo, exec_lo, s16
	s_and_saveexec_b32 s15, vcc_lo
	s_cbranch_execz .LBB155_62
	s_branch .LBB155_96
.LBB155_80:                             ;   in Loop: Header=BB155_63 Depth=1
	v_mov_b32_e32 v4, s20
	ds_load_b32 v4, v4
	s_waitcnt lgkmcnt(0)
	v_add_nc_u32_e32 v8, v4, v8
	s_or_b32 exec_lo, exec_lo, s16
	s_and_saveexec_b32 s16, s1
	s_cbranch_execz .LBB155_65
.LBB155_81:                             ;   in Loop: Header=BB155_63 Depth=1
	v_mov_b32_e32 v4, s21
	ds_load_b32 v4, v4
	s_waitcnt lgkmcnt(0)
	v_add_nc_u32_e32 v8, v8, v4
	s_or_b32 exec_lo, exec_lo, s16
	s_and_saveexec_b32 s16, s2
	s_cbranch_execz .LBB155_66
.LBB155_82:                             ;   in Loop: Header=BB155_63 Depth=1
	v_mov_b32_e32 v4, s23
	ds_load_b32 v4, v4
	s_waitcnt lgkmcnt(0)
	v_add_nc_u32_e32 v8, v8, v4
	s_or_b32 exec_lo, exec_lo, s16
	s_and_saveexec_b32 s16, s3
	s_cbranch_execz .LBB155_67
.LBB155_83:                             ;   in Loop: Header=BB155_63 Depth=1
	v_mov_b32_e32 v4, s24
	ds_load_b32 v4, v4
	s_waitcnt lgkmcnt(0)
	v_add_nc_u32_e32 v8, v8, v4
	s_or_b32 exec_lo, exec_lo, s16
	s_and_saveexec_b32 s16, s4
	s_cbranch_execz .LBB155_68
.LBB155_84:                             ;   in Loop: Header=BB155_63 Depth=1
	v_mov_b32_e32 v4, s25
	ds_load_b32 v4, v4
	s_waitcnt lgkmcnt(0)
	v_add_nc_u32_e32 v8, v8, v4
	s_or_b32 exec_lo, exec_lo, s16
	s_and_saveexec_b32 s16, s5
	s_cbranch_execz .LBB155_69
.LBB155_85:                             ;   in Loop: Header=BB155_63 Depth=1
	v_mov_b32_e32 v4, s26
	ds_load_b32 v4, v4
	s_waitcnt lgkmcnt(0)
	v_add_nc_u32_e32 v8, v8, v4
	s_or_b32 exec_lo, exec_lo, s16
	s_and_saveexec_b32 s16, s6
	s_cbranch_execz .LBB155_70
.LBB155_86:                             ;   in Loop: Header=BB155_63 Depth=1
	v_mov_b32_e32 v4, s27
	ds_load_b32 v4, v4
	s_waitcnt lgkmcnt(0)
	v_add_nc_u32_e32 v8, v8, v4
	s_or_b32 exec_lo, exec_lo, s16
	s_and_saveexec_b32 s16, s7
	s_cbranch_execz .LBB155_71
.LBB155_87:                             ;   in Loop: Header=BB155_63 Depth=1
	v_mov_b32_e32 v4, s33
	ds_load_b32 v4, v4
	s_waitcnt lgkmcnt(0)
	v_add_nc_u32_e32 v8, v8, v4
	s_or_b32 exec_lo, exec_lo, s16
	s_and_saveexec_b32 s16, s8
	s_cbranch_execz .LBB155_72
.LBB155_88:                             ;   in Loop: Header=BB155_63 Depth=1
	v_mov_b32_e32 v4, s36
	ds_load_b32 v4, v4
	s_waitcnt lgkmcnt(0)
	v_add_nc_u32_e32 v8, v8, v4
	s_or_b32 exec_lo, exec_lo, s16
	s_and_saveexec_b32 s16, s9
	s_cbranch_execz .LBB155_73
.LBB155_89:                             ;   in Loop: Header=BB155_63 Depth=1
	v_mov_b32_e32 v4, s37
	ds_load_b32 v4, v4
	s_waitcnt lgkmcnt(0)
	v_add_nc_u32_e32 v8, v8, v4
	s_or_b32 exec_lo, exec_lo, s16
	s_and_saveexec_b32 s16, s10
	s_cbranch_execz .LBB155_74
.LBB155_90:                             ;   in Loop: Header=BB155_63 Depth=1
	v_mov_b32_e32 v4, s38
	ds_load_b32 v4, v4
	s_waitcnt lgkmcnt(0)
	v_add_nc_u32_e32 v8, v8, v4
	s_or_b32 exec_lo, exec_lo, s16
	s_and_saveexec_b32 s16, s11
	s_cbranch_execz .LBB155_75
.LBB155_91:                             ;   in Loop: Header=BB155_63 Depth=1
	v_mov_b32_e32 v4, s40
	ds_load_b32 v4, v4
	s_waitcnt lgkmcnt(0)
	v_add_nc_u32_e32 v8, v8, v4
	s_or_b32 exec_lo, exec_lo, s16
	s_and_saveexec_b32 s16, s12
	s_cbranch_execz .LBB155_76
.LBB155_92:                             ;   in Loop: Header=BB155_63 Depth=1
	v_mov_b32_e32 v4, s41
	ds_load_b32 v4, v4
	s_waitcnt lgkmcnt(0)
	v_add_nc_u32_e32 v8, v8, v4
	s_or_b32 exec_lo, exec_lo, s16
	s_and_saveexec_b32 s16, s13
	s_cbranch_execz .LBB155_77
.LBB155_93:                             ;   in Loop: Header=BB155_63 Depth=1
	v_mov_b32_e32 v4, s42
	ds_load_b32 v4, v4
	s_waitcnt lgkmcnt(0)
	v_add_nc_u32_e32 v8, v8, v4
	s_or_b32 exec_lo, exec_lo, s16
	s_and_saveexec_b32 s16, s14
	s_cbranch_execz .LBB155_78
.LBB155_94:                             ;   in Loop: Header=BB155_63 Depth=1
	v_mov_b32_e32 v4, s43
	ds_load_b32 v4, v4
	s_waitcnt lgkmcnt(0)
	v_add_nc_u32_e32 v8, v8, v4
	s_or_b32 exec_lo, exec_lo, s16
	s_delay_alu instid0(VALU_DEP_1)
	v_ashrrev_i32_e32 v9, 31, v8
	s_and_saveexec_b32 s16, s15
	s_cbranch_execz .LBB155_79
.LBB155_95:                             ;   in Loop: Header=BB155_63 Depth=1
	scratch_load_b128 v[13:16], off, off
	v_add3_u32 v4, v2, -1, v8
	s_delay_alu instid0(VALU_DEP_1) | instskip(SKIP_1) | instid1(VALU_DEP_2)
	v_lshlrev_b32_e32 v17, 4, v4
	v_lshl_add_u32 v4, v4, 3, 0
	v_add3_u32 v17, 0, v17, 0x20000
	ds_store_b64 v4, v[6:7]
	s_waitcnt vmcnt(0)
	ds_store_2addr_b64 v17, v[13:14], v[15:16] offset1:1
	s_or_b32 exec_lo, exec_lo, s16
	s_and_saveexec_b32 s15, vcc_lo
	s_cbranch_execz .LBB155_62
.LBB155_96:                             ;   in Loop: Header=BB155_63 Depth=1
	v_mov_b32_e32 v4, s39
	ds_store_b64 v4, v[8:9]
	s_branch .LBB155_62
.LBB155_97:
	s_or_b32 exec_lo, exec_lo, s17
	s_lshl_b64 s[0:1], s[30:31], 3
	v_mov_b32_e32 v1, 0
	s_add_u32 s0, s18, s0
	s_addc_u32 s1, s19, s1
	s_mov_b32 s6, exec_lo
	s_load_b128 s[0:3], s[0:1], 0x0
	s_waitcnt lgkmcnt(0)
	s_sub_u32 s4, s2, s0
	s_subb_u32 s5, s3, s1
	s_delay_alu instid0(SALU_CYCLE_1)
	v_cmpx_gt_i64_e64 s[4:5], v[0:1]
	s_cbranch_execz .LBB155_107
; %bb.98:
	s_sub_u32 s8, s0, s22
	s_subb_u32 s9, s1, 0
	s_and_b32 s6, s4, 7
	s_sub_u32 s0, s0, s2
	s_subb_u32 s1, s1, s3
	s_mov_b32 s7, 0
	v_cmp_lt_u64_e64 s12, s[0:1], -7
	s_and_b32 s2, s4, -8
	s_cmp_lg_u64 s[6:7], 0
	s_mov_b32 s3, s5
	s_cselect_b32 s13, -1, 0
	s_mov_b32 s14, s7
	s_branch .LBB155_100
.LBB155_99:                             ;   in Loop: Header=BB155_100 Depth=1
	s_waitcnt lgkmcnt(0)
	v_lshlrev_b32_e32 v2, 4, v0
	v_add_co_u32 v0, vcc_lo, 0x400, v0
	v_add_co_ci_u32_e32 v1, vcc_lo, 0, v1, vcc_lo
	s_delay_alu instid0(VALU_DEP_3) | instskip(NEXT) | instid1(VALU_DEP_2)
	v_add3_u32 v2, 0, v2, 0x20000
	v_cmp_le_i64_e32 vcc_lo, s[4:5], v[0:1]
	ds_load_2addr_b64 v[6:9], v2 offset1:1
	v_lshlrev_b64 v[2:3], 4, v[4:5]
	s_or_b32 s14, vcc_lo, s14
	s_delay_alu instid0(VALU_DEP_1) | instskip(NEXT) | instid1(VALU_DEP_1)
	v_add_co_u32 v2, s0, s34, v2
	v_add_co_ci_u32_e64 v3, s0, s35, v3, s0
	s_waitcnt lgkmcnt(0)
	global_store_b128 v[2:3], v[6:9], off
	s_and_not1_b32 exec_lo, exec_lo, s14
	s_cbranch_execz .LBB155_107
.LBB155_100:                            ; =>This Loop Header: Depth=1
                                        ;     Child Loop BB155_102 Depth 2
                                        ;     Child Loop BB155_106 Depth 2
	v_lshl_add_u32 v2, v0, 3, 0
	v_dual_mov_b32 v4, s8 :: v_dual_mov_b32 v5, s9
	s_and_not1_b32 vcc_lo, exec_lo, s12
	s_mov_b64 s[0:1], 0
	ds_load_b64 v[2:3], v2
	s_cbranch_vccnz .LBB155_104
; %bb.101:                              ;   in Loop: Header=BB155_100 Depth=1
	v_dual_mov_b32 v4, s8 :: v_dual_mov_b32 v5, s9
	s_mov_b64 s[10:11], 0
	s_mov_b32 s1, 0
.LBB155_102:                            ;   Parent Loop BB155_100 Depth=1
                                        ; =>  This Inner Loop Header: Depth=2
	s_delay_alu instid0(SALU_CYCLE_1)
	v_mov_b32_e32 v18, s1
	s_add_u32 s10, s10, 8
	s_addc_u32 s11, s11, 0
	s_add_i32 s1, s1, 64
	s_cmp_eq_u64 s[2:3], s[10:11]
	ds_load_2addr_b64 v[6:9], v18 offset1:1
	ds_load_2addr_b64 v[10:13], v18 offset0:2 offset1:3
	ds_load_2addr_b64 v[14:17], v18 offset0:4 offset1:5
	;; [unrolled: 1-line block ×3, first 2 shown]
	s_waitcnt lgkmcnt(3)
	v_cmp_gt_i64_e32 vcc_lo, v[2:3], v[6:7]
	v_cndmask_b32_e64 v6, 0, 1, vcc_lo
	v_cmp_gt_i64_e32 vcc_lo, v[2:3], v[8:9]
	v_cndmask_b32_e64 v7, 0, 1, vcc_lo
	s_waitcnt lgkmcnt(2)
	v_cmp_gt_i64_e32 vcc_lo, v[2:3], v[10:11]
	v_cndmask_b32_e64 v8, 0, 1, vcc_lo
	v_cmp_gt_i64_e32 vcc_lo, v[2:3], v[12:13]
	v_cndmask_b32_e64 v9, 0, 1, vcc_lo
	s_waitcnt lgkmcnt(1)
	v_cmp_gt_i64_e32 vcc_lo, v[2:3], v[14:15]
	v_cndmask_b32_e64 v10, 0, 1, vcc_lo
	v_add_co_u32 v4, vcc_lo, v4, v6
	v_add_co_ci_u32_e32 v5, vcc_lo, 0, v5, vcc_lo
	v_cmp_gt_i64_e32 vcc_lo, v[2:3], v[16:17]
	s_delay_alu instid0(VALU_DEP_3) | instskip(NEXT) | instid1(VALU_DEP_1)
	v_add_co_u32 v4, s0, v4, v7
	v_add_co_ci_u32_e64 v5, s0, 0, v5, s0
	v_cndmask_b32_e64 v6, 0, 1, vcc_lo
	s_delay_alu instid0(VALU_DEP_3) | instskip(NEXT) | instid1(VALU_DEP_3)
	v_add_co_u32 v4, vcc_lo, v4, v8
	v_add_co_ci_u32_e32 v5, vcc_lo, 0, v5, vcc_lo
	s_waitcnt lgkmcnt(0)
	v_cmp_gt_i64_e32 vcc_lo, v[2:3], v[18:19]
	s_delay_alu instid0(VALU_DEP_3) | instskip(NEXT) | instid1(VALU_DEP_1)
	v_add_co_u32 v4, s0, v4, v9
	v_add_co_ci_u32_e64 v5, s0, 0, v5, s0
	v_cndmask_b32_e64 v7, 0, 1, vcc_lo
	s_delay_alu instid0(VALU_DEP_3) | instskip(NEXT) | instid1(VALU_DEP_3)
	v_add_co_u32 v4, vcc_lo, v4, v10
	v_add_co_ci_u32_e32 v5, vcc_lo, 0, v5, vcc_lo
	v_cmp_gt_i64_e32 vcc_lo, v[2:3], v[20:21]
	s_delay_alu instid0(VALU_DEP_3) | instskip(NEXT) | instid1(VALU_DEP_1)
	v_add_co_u32 v4, s0, v4, v6
	v_add_co_ci_u32_e64 v5, s0, 0, v5, s0
	v_cndmask_b32_e64 v6, 0, 1, vcc_lo
	s_delay_alu instid0(VALU_DEP_3) | instskip(NEXT) | instid1(VALU_DEP_3)
	v_add_co_u32 v4, vcc_lo, v4, v7
	v_add_co_ci_u32_e32 v5, vcc_lo, 0, v5, vcc_lo
	s_delay_alu instid0(VALU_DEP_2) | instskip(NEXT) | instid1(VALU_DEP_2)
	v_add_co_u32 v4, vcc_lo, v4, v6
	v_add_co_ci_u32_e32 v5, vcc_lo, 0, v5, vcc_lo
	s_cbranch_scc0 .LBB155_102
; %bb.103:                              ;   in Loop: Header=BB155_100 Depth=1
	s_mov_b64 s[0:1], s[2:3]
.LBB155_104:                            ;   in Loop: Header=BB155_100 Depth=1
	s_and_not1_b32 vcc_lo, exec_lo, s13
	s_cbranch_vccnz .LBB155_99
; %bb.105:                              ;   in Loop: Header=BB155_100 Depth=1
	s_lshl_b32 s0, s0, 3
	s_delay_alu instid0(SALU_CYCLE_1)
	s_add_i32 s10, s0, 0
	s_mov_b64 s[0:1], s[6:7]
.LBB155_106:                            ;   Parent Loop BB155_100 Depth=1
                                        ; =>  This Inner Loop Header: Depth=2
	v_mov_b32_e32 v6, s10
	s_add_i32 s10, s10, 8
	s_add_u32 s0, s0, -1
	s_addc_u32 s1, s1, -1
	s_delay_alu instid0(SALU_CYCLE_1) | instskip(SKIP_4) | instid1(VALU_DEP_1)
	s_cmp_lg_u64 s[0:1], 0
	ds_load_b64 v[6:7], v6
	s_waitcnt lgkmcnt(0)
	v_cmp_gt_i64_e32 vcc_lo, v[2:3], v[6:7]
	v_cndmask_b32_e64 v6, 0, 1, vcc_lo
	v_add_co_u32 v4, vcc_lo, v4, v6
	v_add_co_ci_u32_e32 v5, vcc_lo, 0, v5, vcc_lo
	s_cbranch_scc1 .LBB155_106
	s_branch .LBB155_99
.LBB155_107:
	s_nop 0
	s_sendmsg sendmsg(MSG_DEALLOC_VGPRS)
	s_endpgm
	.section	.rodata,"a",@progbits
	.p2align	6, 0x0
	.amdhsa_kernel _ZN9rocsparseL41csrgemm_numeric_fill_block_per_row_kernelILj1024ELj64ELj16384ELj137ELj64Ell21rocsparse_complex_numIdEEEvT5_PKS3_S5_NS_24const_host_device_scalarIT6_EEPKT4_S5_PKS7_SB_S5_SD_S8_SB_S5_SD_SB_S5_PS7_21rocsparse_index_base_SF_SF_SF_bbb
		.amdhsa_group_segment_fixed_size 0
		.amdhsa_private_segment_fixed_size 40
		.amdhsa_kernarg_size 172
		.amdhsa_user_sgpr_count 15
		.amdhsa_user_sgpr_dispatch_ptr 0
		.amdhsa_user_sgpr_queue_ptr 0
		.amdhsa_user_sgpr_kernarg_segment_ptr 1
		.amdhsa_user_sgpr_dispatch_id 0
		.amdhsa_user_sgpr_private_segment_size 0
		.amdhsa_wavefront_size32 1
		.amdhsa_uses_dynamic_stack 0
		.amdhsa_enable_private_segment 1
		.amdhsa_system_sgpr_workgroup_id_x 1
		.amdhsa_system_sgpr_workgroup_id_y 0
		.amdhsa_system_sgpr_workgroup_id_z 0
		.amdhsa_system_sgpr_workgroup_info 0
		.amdhsa_system_vgpr_workitem_id 0
		.amdhsa_next_free_vgpr 37
		.amdhsa_next_free_sgpr 44
		.amdhsa_reserve_vcc 1
		.amdhsa_float_round_mode_32 0
		.amdhsa_float_round_mode_16_64 0
		.amdhsa_float_denorm_mode_32 3
		.amdhsa_float_denorm_mode_16_64 3
		.amdhsa_dx10_clamp 1
		.amdhsa_ieee_mode 1
		.amdhsa_fp16_overflow 0
		.amdhsa_workgroup_processor_mode 1
		.amdhsa_memory_ordered 1
		.amdhsa_forward_progress 0
		.amdhsa_shared_vgpr_count 0
		.amdhsa_exception_fp_ieee_invalid_op 0
		.amdhsa_exception_fp_denorm_src 0
		.amdhsa_exception_fp_ieee_div_zero 0
		.amdhsa_exception_fp_ieee_overflow 0
		.amdhsa_exception_fp_ieee_underflow 0
		.amdhsa_exception_fp_ieee_inexact 0
		.amdhsa_exception_int_div_zero 0
	.end_amdhsa_kernel
	.section	.text._ZN9rocsparseL41csrgemm_numeric_fill_block_per_row_kernelILj1024ELj64ELj16384ELj137ELj64Ell21rocsparse_complex_numIdEEEvT5_PKS3_S5_NS_24const_host_device_scalarIT6_EEPKT4_S5_PKS7_SB_S5_SD_S8_SB_S5_SD_SB_S5_PS7_21rocsparse_index_base_SF_SF_SF_bbb,"axG",@progbits,_ZN9rocsparseL41csrgemm_numeric_fill_block_per_row_kernelILj1024ELj64ELj16384ELj137ELj64Ell21rocsparse_complex_numIdEEEvT5_PKS3_S5_NS_24const_host_device_scalarIT6_EEPKT4_S5_PKS7_SB_S5_SD_S8_SB_S5_SD_SB_S5_PS7_21rocsparse_index_base_SF_SF_SF_bbb,comdat
.Lfunc_end155:
	.size	_ZN9rocsparseL41csrgemm_numeric_fill_block_per_row_kernelILj1024ELj64ELj16384ELj137ELj64Ell21rocsparse_complex_numIdEEEvT5_PKS3_S5_NS_24const_host_device_scalarIT6_EEPKT4_S5_PKS7_SB_S5_SD_S8_SB_S5_SD_SB_S5_PS7_21rocsparse_index_base_SF_SF_SF_bbb, .Lfunc_end155-_ZN9rocsparseL41csrgemm_numeric_fill_block_per_row_kernelILj1024ELj64ELj16384ELj137ELj64Ell21rocsparse_complex_numIdEEEvT5_PKS3_S5_NS_24const_host_device_scalarIT6_EEPKT4_S5_PKS7_SB_S5_SD_S8_SB_S5_SD_SB_S5_PS7_21rocsparse_index_base_SF_SF_SF_bbb
                                        ; -- End function
	.section	.AMDGPU.csdata,"",@progbits
; Kernel info:
; codeLenInByte = 4648
; NumSgprs: 46
; NumVgprs: 37
; ScratchSize: 40
; MemoryBound: 0
; FloatMode: 240
; IeeeMode: 1
; LDSByteSize: 0 bytes/workgroup (compile time only)
; SGPRBlocks: 5
; VGPRBlocks: 4
; NumSGPRsForWavesPerEU: 46
; NumVGPRsForWavesPerEU: 37
; Occupancy: 16
; WaveLimiterHint : 1
; COMPUTE_PGM_RSRC2:SCRATCH_EN: 1
; COMPUTE_PGM_RSRC2:USER_SGPR: 15
; COMPUTE_PGM_RSRC2:TRAP_HANDLER: 0
; COMPUTE_PGM_RSRC2:TGID_X_EN: 1
; COMPUTE_PGM_RSRC2:TGID_Y_EN: 0
; COMPUTE_PGM_RSRC2:TGID_Z_EN: 0
; COMPUTE_PGM_RSRC2:TIDIG_COMP_CNT: 0
	.section	.text._ZN9rocsparseL41csrgemm_numeric_fill_block_per_row_kernelILj1024ELj64ELj32768ELj137ELj32Ell21rocsparse_complex_numIdEEEvT5_PKS3_S5_NS_24const_host_device_scalarIT6_EEPKT4_S5_PKS7_SB_S5_SD_S8_SB_S5_SD_SB_S5_PS7_21rocsparse_index_base_SF_SF_SF_bbb,"axG",@progbits,_ZN9rocsparseL41csrgemm_numeric_fill_block_per_row_kernelILj1024ELj64ELj32768ELj137ELj32Ell21rocsparse_complex_numIdEEEvT5_PKS3_S5_NS_24const_host_device_scalarIT6_EEPKT4_S5_PKS7_SB_S5_SD_S8_SB_S5_SD_SB_S5_PS7_21rocsparse_index_base_SF_SF_SF_bbb,comdat
	.globl	_ZN9rocsparseL41csrgemm_numeric_fill_block_per_row_kernelILj1024ELj64ELj32768ELj137ELj32Ell21rocsparse_complex_numIdEEEvT5_PKS3_S5_NS_24const_host_device_scalarIT6_EEPKT4_S5_PKS7_SB_S5_SD_S8_SB_S5_SD_SB_S5_PS7_21rocsparse_index_base_SF_SF_SF_bbb ; -- Begin function _ZN9rocsparseL41csrgemm_numeric_fill_block_per_row_kernelILj1024ELj64ELj32768ELj137ELj32Ell21rocsparse_complex_numIdEEEvT5_PKS3_S5_NS_24const_host_device_scalarIT6_EEPKT4_S5_PKS7_SB_S5_SD_S8_SB_S5_SD_SB_S5_PS7_21rocsparse_index_base_SF_SF_SF_bbb
	.p2align	8
	.type	_ZN9rocsparseL41csrgemm_numeric_fill_block_per_row_kernelILj1024ELj64ELj32768ELj137ELj32Ell21rocsparse_complex_numIdEEEvT5_PKS3_S5_NS_24const_host_device_scalarIT6_EEPKT4_S5_PKS7_SB_S5_SD_S8_SB_S5_SD_SB_S5_PS7_21rocsparse_index_base_SF_SF_SF_bbb,@function
_ZN9rocsparseL41csrgemm_numeric_fill_block_per_row_kernelILj1024ELj64ELj32768ELj137ELj32Ell21rocsparse_complex_numIdEEEvT5_PKS3_S5_NS_24const_host_device_scalarIT6_EEPKT4_S5_PKS7_SB_S5_SD_S8_SB_S5_SD_SB_S5_PS7_21rocsparse_index_base_SF_SF_SF_bbb: ; @_ZN9rocsparseL41csrgemm_numeric_fill_block_per_row_kernelILj1024ELj64ELj32768ELj137ELj32Ell21rocsparse_complex_numIdEEEvT5_PKS3_S5_NS_24const_host_device_scalarIT6_EEPKT4_S5_PKS7_SB_S5_SD_S8_SB_S5_SD_SB_S5_PS7_21rocsparse_index_base_SF_SF_SF_bbb
; %bb.0:
	s_clause 0x3
	s_load_b32 s27, s[0:1], 0xa8
	s_load_b128 s[4:7], s[0:1], 0x18
	s_load_b128 s[16:19], s[0:1], 0x58
	;; [unrolled: 1-line block ×3, first 2 shown]
	v_mov_b32_e32 v1, 0
	v_mov_b32_e32 v2, 0
	s_mov_b32 s24, s15
	s_waitcnt lgkmcnt(0)
	s_bitcmp1_b32 s27, 0
	v_mov_b32_e32 v3, s4
	s_cselect_b32 s26, -1, 0
	s_bitcmp1_b32 s27, 16
	v_dual_mov_b32 v6, v2 :: v_dual_mov_b32 v5, v1
	s_cselect_b32 s2, -1, 0
	v_mov_b32_e32 v4, s5
	s_xor_b32 s25, s2, -1
	v_dual_mov_b32 v9, s16 :: v_dual_mov_b32 v10, s17
	v_cndmask_b32_e64 v7, 0, 1, s25
	s_bitcmp0_b32 s27, 0
	s_clause 0x1
	scratch_store_b64 off, v[3:4], off offset:16
	scratch_store_b64 off, v[9:10], off offset:24
	v_cmp_ne_u32_e32 vcc_lo, 1, v7
	v_dual_mov_b32 v8, v2 :: v_dual_mov_b32 v7, v1
	s_cbranch_scc1 .LBB156_3
; %bb.1:
	s_mov_b64 s[8:9], src_private_base
	s_and_b32 s3, s2, exec_lo
	s_cselect_b32 s3, s9, s5
	s_delay_alu instid0(SALU_CYCLE_1) | instskip(SKIP_2) | instid1(VALU_DEP_2)
	v_dual_mov_b32 v3, 16 :: v_dual_mov_b32 v4, s3
	v_dual_mov_b32 v8, s7 :: v_dual_mov_b32 v7, s6
	s_and_b32 vcc_lo, exec_lo, vcc_lo
	v_cndmask_b32_e64 v3, s4, v3, s2
	flat_load_b64 v[5:6], v[3:4]
	s_cbranch_vccnz .LBB156_3
; %bb.2:
	v_dual_mov_b32 v3, s4 :: v_dual_mov_b32 v4, s5
	flat_load_b64 v[7:8], v[3:4] offset:8
.LBB156_3:
	s_clause 0x4
	s_load_b64 s[34:35], s[0:1], 0x90
	s_load_b256 s[36:43], s[0:1], 0x68
	s_load_b128 s[12:15], s[0:1], 0x48
	s_load_b128 s[20:23], s[0:1], 0x8
	s_load_b256 s[4:11], s[0:1], 0x28
	s_bitcmp1_b32 s27, 8
	v_dual_mov_b32 v4, v2 :: v_dual_mov_b32 v3, v1
	s_cselect_b32 s3, -1, 0
	s_bfe_u32 s27, s27, 0x10008
	s_delay_alu instid0(SALU_CYCLE_1)
	s_cmp_eq_u32 s27, 0
	s_cbranch_scc1 .LBB156_6
; %bb.4:
	s_mov_b64 s[28:29], src_private_base
	s_and_b32 s27, s2, exec_lo
	s_cselect_b32 s27, s29, s17
	s_delay_alu instid0(SALU_CYCLE_1) | instskip(SKIP_1) | instid1(VALU_DEP_1)
	v_dual_mov_b32 v1, 24 :: v_dual_mov_b32 v2, s27
	s_and_not1_b32 vcc_lo, exec_lo, s25
	v_cndmask_b32_e64 v1, s16, v1, s2
	flat_load_b64 v[3:4], v[1:2]
	v_dual_mov_b32 v1, s18 :: v_dual_mov_b32 v2, s19
	s_cbranch_vccnz .LBB156_6
; %bb.5:
	v_dual_mov_b32 v1, s16 :: v_dual_mov_b32 v2, s17
	flat_load_b64 v[1:2], v[1:2] offset:8
.LBB156_6:
	s_load_b64 s[48:49], s[0:1], 0x0
	s_mov_b32 s0, 0
	v_or_b32_e32 v27, 0xfffffc00, v0
	v_lshl_add_u32 v28, v0, 3, 0
	s_mov_b32 s1, s0
	s_delay_alu instid0(SALU_CYCLE_1)
	v_dual_mov_b32 v10, s1 :: v_dual_lshlrev_b32 v29, 4, v0
	s_mov_b32 s16, s0
	s_mov_b32 s17, s0
	v_dual_mov_b32 v11, s16 :: v_dual_mov_b32 v16, v28
	v_dual_mov_b32 v9, s0 :: v_dual_mov_b32 v12, s17
	v_add3_u32 v15, v29, 0, 0x40008
	v_mov_b32_e32 v17, v27
	s_waitcnt lgkmcnt(0)
	v_dual_mov_b32 v13, s48 :: v_dual_mov_b32 v14, s49
.LBB156_7:                              ; =>This Inner Loop Header: Depth=1
	s_delay_alu instid0(VALU_DEP_2)
	v_add_nc_u32_e32 v17, 0x400, v17
	ds_store_b64 v16, v[13:14]
	v_add_nc_u32_e32 v18, -8, v15
	v_add_nc_u32_e32 v15, 0x4000, v15
	v_add_nc_u32_e32 v16, 0x2000, v16
	v_cmp_lt_u32_e32 vcc_lo, 0x7bff, v17
	ds_store_2addr_b64 v18, v[9:10], v[11:12] offset1:1
	s_or_b32 s0, vcc_lo, s0
	s_delay_alu instid0(SALU_CYCLE_1)
	s_and_not1_b32 exec_lo, exec_lo, s0
	s_cbranch_execnz .LBB156_7
; %bb.8:
	s_or_b32 exec_lo, exec_lo, s0
	s_waitcnt vmcnt(0) lgkmcnt(0)
	s_waitcnt_vscnt null, 0x0
	s_barrier
	buffer_gl0_inv
	s_load_b64 s[0:1], s[20:21], 0x0
	s_mov_b32 s25, 0
	s_waitcnt lgkmcnt(0)
	s_lshl_b64 s[0:1], s[0:1], 3
	s_delay_alu instid0(SALU_CYCLE_1) | instskip(SKIP_2) | instid1(SALU_CYCLE_1)
	s_add_u32 s2, s22, s0
	s_addc_u32 s16, s23, s1
	s_lshl_b64 s[0:1], s[24:25], 3
	s_add_u32 s0, s2, s0
	s_addc_u32 s1, s16, s1
	s_and_b32 vcc_lo, exec_lo, s26
	s_load_b64 s[50:51], s[0:1], 0x0
	s_cbranch_vccz .LBB156_36
; %bb.9:
	s_waitcnt lgkmcnt(0)
	s_lshl_b64 s[0:1], s[50:51], 3
	v_lshrrev_b32_e32 v9, 6, v0
	s_add_u32 s0, s4, s0
	s_addc_u32 s1, s5, s1
	s_mov_b32 s2, exec_lo
	s_load_b128 s[16:19], s[0:1], 0x0
	v_sub_co_u32 v9, s0, v9, s44
	s_delay_alu instid0(VALU_DEP_1) | instskip(SKIP_1) | instid1(VALU_DEP_2)
	v_sub_co_ci_u32_e64 v10, null, 0, 0, s0
	s_waitcnt lgkmcnt(0)
	v_add_co_u32 v9, vcc_lo, s16, v9
	s_delay_alu instid0(VALU_DEP_2)
	v_add_co_ci_u32_e32 v10, vcc_lo, s17, v10, vcc_lo
	s_sub_u32 s0, s18, s44
	s_subb_u32 s1, s19, 0
	s_delay_alu instid0(VALU_DEP_1) | instid1(SALU_CYCLE_1)
	v_cmpx_gt_i64_e64 s[0:1], v[9:10]
	s_cbranch_execz .LBB156_35
; %bb.10:
	v_and_b32_e32 v11, 63, v0
	s_mov_b32 s5, s45
	s_delay_alu instid0(VALU_DEP_1) | instskip(NEXT) | instid1(VALU_DEP_1)
	v_sub_co_u32 v30, s4, v11, s45
	v_sub_co_ci_u32_e64 v31, null, 0, 0, s4
	s_mov_b32 s4, 0
	s_branch .LBB156_12
.LBB156_11:                             ;   in Loop: Header=BB156_12 Depth=1
	s_or_b32 exec_lo, exec_lo, s16
	v_add_co_u32 v9, vcc_lo, v9, 16
	v_add_co_ci_u32_e32 v10, vcc_lo, 0, v10, vcc_lo
	s_delay_alu instid0(VALU_DEP_1) | instskip(SKIP_1) | instid1(SALU_CYCLE_1)
	v_cmp_le_i64_e32 vcc_lo, s[0:1], v[9:10]
	s_or_b32 s4, vcc_lo, s4
	s_and_not1_b32 exec_lo, exec_lo, s4
	s_cbranch_execz .LBB156_35
.LBB156_12:                             ; =>This Loop Header: Depth=1
                                        ;     Child Loop BB156_15 Depth 2
                                        ;       Child Loop BB156_17 Depth 3
                                        ;         Child Loop BB156_23 Depth 4
                                        ;         Child Loop BB156_25 Depth 4
	;; [unrolled: 1-line block ×4, first 2 shown]
	v_lshlrev_b64 v[11:12], 3, v[9:10]
	s_mov_b32 s16, exec_lo
	s_delay_alu instid0(VALU_DEP_1) | instskip(NEXT) | instid1(VALU_DEP_2)
	v_add_co_u32 v11, vcc_lo, s6, v11
	v_add_co_ci_u32_e32 v12, vcc_lo, s7, v12, vcc_lo
	global_load_b64 v[11:12], v[11:12], off
	s_waitcnt vmcnt(0)
	v_sub_co_u32 v11, vcc_lo, v11, s44
	v_subrev_co_ci_u32_e32 v12, vcc_lo, 0, v12, vcc_lo
	s_delay_alu instid0(VALU_DEP_1) | instskip(NEXT) | instid1(VALU_DEP_1)
	v_lshlrev_b64 v[11:12], 3, v[11:12]
	v_add_co_u32 v11, vcc_lo, s10, v11
	s_delay_alu instid0(VALU_DEP_2)
	v_add_co_ci_u32_e32 v12, vcc_lo, s11, v12, vcc_lo
	global_load_b128 v[13:16], v[11:12], off
	s_waitcnt vmcnt(0)
	v_sub_co_u32 v11, vcc_lo, v15, s5
	v_subrev_co_ci_u32_e32 v12, vcc_lo, 0, v16, vcc_lo
	v_add_co_u32 v13, vcc_lo, v13, v30
	v_add_co_ci_u32_e32 v14, vcc_lo, v14, v31, vcc_lo
	s_delay_alu instid0(VALU_DEP_1)
	v_cmpx_lt_i64_e64 v[13:14], v[11:12]
	s_cbranch_execz .LBB156_11
; %bb.13:                               ;   in Loop: Header=BB156_12 Depth=1
	v_lshlrev_b64 v[15:16], 4, v[9:10]
	s_mov_b32 s17, 0
	s_delay_alu instid0(VALU_DEP_1) | instskip(NEXT) | instid1(VALU_DEP_2)
	v_add_co_u32 v15, vcc_lo, s8, v15
	v_add_co_ci_u32_e32 v16, vcc_lo, s9, v16, vcc_lo
	global_load_b128 v[17:20], v[15:16], off
	s_waitcnt vmcnt(0)
	v_mul_f64 v[15:16], v[19:20], -v[7:8]
	v_mul_f64 v[19:20], v[5:6], v[19:20]
	s_delay_alu instid0(VALU_DEP_2) | instskip(NEXT) | instid1(VALU_DEP_2)
	v_fma_f64 v[15:16], v[5:6], v[17:18], v[15:16]
	v_fma_f64 v[17:18], v[7:8], v[17:18], v[19:20]
	s_branch .LBB156_15
.LBB156_14:                             ;   in Loop: Header=BB156_15 Depth=2
	s_or_b32 exec_lo, exec_lo, s18
	v_add_co_u32 v13, vcc_lo, v13, 64
	v_add_co_ci_u32_e32 v14, vcc_lo, 0, v14, vcc_lo
	s_delay_alu instid0(VALU_DEP_1) | instskip(SKIP_1) | instid1(SALU_CYCLE_1)
	v_cmp_ge_i64_e32 vcc_lo, v[13:14], v[11:12]
	s_or_b32 s17, vcc_lo, s17
	s_and_not1_b32 exec_lo, exec_lo, s17
	s_cbranch_execz .LBB156_11
.LBB156_15:                             ;   Parent Loop BB156_12 Depth=1
                                        ; =>  This Loop Header: Depth=2
                                        ;       Child Loop BB156_17 Depth 3
                                        ;         Child Loop BB156_23 Depth 4
                                        ;         Child Loop BB156_25 Depth 4
	;; [unrolled: 1-line block ×4, first 2 shown]
	v_lshlrev_b64 v[19:20], 4, v[13:14]
	s_mov_b32 s18, 0
	s_delay_alu instid0(VALU_DEP_1) | instskip(NEXT) | instid1(VALU_DEP_2)
	v_add_co_u32 v19, vcc_lo, s14, v19
	v_add_co_ci_u32_e32 v20, vcc_lo, s15, v20, vcc_lo
	global_load_b128 v[21:24], v[19:20], off
	v_lshlrev_b64 v[19:20], 3, v[13:14]
	s_delay_alu instid0(VALU_DEP_1) | instskip(NEXT) | instid1(VALU_DEP_2)
	v_add_co_u32 v19, vcc_lo, s12, v19
	v_add_co_ci_u32_e32 v20, vcc_lo, s13, v20, vcc_lo
	global_load_b64 v[25:26], v[19:20], off
	s_waitcnt vmcnt(1)
	v_mul_f64 v[19:20], v[23:24], -v[17:18]
	v_mul_f64 v[23:24], v[15:16], v[23:24]
	s_delay_alu instid0(VALU_DEP_2) | instskip(NEXT) | instid1(VALU_DEP_2)
	v_fma_f64 v[19:20], v[15:16], v[21:22], v[19:20]
	v_fma_f64 v[21:22], v[17:18], v[21:22], v[23:24]
	s_waitcnt vmcnt(0)
	v_sub_co_u32 v23, vcc_lo, v25, s5
	v_subrev_co_ci_u32_e32 v24, vcc_lo, 0, v26, vcc_lo
	s_delay_alu instid0(VALU_DEP_2) | instskip(NEXT) | instid1(VALU_DEP_1)
	v_mul_lo_u32 v25, 0x89, v23
	v_and_b32_e32 v32, 0x7fff, v25
	s_branch .LBB156_17
.LBB156_16:                             ;   in Loop: Header=BB156_17 Depth=3
	s_or_b32 exec_lo, exec_lo, s19
	s_xor_b32 s19, s20, -1
	s_delay_alu instid0(SALU_CYCLE_1) | instskip(NEXT) | instid1(SALU_CYCLE_1)
	s_and_b32 s19, exec_lo, s19
	s_or_b32 s18, s19, s18
	s_delay_alu instid0(SALU_CYCLE_1)
	s_and_not1_b32 exec_lo, exec_lo, s18
	s_cbranch_execz .LBB156_14
.LBB156_17:                             ;   Parent Loop BB156_12 Depth=1
                                        ;     Parent Loop BB156_15 Depth=2
                                        ; =>    This Loop Header: Depth=3
                                        ;         Child Loop BB156_23 Depth 4
                                        ;         Child Loop BB156_25 Depth 4
	;; [unrolled: 1-line block ×4, first 2 shown]
	s_delay_alu instid0(VALU_DEP_1)
	v_lshl_add_u32 v33, v32, 3, 0
	s_mov_b32 s19, exec_lo
                                        ; implicit-def: $sgpr20
	ds_load_b64 v[25:26], v33
	s_waitcnt lgkmcnt(0)
	v_cmpx_ne_u64_e64 v[25:26], v[23:24]
	s_xor_b32 s19, exec_lo, s19
	s_cbranch_execz .LBB156_29
; %bb.18:                               ;   in Loop: Header=BB156_17 Depth=3
	s_mov_b32 s21, exec_lo
                                        ; implicit-def: $sgpr20
	v_cmpx_ne_u64_e64 s[48:49], v[25:26]
	s_xor_b32 s21, exec_lo, s21
; %bb.19:                               ;   in Loop: Header=BB156_17 Depth=3
	v_add_nc_u32_e32 v25, 1, v32
	s_mov_b32 s20, -1
                                        ; implicit-def: $vgpr33
	s_delay_alu instid0(VALU_DEP_1)
	v_and_b32_e32 v32, 0x7fff, v25
; %bb.20:                               ;   in Loop: Header=BB156_17 Depth=3
	s_and_not1_saveexec_b32 s21, s21
	s_cbranch_execz .LBB156_28
; %bb.21:                               ;   in Loop: Header=BB156_17 Depth=3
	v_dual_mov_b32 v25, s48 :: v_dual_mov_b32 v26, s49
	s_mov_b32 s23, -1
	s_mov_b32 s22, exec_lo
	ds_cmpstore_rtn_b64 v[25:26], v33, v[23:24], v[25:26]
	s_waitcnt lgkmcnt(0)
	v_cmpx_eq_u64_e64 s[48:49], v[25:26]
	s_cbranch_execz .LBB156_27
; %bb.22:                               ;   in Loop: Header=BB156_17 Depth=3
	v_lshlrev_b32_e32 v25, 4, v32
	s_mov_b32 s23, 0
	s_delay_alu instid0(VALU_DEP_1)
	v_add3_u32 v33, 0, v25, 0x40000
	ds_load_b64 v[25:26], v33
.LBB156_23:                             ;   Parent Loop BB156_12 Depth=1
                                        ;     Parent Loop BB156_15 Depth=2
                                        ;       Parent Loop BB156_17 Depth=3
                                        ; =>      This Inner Loop Header: Depth=4
	s_waitcnt lgkmcnt(0)
	v_add_f64 v[34:35], v[25:26], v[19:20]
	ds_cmpstore_rtn_b64 v[34:35], v33, v[34:35], v[25:26]
	s_waitcnt lgkmcnt(0)
	v_cmp_eq_u64_e32 vcc_lo, v[34:35], v[25:26]
	v_dual_mov_b32 v25, v34 :: v_dual_mov_b32 v26, v35
	s_or_b32 s23, vcc_lo, s23
	s_delay_alu instid0(SALU_CYCLE_1)
	s_and_not1_b32 exec_lo, exec_lo, s23
	s_cbranch_execnz .LBB156_23
; %bb.24:                               ;   in Loop: Header=BB156_17 Depth=3
	s_or_b32 exec_lo, exec_lo, s23
	ds_load_b64 v[25:26], v33 offset:8
	s_mov_b32 s23, 0
.LBB156_25:                             ;   Parent Loop BB156_12 Depth=1
                                        ;     Parent Loop BB156_15 Depth=2
                                        ;       Parent Loop BB156_17 Depth=3
                                        ; =>      This Inner Loop Header: Depth=4
	s_waitcnt lgkmcnt(0)
	v_add_f64 v[34:35], v[25:26], v[21:22]
	ds_cmpstore_rtn_b64 v[34:35], v33, v[34:35], v[25:26] offset:8
	s_waitcnt lgkmcnt(0)
	v_cmp_eq_u64_e32 vcc_lo, v[34:35], v[25:26]
	v_dual_mov_b32 v25, v34 :: v_dual_mov_b32 v26, v35
	s_or_b32 s23, vcc_lo, s23
	s_delay_alu instid0(SALU_CYCLE_1)
	s_and_not1_b32 exec_lo, exec_lo, s23
	s_cbranch_execnz .LBB156_25
; %bb.26:                               ;   in Loop: Header=BB156_17 Depth=3
	s_or_b32 exec_lo, exec_lo, s23
	s_delay_alu instid0(SALU_CYCLE_1)
	s_xor_b32 s23, exec_lo, -1
.LBB156_27:                             ;   in Loop: Header=BB156_17 Depth=3
	s_or_b32 exec_lo, exec_lo, s22
	s_delay_alu instid0(SALU_CYCLE_1) | instskip(SKIP_1) | instid1(SALU_CYCLE_1)
	s_and_not1_b32 s20, s20, exec_lo
	s_and_b32 s22, s23, exec_lo
	s_or_b32 s20, s20, s22
.LBB156_28:                             ;   in Loop: Header=BB156_17 Depth=3
	s_or_b32 exec_lo, exec_lo, s21
	s_delay_alu instid0(SALU_CYCLE_1)
	s_and_b32 s20, s20, exec_lo
.LBB156_29:                             ;   in Loop: Header=BB156_17 Depth=3
	s_and_not1_saveexec_b32 s19, s19
	s_cbranch_execz .LBB156_16
; %bb.30:                               ;   in Loop: Header=BB156_17 Depth=3
	v_lshlrev_b32_e32 v25, 4, v32
	s_mov_b32 s21, 0
	s_delay_alu instid0(VALU_DEP_1)
	v_add3_u32 v33, 0, v25, 0x40000
	ds_load_b64 v[25:26], v33
.LBB156_31:                             ;   Parent Loop BB156_12 Depth=1
                                        ;     Parent Loop BB156_15 Depth=2
                                        ;       Parent Loop BB156_17 Depth=3
                                        ; =>      This Inner Loop Header: Depth=4
	s_waitcnt lgkmcnt(0)
	v_add_f64 v[34:35], v[25:26], v[19:20]
	ds_cmpstore_rtn_b64 v[34:35], v33, v[34:35], v[25:26]
	s_waitcnt lgkmcnt(0)
	v_cmp_eq_u64_e32 vcc_lo, v[34:35], v[25:26]
	v_dual_mov_b32 v25, v34 :: v_dual_mov_b32 v26, v35
	s_or_b32 s21, vcc_lo, s21
	s_delay_alu instid0(SALU_CYCLE_1)
	s_and_not1_b32 exec_lo, exec_lo, s21
	s_cbranch_execnz .LBB156_31
; %bb.32:                               ;   in Loop: Header=BB156_17 Depth=3
	s_or_b32 exec_lo, exec_lo, s21
	ds_load_b64 v[25:26], v33 offset:8
	s_mov_b32 s21, 0
.LBB156_33:                             ;   Parent Loop BB156_12 Depth=1
                                        ;     Parent Loop BB156_15 Depth=2
                                        ;       Parent Loop BB156_17 Depth=3
                                        ; =>      This Inner Loop Header: Depth=4
	s_waitcnt lgkmcnt(0)
	v_add_f64 v[34:35], v[25:26], v[21:22]
	ds_cmpstore_rtn_b64 v[34:35], v33, v[34:35], v[25:26] offset:8
	s_waitcnt lgkmcnt(0)
	v_cmp_eq_u64_e32 vcc_lo, v[34:35], v[25:26]
	v_dual_mov_b32 v25, v34 :: v_dual_mov_b32 v26, v35
	s_or_b32 s21, vcc_lo, s21
	s_delay_alu instid0(SALU_CYCLE_1)
	s_and_not1_b32 exec_lo, exec_lo, s21
	s_cbranch_execnz .LBB156_33
; %bb.34:                               ;   in Loop: Header=BB156_17 Depth=3
	s_or_b32 exec_lo, exec_lo, s21
	s_delay_alu instid0(SALU_CYCLE_1)
	s_and_not1_b32 s20, s20, exec_lo
	s_branch .LBB156_16
.LBB156_35:
	s_or_b32 exec_lo, exec_lo, s2
.LBB156_36:
	s_delay_alu instid0(SALU_CYCLE_1)
	s_and_not1_b32 vcc_lo, exec_lo, s3
	s_cbranch_vccnz .LBB156_61
; %bb.37:
	s_waitcnt lgkmcnt(0)
	s_lshl_b64 s[0:1], s[50:51], 3
	v_sub_co_u32 v5, s4, v0, s47
	s_add_u32 s0, s36, s0
	s_addc_u32 s1, s37, s1
	v_sub_co_ci_u32_e64 v6, null, 0, 0, s4
	s_load_b128 s[0:3], s[0:1], 0x0
	s_waitcnt lgkmcnt(0)
	v_add_co_u32 v5, vcc_lo, s0, v5
	s_delay_alu instid0(VALU_DEP_2)
	v_add_co_ci_u32_e32 v6, vcc_lo, s1, v6, vcc_lo
	s_sub_u32 s0, s2, s47
	s_subb_u32 s1, s3, 0
	s_mov_b32 s2, 0
	s_mov_b32 s3, exec_lo
	v_cmpx_gt_i64_e64 s[0:1], v[5:6]
	s_cbranch_execz .LBB156_60
; %bb.38:
	s_mov_b32 s4, s47
	s_branch .LBB156_40
.LBB156_39:                             ;   in Loop: Header=BB156_40 Depth=1
	s_or_b32 exec_lo, exec_lo, s5
	v_add_co_u32 v5, vcc_lo, 0x400, v5
	v_add_co_ci_u32_e32 v6, vcc_lo, 0, v6, vcc_lo
	s_delay_alu instid0(VALU_DEP_1) | instskip(SKIP_1) | instid1(SALU_CYCLE_1)
	v_cmp_le_i64_e32 vcc_lo, s[0:1], v[5:6]
	s_or_b32 s2, vcc_lo, s2
	s_and_not1_b32 exec_lo, exec_lo, s2
	s_cbranch_execz .LBB156_60
.LBB156_40:                             ; =>This Loop Header: Depth=1
                                        ;     Child Loop BB156_42 Depth 2
                                        ;       Child Loop BB156_48 Depth 3
                                        ;       Child Loop BB156_50 Depth 3
	;; [unrolled: 1-line block ×4, first 2 shown]
	v_lshlrev_b64 v[7:8], 4, v[5:6]
	s_mov_b32 s5, 0
	s_delay_alu instid0(VALU_DEP_1) | instskip(NEXT) | instid1(VALU_DEP_2)
	v_add_co_u32 v7, vcc_lo, s40, v7
	v_add_co_ci_u32_e32 v8, vcc_lo, s41, v8, vcc_lo
	global_load_b128 v[9:12], v[7:8], off
	v_lshlrev_b64 v[7:8], 3, v[5:6]
	s_delay_alu instid0(VALU_DEP_1) | instskip(NEXT) | instid1(VALU_DEP_2)
	v_add_co_u32 v7, vcc_lo, s38, v7
	v_add_co_ci_u32_e32 v8, vcc_lo, s39, v8, vcc_lo
	global_load_b64 v[13:14], v[7:8], off
	s_waitcnt vmcnt(1)
	v_mul_f64 v[7:8], v[11:12], -v[1:2]
	v_mul_f64 v[11:12], v[3:4], v[11:12]
	s_delay_alu instid0(VALU_DEP_2) | instskip(NEXT) | instid1(VALU_DEP_2)
	v_fma_f64 v[7:8], v[3:4], v[9:10], v[7:8]
	v_fma_f64 v[9:10], v[1:2], v[9:10], v[11:12]
	s_waitcnt vmcnt(0)
	v_sub_co_u32 v11, vcc_lo, v13, s4
	v_subrev_co_ci_u32_e32 v12, vcc_lo, 0, v14, vcc_lo
	s_delay_alu instid0(VALU_DEP_2) | instskip(NEXT) | instid1(VALU_DEP_1)
	v_mul_lo_u32 v13, 0x89, v11
	v_and_b32_e32 v15, 0x7fff, v13
	s_branch .LBB156_42
.LBB156_41:                             ;   in Loop: Header=BB156_42 Depth=2
	s_or_b32 exec_lo, exec_lo, s6
	s_xor_b32 s6, s7, -1
	s_delay_alu instid0(SALU_CYCLE_1) | instskip(NEXT) | instid1(SALU_CYCLE_1)
	s_and_b32 s6, exec_lo, s6
	s_or_b32 s5, s6, s5
	s_delay_alu instid0(SALU_CYCLE_1)
	s_and_not1_b32 exec_lo, exec_lo, s5
	s_cbranch_execz .LBB156_39
.LBB156_42:                             ;   Parent Loop BB156_40 Depth=1
                                        ; =>  This Loop Header: Depth=2
                                        ;       Child Loop BB156_48 Depth 3
                                        ;       Child Loop BB156_50 Depth 3
	;; [unrolled: 1-line block ×4, first 2 shown]
	s_delay_alu instid0(VALU_DEP_1)
	v_lshl_add_u32 v16, v15, 3, 0
	s_mov_b32 s6, exec_lo
                                        ; implicit-def: $sgpr7
	ds_load_b64 v[13:14], v16
	s_waitcnt lgkmcnt(0)
	v_cmpx_ne_u64_e64 v[13:14], v[11:12]
	s_xor_b32 s6, exec_lo, s6
	s_cbranch_execz .LBB156_54
; %bb.43:                               ;   in Loop: Header=BB156_42 Depth=2
	s_mov_b32 s8, exec_lo
                                        ; implicit-def: $sgpr7
	v_cmpx_ne_u64_e64 s[48:49], v[13:14]
	s_xor_b32 s8, exec_lo, s8
; %bb.44:                               ;   in Loop: Header=BB156_42 Depth=2
	v_add_nc_u32_e32 v13, 1, v15
	s_mov_b32 s7, -1
                                        ; implicit-def: $vgpr16
	s_delay_alu instid0(VALU_DEP_1)
	v_and_b32_e32 v15, 0x7fff, v13
; %bb.45:                               ;   in Loop: Header=BB156_42 Depth=2
	s_and_not1_saveexec_b32 s8, s8
	s_cbranch_execz .LBB156_53
; %bb.46:                               ;   in Loop: Header=BB156_42 Depth=2
	v_dual_mov_b32 v13, s48 :: v_dual_mov_b32 v14, s49
	s_mov_b32 s10, -1
	s_mov_b32 s9, exec_lo
	ds_cmpstore_rtn_b64 v[13:14], v16, v[11:12], v[13:14]
	s_waitcnt lgkmcnt(0)
	v_cmpx_eq_u64_e64 s[48:49], v[13:14]
	s_cbranch_execz .LBB156_52
; %bb.47:                               ;   in Loop: Header=BB156_42 Depth=2
	v_lshlrev_b32_e32 v13, 4, v15
	s_mov_b32 s10, 0
	s_delay_alu instid0(VALU_DEP_1)
	v_add3_u32 v16, 0, v13, 0x40000
	ds_load_b64 v[13:14], v16
.LBB156_48:                             ;   Parent Loop BB156_40 Depth=1
                                        ;     Parent Loop BB156_42 Depth=2
                                        ; =>    This Inner Loop Header: Depth=3
	s_waitcnt lgkmcnt(0)
	v_add_f64 v[17:18], v[13:14], v[7:8]
	ds_cmpstore_rtn_b64 v[17:18], v16, v[17:18], v[13:14]
	s_waitcnt lgkmcnt(0)
	v_cmp_eq_u64_e32 vcc_lo, v[17:18], v[13:14]
	v_dual_mov_b32 v13, v17 :: v_dual_mov_b32 v14, v18
	s_or_b32 s10, vcc_lo, s10
	s_delay_alu instid0(SALU_CYCLE_1)
	s_and_not1_b32 exec_lo, exec_lo, s10
	s_cbranch_execnz .LBB156_48
; %bb.49:                               ;   in Loop: Header=BB156_42 Depth=2
	s_or_b32 exec_lo, exec_lo, s10
	ds_load_b64 v[13:14], v16 offset:8
	s_mov_b32 s10, 0
.LBB156_50:                             ;   Parent Loop BB156_40 Depth=1
                                        ;     Parent Loop BB156_42 Depth=2
                                        ; =>    This Inner Loop Header: Depth=3
	s_waitcnt lgkmcnt(0)
	v_add_f64 v[17:18], v[13:14], v[9:10]
	ds_cmpstore_rtn_b64 v[17:18], v16, v[17:18], v[13:14] offset:8
	s_waitcnt lgkmcnt(0)
	v_cmp_eq_u64_e32 vcc_lo, v[17:18], v[13:14]
	v_dual_mov_b32 v13, v17 :: v_dual_mov_b32 v14, v18
	s_or_b32 s10, vcc_lo, s10
	s_delay_alu instid0(SALU_CYCLE_1)
	s_and_not1_b32 exec_lo, exec_lo, s10
	s_cbranch_execnz .LBB156_50
; %bb.51:                               ;   in Loop: Header=BB156_42 Depth=2
	s_or_b32 exec_lo, exec_lo, s10
	s_delay_alu instid0(SALU_CYCLE_1)
	s_xor_b32 s10, exec_lo, -1
.LBB156_52:                             ;   in Loop: Header=BB156_42 Depth=2
	s_or_b32 exec_lo, exec_lo, s9
	s_delay_alu instid0(SALU_CYCLE_1) | instskip(SKIP_1) | instid1(SALU_CYCLE_1)
	s_and_not1_b32 s7, s7, exec_lo
	s_and_b32 s9, s10, exec_lo
	s_or_b32 s7, s7, s9
.LBB156_53:                             ;   in Loop: Header=BB156_42 Depth=2
	s_or_b32 exec_lo, exec_lo, s8
	s_delay_alu instid0(SALU_CYCLE_1)
	s_and_b32 s7, s7, exec_lo
.LBB156_54:                             ;   in Loop: Header=BB156_42 Depth=2
	s_and_not1_saveexec_b32 s6, s6
	s_cbranch_execz .LBB156_41
; %bb.55:                               ;   in Loop: Header=BB156_42 Depth=2
	v_lshlrev_b32_e32 v13, 4, v15
	s_mov_b32 s8, 0
	s_delay_alu instid0(VALU_DEP_1)
	v_add3_u32 v16, 0, v13, 0x40000
	ds_load_b64 v[13:14], v16
.LBB156_56:                             ;   Parent Loop BB156_40 Depth=1
                                        ;     Parent Loop BB156_42 Depth=2
                                        ; =>    This Inner Loop Header: Depth=3
	s_waitcnt lgkmcnt(0)
	v_add_f64 v[17:18], v[13:14], v[7:8]
	ds_cmpstore_rtn_b64 v[17:18], v16, v[17:18], v[13:14]
	s_waitcnt lgkmcnt(0)
	v_cmp_eq_u64_e32 vcc_lo, v[17:18], v[13:14]
	v_dual_mov_b32 v13, v17 :: v_dual_mov_b32 v14, v18
	s_or_b32 s8, vcc_lo, s8
	s_delay_alu instid0(SALU_CYCLE_1)
	s_and_not1_b32 exec_lo, exec_lo, s8
	s_cbranch_execnz .LBB156_56
; %bb.57:                               ;   in Loop: Header=BB156_42 Depth=2
	s_or_b32 exec_lo, exec_lo, s8
	ds_load_b64 v[13:14], v16 offset:8
	s_mov_b32 s8, 0
.LBB156_58:                             ;   Parent Loop BB156_40 Depth=1
                                        ;     Parent Loop BB156_42 Depth=2
                                        ; =>    This Inner Loop Header: Depth=3
	s_waitcnt lgkmcnt(0)
	v_add_f64 v[17:18], v[13:14], v[9:10]
	ds_cmpstore_rtn_b64 v[17:18], v16, v[17:18], v[13:14] offset:8
	s_waitcnt lgkmcnt(0)
	v_cmp_eq_u64_e32 vcc_lo, v[17:18], v[13:14]
	v_dual_mov_b32 v13, v17 :: v_dual_mov_b32 v14, v18
	s_or_b32 s8, vcc_lo, s8
	s_delay_alu instid0(SALU_CYCLE_1)
	s_and_not1_b32 exec_lo, exec_lo, s8
	s_cbranch_execnz .LBB156_58
; %bb.59:                               ;   in Loop: Header=BB156_42 Depth=2
	s_or_b32 exec_lo, exec_lo, s8
	s_delay_alu instid0(SALU_CYCLE_1)
	s_and_not1_b32 s7, s7, exec_lo
	s_branch .LBB156_41
.LBB156_60:
	s_or_b32 exec_lo, exec_lo, s3
.LBB156_61:
	v_mbcnt_lo_u32_b32 v1, -1, 0
	v_lshrrev_b32_e32 v2, 2, v0
	s_add_i32 s71, 0, 0xc00f8
	v_cmp_eq_u32_e32 vcc_lo, 0x3ff, v0
	v_cmp_lt_u32_e64 s0, 31, v0
	v_xor_b32_e32 v1, 63, v1
	v_dual_mov_b32 v12, s71 :: v_dual_and_b32 v3, 0xf8, v2
	v_cmp_lt_u32_e64 s1, 63, v0
	v_cmp_lt_u32_e64 s2, 0x5f, v0
	s_delay_alu instid0(VALU_DEP_4) | instskip(NEXT) | instid1(VALU_DEP_4)
	v_lshrrev_b64 v[1:2], v1, -1
	v_add3_u32 v10, 0, 0xc0000, v3
	v_dual_mov_b32 v2, 0 :: v_dual_mov_b32 v5, 0
	v_cmp_lt_u32_e64 s3, 0x7f, v0
	v_cmp_lt_u32_e64 s4, 0x9f, v0
	;; [unrolled: 1-line block ×28, first 2 shown]
	v_add3_u32 v11, v29, 0, 0x40000
	v_mov_b32_e32 v3, 0
	s_mov_b32 s36, 0
	s_add_i32 s37, 0, 0xc0000
	s_add_i32 s38, 0, 0xc0008
	;; [unrolled: 1-line block ×31, first 2 shown]
	s_waitcnt lgkmcnt(0)
	s_barrier
	buffer_gl0_inv
	s_branch .LBB156_63
.LBB156_62:                             ;   in Loop: Header=BB156_63 Depth=1
	s_or_b32 exec_lo, exec_lo, s31
	s_waitcnt lgkmcnt(0)
	s_barrier
	buffer_gl0_inv
	ds_load_b64 v[6:7], v12
	v_add_nc_u32_e32 v27, 0x400, v27
	v_add_nc_u32_e32 v11, 0x4000, v11
	;; [unrolled: 1-line block ×3, first 2 shown]
	s_delay_alu instid0(VALU_DEP_3) | instskip(NEXT) | instid1(VALU_DEP_1)
	v_cmp_lt_u32_e64 s31, 0x7bff, v27
	s_or_b32 s36, s31, s36
	s_waitcnt lgkmcnt(0)
	v_add_co_u32 v2, s33, v6, v2
	s_delay_alu instid0(VALU_DEP_1)
	v_add_co_ci_u32_e64 v3, s33, v7, v3, s33
	s_and_not1_b32 exec_lo, exec_lo, s36
	s_cbranch_execz .LBB156_129
.LBB156_63:                             ; =>This Inner Loop Header: Depth=1
	ds_load_b64 v[6:7], v28
	ds_load_2addr_b64 v[13:16], v11 offset1:1
	s_waitcnt lgkmcnt(1)
	v_cmp_gt_i64_e64 s31, s[48:49], v[6:7]
	s_waitcnt lgkmcnt(0)
	scratch_store_b128 off, v[13:16], off
	s_waitcnt_vscnt null, 0x0
	s_barrier
	buffer_gl0_inv
	v_and_b32_e32 v8, s31, v1
	s_bcnt1_i32_b32 s33, s31
	s_delay_alu instid0(SALU_CYCLE_1) | instskip(NEXT) | instid1(VALU_DEP_2)
	v_mov_b32_e32 v4, s33
	v_bcnt_u32_b32 v8, v8, 0
	ds_store_b64 v10, v[4:5]
	s_waitcnt lgkmcnt(0)
	s_barrier
	buffer_gl0_inv
	s_and_saveexec_b32 s33, s0
	s_cbranch_execnz .LBB156_96
; %bb.64:                               ;   in Loop: Header=BB156_63 Depth=1
	s_or_b32 exec_lo, exec_lo, s33
	s_and_saveexec_b32 s33, s1
	s_cbranch_execnz .LBB156_97
.LBB156_65:                             ;   in Loop: Header=BB156_63 Depth=1
	s_or_b32 exec_lo, exec_lo, s33
	s_and_saveexec_b32 s33, s2
	s_cbranch_execnz .LBB156_98
.LBB156_66:                             ;   in Loop: Header=BB156_63 Depth=1
	s_or_b32 exec_lo, exec_lo, s33
	s_and_saveexec_b32 s33, s3
	s_cbranch_execnz .LBB156_99
.LBB156_67:                             ;   in Loop: Header=BB156_63 Depth=1
	s_or_b32 exec_lo, exec_lo, s33
	s_and_saveexec_b32 s33, s4
	s_cbranch_execnz .LBB156_100
.LBB156_68:                             ;   in Loop: Header=BB156_63 Depth=1
	s_or_b32 exec_lo, exec_lo, s33
	s_and_saveexec_b32 s33, s5
	s_cbranch_execnz .LBB156_101
.LBB156_69:                             ;   in Loop: Header=BB156_63 Depth=1
	s_or_b32 exec_lo, exec_lo, s33
	s_and_saveexec_b32 s33, s6
	s_cbranch_execnz .LBB156_102
.LBB156_70:                             ;   in Loop: Header=BB156_63 Depth=1
	s_or_b32 exec_lo, exec_lo, s33
	s_and_saveexec_b32 s33, s7
	s_cbranch_execnz .LBB156_103
.LBB156_71:                             ;   in Loop: Header=BB156_63 Depth=1
	s_or_b32 exec_lo, exec_lo, s33
	s_and_saveexec_b32 s33, s8
	s_cbranch_execnz .LBB156_104
.LBB156_72:                             ;   in Loop: Header=BB156_63 Depth=1
	s_or_b32 exec_lo, exec_lo, s33
	s_and_saveexec_b32 s33, s9
	s_cbranch_execnz .LBB156_105
.LBB156_73:                             ;   in Loop: Header=BB156_63 Depth=1
	s_or_b32 exec_lo, exec_lo, s33
	s_and_saveexec_b32 s33, s10
	s_cbranch_execnz .LBB156_106
.LBB156_74:                             ;   in Loop: Header=BB156_63 Depth=1
	s_or_b32 exec_lo, exec_lo, s33
	s_and_saveexec_b32 s33, s11
	s_cbranch_execnz .LBB156_107
.LBB156_75:                             ;   in Loop: Header=BB156_63 Depth=1
	s_or_b32 exec_lo, exec_lo, s33
	s_and_saveexec_b32 s33, s12
	s_cbranch_execnz .LBB156_108
.LBB156_76:                             ;   in Loop: Header=BB156_63 Depth=1
	s_or_b32 exec_lo, exec_lo, s33
	s_and_saveexec_b32 s33, s13
	s_cbranch_execnz .LBB156_109
.LBB156_77:                             ;   in Loop: Header=BB156_63 Depth=1
	s_or_b32 exec_lo, exec_lo, s33
	s_and_saveexec_b32 s33, s14
	s_cbranch_execnz .LBB156_110
.LBB156_78:                             ;   in Loop: Header=BB156_63 Depth=1
	s_or_b32 exec_lo, exec_lo, s33
	s_and_saveexec_b32 s33, s15
	s_cbranch_execnz .LBB156_111
.LBB156_79:                             ;   in Loop: Header=BB156_63 Depth=1
	s_or_b32 exec_lo, exec_lo, s33
	s_and_saveexec_b32 s33, s16
	s_cbranch_execnz .LBB156_112
.LBB156_80:                             ;   in Loop: Header=BB156_63 Depth=1
	s_or_b32 exec_lo, exec_lo, s33
	s_and_saveexec_b32 s33, s17
	s_cbranch_execnz .LBB156_113
.LBB156_81:                             ;   in Loop: Header=BB156_63 Depth=1
	s_or_b32 exec_lo, exec_lo, s33
	s_and_saveexec_b32 s33, s18
	s_cbranch_execnz .LBB156_114
.LBB156_82:                             ;   in Loop: Header=BB156_63 Depth=1
	s_or_b32 exec_lo, exec_lo, s33
	s_and_saveexec_b32 s33, s19
	s_cbranch_execnz .LBB156_115
.LBB156_83:                             ;   in Loop: Header=BB156_63 Depth=1
	s_or_b32 exec_lo, exec_lo, s33
	s_and_saveexec_b32 s33, s20
	s_cbranch_execnz .LBB156_116
.LBB156_84:                             ;   in Loop: Header=BB156_63 Depth=1
	s_or_b32 exec_lo, exec_lo, s33
	s_and_saveexec_b32 s33, s21
	s_cbranch_execnz .LBB156_117
.LBB156_85:                             ;   in Loop: Header=BB156_63 Depth=1
	s_or_b32 exec_lo, exec_lo, s33
	s_and_saveexec_b32 s33, s22
	s_cbranch_execnz .LBB156_118
.LBB156_86:                             ;   in Loop: Header=BB156_63 Depth=1
	s_or_b32 exec_lo, exec_lo, s33
	s_and_saveexec_b32 s33, s23
	s_cbranch_execnz .LBB156_119
.LBB156_87:                             ;   in Loop: Header=BB156_63 Depth=1
	s_or_b32 exec_lo, exec_lo, s33
	s_and_saveexec_b32 s33, s24
	s_cbranch_execnz .LBB156_120
.LBB156_88:                             ;   in Loop: Header=BB156_63 Depth=1
	s_or_b32 exec_lo, exec_lo, s33
	s_and_saveexec_b32 s33, s25
	s_cbranch_execnz .LBB156_121
.LBB156_89:                             ;   in Loop: Header=BB156_63 Depth=1
	s_or_b32 exec_lo, exec_lo, s33
	s_and_saveexec_b32 s33, s26
	s_cbranch_execnz .LBB156_122
.LBB156_90:                             ;   in Loop: Header=BB156_63 Depth=1
	s_or_b32 exec_lo, exec_lo, s33
	s_and_saveexec_b32 s33, s27
	s_cbranch_execnz .LBB156_123
.LBB156_91:                             ;   in Loop: Header=BB156_63 Depth=1
	s_or_b32 exec_lo, exec_lo, s33
	s_and_saveexec_b32 s33, s28
	s_cbranch_execnz .LBB156_124
.LBB156_92:                             ;   in Loop: Header=BB156_63 Depth=1
	s_or_b32 exec_lo, exec_lo, s33
	s_and_saveexec_b32 s33, s29
	s_cbranch_execnz .LBB156_125
.LBB156_93:                             ;   in Loop: Header=BB156_63 Depth=1
	s_or_b32 exec_lo, exec_lo, s33
	s_and_saveexec_b32 s33, s30
	s_cbranch_execnz .LBB156_126
.LBB156_94:                             ;   in Loop: Header=BB156_63 Depth=1
	s_or_b32 exec_lo, exec_lo, s33
	v_ashrrev_i32_e32 v9, 31, v8
	s_and_saveexec_b32 s33, s31
	s_cbranch_execnz .LBB156_127
.LBB156_95:                             ;   in Loop: Header=BB156_63 Depth=1
	s_or_b32 exec_lo, exec_lo, s33
	s_and_saveexec_b32 s31, vcc_lo
	s_cbranch_execz .LBB156_62
	s_branch .LBB156_128
.LBB156_96:                             ;   in Loop: Header=BB156_63 Depth=1
	v_mov_b32_e32 v4, s37
	ds_load_b32 v4, v4
	s_waitcnt lgkmcnt(0)
	v_add_nc_u32_e32 v8, v4, v8
	s_or_b32 exec_lo, exec_lo, s33
	s_and_saveexec_b32 s33, s1
	s_cbranch_execz .LBB156_65
.LBB156_97:                             ;   in Loop: Header=BB156_63 Depth=1
	v_mov_b32_e32 v4, s38
	ds_load_b32 v4, v4
	s_waitcnt lgkmcnt(0)
	v_add_nc_u32_e32 v8, v8, v4
	s_or_b32 exec_lo, exec_lo, s33
	s_and_saveexec_b32 s33, s2
	s_cbranch_execz .LBB156_66
.LBB156_98:                             ;   in Loop: Header=BB156_63 Depth=1
	v_mov_b32_e32 v4, s39
	ds_load_b32 v4, v4
	s_waitcnt lgkmcnt(0)
	v_add_nc_u32_e32 v8, v8, v4
	s_or_b32 exec_lo, exec_lo, s33
	s_and_saveexec_b32 s33, s3
	s_cbranch_execz .LBB156_67
.LBB156_99:                             ;   in Loop: Header=BB156_63 Depth=1
	v_mov_b32_e32 v4, s40
	ds_load_b32 v4, v4
	s_waitcnt lgkmcnt(0)
	v_add_nc_u32_e32 v8, v8, v4
	s_or_b32 exec_lo, exec_lo, s33
	s_and_saveexec_b32 s33, s4
	s_cbranch_execz .LBB156_68
.LBB156_100:                            ;   in Loop: Header=BB156_63 Depth=1
	v_mov_b32_e32 v4, s41
	ds_load_b32 v4, v4
	s_waitcnt lgkmcnt(0)
	v_add_nc_u32_e32 v8, v8, v4
	s_or_b32 exec_lo, exec_lo, s33
	s_and_saveexec_b32 s33, s5
	s_cbranch_execz .LBB156_69
.LBB156_101:                            ;   in Loop: Header=BB156_63 Depth=1
	v_mov_b32_e32 v4, s44
	ds_load_b32 v4, v4
	s_waitcnt lgkmcnt(0)
	v_add_nc_u32_e32 v8, v8, v4
	s_or_b32 exec_lo, exec_lo, s33
	s_and_saveexec_b32 s33, s6
	s_cbranch_execz .LBB156_70
.LBB156_102:                            ;   in Loop: Header=BB156_63 Depth=1
	v_mov_b32_e32 v4, s45
	ds_load_b32 v4, v4
	s_waitcnt lgkmcnt(0)
	v_add_nc_u32_e32 v8, v8, v4
	s_or_b32 exec_lo, exec_lo, s33
	s_and_saveexec_b32 s33, s7
	s_cbranch_execz .LBB156_71
.LBB156_103:                            ;   in Loop: Header=BB156_63 Depth=1
	v_mov_b32_e32 v4, s47
	ds_load_b32 v4, v4
	s_waitcnt lgkmcnt(0)
	v_add_nc_u32_e32 v8, v8, v4
	s_or_b32 exec_lo, exec_lo, s33
	s_and_saveexec_b32 s33, s8
	s_cbranch_execz .LBB156_72
.LBB156_104:                            ;   in Loop: Header=BB156_63 Depth=1
	v_mov_b32_e32 v4, s52
	ds_load_b32 v4, v4
	s_waitcnt lgkmcnt(0)
	v_add_nc_u32_e32 v8, v8, v4
	s_or_b32 exec_lo, exec_lo, s33
	s_and_saveexec_b32 s33, s9
	s_cbranch_execz .LBB156_73
.LBB156_105:                            ;   in Loop: Header=BB156_63 Depth=1
	v_mov_b32_e32 v4, s53
	ds_load_b32 v4, v4
	s_waitcnt lgkmcnt(0)
	v_add_nc_u32_e32 v8, v8, v4
	s_or_b32 exec_lo, exec_lo, s33
	s_and_saveexec_b32 s33, s10
	s_cbranch_execz .LBB156_74
.LBB156_106:                            ;   in Loop: Header=BB156_63 Depth=1
	v_mov_b32_e32 v4, s54
	ds_load_b32 v4, v4
	s_waitcnt lgkmcnt(0)
	v_add_nc_u32_e32 v8, v8, v4
	s_or_b32 exec_lo, exec_lo, s33
	s_and_saveexec_b32 s33, s11
	s_cbranch_execz .LBB156_75
.LBB156_107:                            ;   in Loop: Header=BB156_63 Depth=1
	v_mov_b32_e32 v4, s55
	ds_load_b32 v4, v4
	s_waitcnt lgkmcnt(0)
	v_add_nc_u32_e32 v8, v8, v4
	s_or_b32 exec_lo, exec_lo, s33
	s_and_saveexec_b32 s33, s12
	s_cbranch_execz .LBB156_76
.LBB156_108:                            ;   in Loop: Header=BB156_63 Depth=1
	v_mov_b32_e32 v4, s56
	ds_load_b32 v4, v4
	s_waitcnt lgkmcnt(0)
	v_add_nc_u32_e32 v8, v8, v4
	s_or_b32 exec_lo, exec_lo, s33
	s_and_saveexec_b32 s33, s13
	s_cbranch_execz .LBB156_77
.LBB156_109:                            ;   in Loop: Header=BB156_63 Depth=1
	v_mov_b32_e32 v4, s57
	ds_load_b32 v4, v4
	s_waitcnt lgkmcnt(0)
	v_add_nc_u32_e32 v8, v8, v4
	s_or_b32 exec_lo, exec_lo, s33
	s_and_saveexec_b32 s33, s14
	s_cbranch_execz .LBB156_78
.LBB156_110:                            ;   in Loop: Header=BB156_63 Depth=1
	v_mov_b32_e32 v4, s58
	ds_load_b32 v4, v4
	s_waitcnt lgkmcnt(0)
	v_add_nc_u32_e32 v8, v8, v4
	s_or_b32 exec_lo, exec_lo, s33
	s_and_saveexec_b32 s33, s15
	s_cbranch_execz .LBB156_79
.LBB156_111:                            ;   in Loop: Header=BB156_63 Depth=1
	v_mov_b32_e32 v4, s59
	ds_load_b32 v4, v4
	s_waitcnt lgkmcnt(0)
	v_add_nc_u32_e32 v8, v8, v4
	s_or_b32 exec_lo, exec_lo, s33
	s_and_saveexec_b32 s33, s16
	s_cbranch_execz .LBB156_80
.LBB156_112:                            ;   in Loop: Header=BB156_63 Depth=1
	v_mov_b32_e32 v4, s60
	ds_load_b32 v4, v4
	s_waitcnt lgkmcnt(0)
	v_add_nc_u32_e32 v8, v8, v4
	s_or_b32 exec_lo, exec_lo, s33
	s_and_saveexec_b32 s33, s17
	s_cbranch_execz .LBB156_81
.LBB156_113:                            ;   in Loop: Header=BB156_63 Depth=1
	v_mov_b32_e32 v4, s61
	ds_load_b32 v4, v4
	s_waitcnt lgkmcnt(0)
	v_add_nc_u32_e32 v8, v8, v4
	s_or_b32 exec_lo, exec_lo, s33
	s_and_saveexec_b32 s33, s18
	s_cbranch_execz .LBB156_82
.LBB156_114:                            ;   in Loop: Header=BB156_63 Depth=1
	v_mov_b32_e32 v4, s62
	ds_load_b32 v4, v4
	s_waitcnt lgkmcnt(0)
	v_add_nc_u32_e32 v8, v8, v4
	s_or_b32 exec_lo, exec_lo, s33
	s_and_saveexec_b32 s33, s19
	s_cbranch_execz .LBB156_83
.LBB156_115:                            ;   in Loop: Header=BB156_63 Depth=1
	v_mov_b32_e32 v4, s63
	ds_load_b32 v4, v4
	s_waitcnt lgkmcnt(0)
	v_add_nc_u32_e32 v8, v8, v4
	s_or_b32 exec_lo, exec_lo, s33
	s_and_saveexec_b32 s33, s20
	s_cbranch_execz .LBB156_84
.LBB156_116:                            ;   in Loop: Header=BB156_63 Depth=1
	v_mov_b32_e32 v4, s64
	ds_load_b32 v4, v4
	s_waitcnt lgkmcnt(0)
	v_add_nc_u32_e32 v8, v8, v4
	s_or_b32 exec_lo, exec_lo, s33
	s_and_saveexec_b32 s33, s21
	s_cbranch_execz .LBB156_85
.LBB156_117:                            ;   in Loop: Header=BB156_63 Depth=1
	v_mov_b32_e32 v4, s65
	ds_load_b32 v4, v4
	s_waitcnt lgkmcnt(0)
	v_add_nc_u32_e32 v8, v8, v4
	s_or_b32 exec_lo, exec_lo, s33
	s_and_saveexec_b32 s33, s22
	s_cbranch_execz .LBB156_86
.LBB156_118:                            ;   in Loop: Header=BB156_63 Depth=1
	v_mov_b32_e32 v4, s66
	ds_load_b32 v4, v4
	s_waitcnt lgkmcnt(0)
	v_add_nc_u32_e32 v8, v8, v4
	s_or_b32 exec_lo, exec_lo, s33
	s_and_saveexec_b32 s33, s23
	s_cbranch_execz .LBB156_87
.LBB156_119:                            ;   in Loop: Header=BB156_63 Depth=1
	v_mov_b32_e32 v4, s67
	ds_load_b32 v4, v4
	s_waitcnt lgkmcnt(0)
	v_add_nc_u32_e32 v8, v8, v4
	s_or_b32 exec_lo, exec_lo, s33
	s_and_saveexec_b32 s33, s24
	s_cbranch_execz .LBB156_88
.LBB156_120:                            ;   in Loop: Header=BB156_63 Depth=1
	v_mov_b32_e32 v4, s68
	ds_load_b32 v4, v4
	s_waitcnt lgkmcnt(0)
	v_add_nc_u32_e32 v8, v8, v4
	s_or_b32 exec_lo, exec_lo, s33
	s_and_saveexec_b32 s33, s25
	s_cbranch_execz .LBB156_89
.LBB156_121:                            ;   in Loop: Header=BB156_63 Depth=1
	v_mov_b32_e32 v4, s69
	ds_load_b32 v4, v4
	s_waitcnt lgkmcnt(0)
	v_add_nc_u32_e32 v8, v8, v4
	s_or_b32 exec_lo, exec_lo, s33
	s_and_saveexec_b32 s33, s26
	s_cbranch_execz .LBB156_90
.LBB156_122:                            ;   in Loop: Header=BB156_63 Depth=1
	v_mov_b32_e32 v4, s70
	ds_load_b32 v4, v4
	s_waitcnt lgkmcnt(0)
	v_add_nc_u32_e32 v8, v8, v4
	s_or_b32 exec_lo, exec_lo, s33
	s_and_saveexec_b32 s33, s27
	s_cbranch_execz .LBB156_91
.LBB156_123:                            ;   in Loop: Header=BB156_63 Depth=1
	v_mov_b32_e32 v4, s72
	ds_load_b32 v4, v4
	s_waitcnt lgkmcnt(0)
	v_add_nc_u32_e32 v8, v8, v4
	s_or_b32 exec_lo, exec_lo, s33
	s_and_saveexec_b32 s33, s28
	s_cbranch_execz .LBB156_92
.LBB156_124:                            ;   in Loop: Header=BB156_63 Depth=1
	v_mov_b32_e32 v4, s73
	ds_load_b32 v4, v4
	s_waitcnt lgkmcnt(0)
	v_add_nc_u32_e32 v8, v8, v4
	s_or_b32 exec_lo, exec_lo, s33
	s_and_saveexec_b32 s33, s29
	s_cbranch_execz .LBB156_93
.LBB156_125:                            ;   in Loop: Header=BB156_63 Depth=1
	v_mov_b32_e32 v4, s74
	ds_load_b32 v4, v4
	s_waitcnt lgkmcnt(0)
	v_add_nc_u32_e32 v8, v8, v4
	s_or_b32 exec_lo, exec_lo, s33
	s_and_saveexec_b32 s33, s30
	s_cbranch_execz .LBB156_94
.LBB156_126:                            ;   in Loop: Header=BB156_63 Depth=1
	v_mov_b32_e32 v4, s75
	ds_load_b32 v4, v4
	s_waitcnt lgkmcnt(0)
	v_add_nc_u32_e32 v8, v8, v4
	s_or_b32 exec_lo, exec_lo, s33
	s_delay_alu instid0(VALU_DEP_1)
	v_ashrrev_i32_e32 v9, 31, v8
	s_and_saveexec_b32 s33, s31
	s_cbranch_execz .LBB156_95
.LBB156_127:                            ;   in Loop: Header=BB156_63 Depth=1
	scratch_load_b128 v[13:16], off, off
	v_add3_u32 v4, v2, -1, v8
	s_delay_alu instid0(VALU_DEP_1) | instskip(SKIP_1) | instid1(VALU_DEP_2)
	v_lshlrev_b32_e32 v17, 4, v4
	v_lshl_add_u32 v4, v4, 3, 0
	v_add3_u32 v17, 0, v17, 0x40000
	ds_store_b64 v4, v[6:7]
	s_waitcnt vmcnt(0)
	ds_store_2addr_b64 v17, v[13:14], v[15:16] offset1:1
	s_or_b32 exec_lo, exec_lo, s33
	s_and_saveexec_b32 s31, vcc_lo
	s_cbranch_execz .LBB156_62
.LBB156_128:                            ;   in Loop: Header=BB156_63 Depth=1
	v_mov_b32_e32 v4, s71
	ds_store_b64 v4, v[8:9]
	s_branch .LBB156_62
.LBB156_129:
	s_or_b32 exec_lo, exec_lo, s36
	s_lshl_b64 s[0:1], s[50:51], 3
	v_mov_b32_e32 v1, 0
	s_add_u32 s0, s42, s0
	s_addc_u32 s1, s43, s1
	s_mov_b32 s6, exec_lo
	s_load_b128 s[0:3], s[0:1], 0x0
	s_waitcnt lgkmcnt(0)
	s_sub_u32 s4, s2, s0
	s_subb_u32 s5, s3, s1
	s_delay_alu instid0(SALU_CYCLE_1)
	v_cmpx_gt_i64_e64 s[4:5], v[0:1]
	s_cbranch_execz .LBB156_139
; %bb.130:
	s_sub_u32 s8, s0, s46
	s_subb_u32 s9, s1, 0
	s_and_b32 s6, s4, 7
	s_sub_u32 s0, s0, s2
	s_subb_u32 s1, s1, s3
	s_mov_b32 s7, 0
	v_cmp_lt_u64_e64 s12, s[0:1], -7
	s_and_b32 s2, s4, -8
	s_cmp_lg_u64 s[6:7], 0
	s_mov_b32 s3, s5
	s_cselect_b32 s13, -1, 0
	s_mov_b32 s14, s7
	s_branch .LBB156_132
.LBB156_131:                            ;   in Loop: Header=BB156_132 Depth=1
	s_waitcnt lgkmcnt(0)
	v_lshlrev_b32_e32 v2, 4, v0
	v_add_co_u32 v0, vcc_lo, 0x400, v0
	v_add_co_ci_u32_e32 v1, vcc_lo, 0, v1, vcc_lo
	s_delay_alu instid0(VALU_DEP_3) | instskip(NEXT) | instid1(VALU_DEP_2)
	v_add3_u32 v2, 0, v2, 0x40000
	v_cmp_le_i64_e32 vcc_lo, s[4:5], v[0:1]
	ds_load_2addr_b64 v[6:9], v2 offset1:1
	v_lshlrev_b64 v[2:3], 4, v[4:5]
	s_or_b32 s14, vcc_lo, s14
	s_delay_alu instid0(VALU_DEP_1) | instskip(NEXT) | instid1(VALU_DEP_1)
	v_add_co_u32 v2, s0, s34, v2
	v_add_co_ci_u32_e64 v3, s0, s35, v3, s0
	s_waitcnt lgkmcnt(0)
	global_store_b128 v[2:3], v[6:9], off
	s_and_not1_b32 exec_lo, exec_lo, s14
	s_cbranch_execz .LBB156_139
.LBB156_132:                            ; =>This Loop Header: Depth=1
                                        ;     Child Loop BB156_134 Depth 2
                                        ;     Child Loop BB156_138 Depth 2
	v_lshl_add_u32 v2, v0, 3, 0
	v_dual_mov_b32 v4, s8 :: v_dual_mov_b32 v5, s9
	s_and_not1_b32 vcc_lo, exec_lo, s12
	s_mov_b64 s[0:1], 0
	ds_load_b64 v[2:3], v2
	s_cbranch_vccnz .LBB156_136
; %bb.133:                              ;   in Loop: Header=BB156_132 Depth=1
	v_dual_mov_b32 v4, s8 :: v_dual_mov_b32 v5, s9
	s_mov_b64 s[10:11], 0
	s_mov_b32 s1, 0
.LBB156_134:                            ;   Parent Loop BB156_132 Depth=1
                                        ; =>  This Inner Loop Header: Depth=2
	s_delay_alu instid0(SALU_CYCLE_1)
	v_mov_b32_e32 v18, s1
	s_add_u32 s10, s10, 8
	s_addc_u32 s11, s11, 0
	s_add_i32 s1, s1, 64
	s_cmp_eq_u64 s[2:3], s[10:11]
	ds_load_2addr_b64 v[6:9], v18 offset1:1
	ds_load_2addr_b64 v[10:13], v18 offset0:2 offset1:3
	ds_load_2addr_b64 v[14:17], v18 offset0:4 offset1:5
	;; [unrolled: 1-line block ×3, first 2 shown]
	s_waitcnt lgkmcnt(3)
	v_cmp_gt_i64_e32 vcc_lo, v[2:3], v[6:7]
	v_cndmask_b32_e64 v6, 0, 1, vcc_lo
	v_cmp_gt_i64_e32 vcc_lo, v[2:3], v[8:9]
	v_cndmask_b32_e64 v7, 0, 1, vcc_lo
	s_waitcnt lgkmcnt(2)
	v_cmp_gt_i64_e32 vcc_lo, v[2:3], v[10:11]
	v_cndmask_b32_e64 v8, 0, 1, vcc_lo
	v_cmp_gt_i64_e32 vcc_lo, v[2:3], v[12:13]
	v_cndmask_b32_e64 v9, 0, 1, vcc_lo
	s_waitcnt lgkmcnt(1)
	v_cmp_gt_i64_e32 vcc_lo, v[2:3], v[14:15]
	v_cndmask_b32_e64 v10, 0, 1, vcc_lo
	v_add_co_u32 v4, vcc_lo, v4, v6
	v_add_co_ci_u32_e32 v5, vcc_lo, 0, v5, vcc_lo
	v_cmp_gt_i64_e32 vcc_lo, v[2:3], v[16:17]
	s_delay_alu instid0(VALU_DEP_3) | instskip(NEXT) | instid1(VALU_DEP_1)
	v_add_co_u32 v4, s0, v4, v7
	v_add_co_ci_u32_e64 v5, s0, 0, v5, s0
	v_cndmask_b32_e64 v6, 0, 1, vcc_lo
	s_delay_alu instid0(VALU_DEP_3) | instskip(NEXT) | instid1(VALU_DEP_3)
	v_add_co_u32 v4, vcc_lo, v4, v8
	v_add_co_ci_u32_e32 v5, vcc_lo, 0, v5, vcc_lo
	s_waitcnt lgkmcnt(0)
	v_cmp_gt_i64_e32 vcc_lo, v[2:3], v[18:19]
	s_delay_alu instid0(VALU_DEP_3) | instskip(NEXT) | instid1(VALU_DEP_1)
	v_add_co_u32 v4, s0, v4, v9
	v_add_co_ci_u32_e64 v5, s0, 0, v5, s0
	v_cndmask_b32_e64 v7, 0, 1, vcc_lo
	s_delay_alu instid0(VALU_DEP_3) | instskip(NEXT) | instid1(VALU_DEP_3)
	v_add_co_u32 v4, vcc_lo, v4, v10
	v_add_co_ci_u32_e32 v5, vcc_lo, 0, v5, vcc_lo
	v_cmp_gt_i64_e32 vcc_lo, v[2:3], v[20:21]
	s_delay_alu instid0(VALU_DEP_3) | instskip(NEXT) | instid1(VALU_DEP_1)
	v_add_co_u32 v4, s0, v4, v6
	v_add_co_ci_u32_e64 v5, s0, 0, v5, s0
	v_cndmask_b32_e64 v6, 0, 1, vcc_lo
	s_delay_alu instid0(VALU_DEP_3) | instskip(NEXT) | instid1(VALU_DEP_3)
	v_add_co_u32 v4, vcc_lo, v4, v7
	v_add_co_ci_u32_e32 v5, vcc_lo, 0, v5, vcc_lo
	s_delay_alu instid0(VALU_DEP_2) | instskip(NEXT) | instid1(VALU_DEP_2)
	v_add_co_u32 v4, vcc_lo, v4, v6
	v_add_co_ci_u32_e32 v5, vcc_lo, 0, v5, vcc_lo
	s_cbranch_scc0 .LBB156_134
; %bb.135:                              ;   in Loop: Header=BB156_132 Depth=1
	s_mov_b64 s[0:1], s[2:3]
.LBB156_136:                            ;   in Loop: Header=BB156_132 Depth=1
	s_and_not1_b32 vcc_lo, exec_lo, s13
	s_cbranch_vccnz .LBB156_131
; %bb.137:                              ;   in Loop: Header=BB156_132 Depth=1
	s_lshl_b32 s0, s0, 3
	s_delay_alu instid0(SALU_CYCLE_1)
	s_add_i32 s10, s0, 0
	s_mov_b64 s[0:1], s[6:7]
.LBB156_138:                            ;   Parent Loop BB156_132 Depth=1
                                        ; =>  This Inner Loop Header: Depth=2
	v_mov_b32_e32 v6, s10
	s_add_i32 s10, s10, 8
	s_add_u32 s0, s0, -1
	s_addc_u32 s1, s1, -1
	s_delay_alu instid0(SALU_CYCLE_1) | instskip(SKIP_4) | instid1(VALU_DEP_1)
	s_cmp_lg_u64 s[0:1], 0
	ds_load_b64 v[6:7], v6
	s_waitcnt lgkmcnt(0)
	v_cmp_gt_i64_e32 vcc_lo, v[2:3], v[6:7]
	v_cndmask_b32_e64 v6, 0, 1, vcc_lo
	v_add_co_u32 v4, vcc_lo, v4, v6
	v_add_co_ci_u32_e32 v5, vcc_lo, 0, v5, vcc_lo
	s_cbranch_scc1 .LBB156_138
	s_branch .LBB156_131
.LBB156_139:
	s_nop 0
	s_sendmsg sendmsg(MSG_DEALLOC_VGPRS)
	s_endpgm
	.section	.rodata,"a",@progbits
	.p2align	6, 0x0
	.amdhsa_kernel _ZN9rocsparseL41csrgemm_numeric_fill_block_per_row_kernelILj1024ELj64ELj32768ELj137ELj32Ell21rocsparse_complex_numIdEEEvT5_PKS3_S5_NS_24const_host_device_scalarIT6_EEPKT4_S5_PKS7_SB_S5_SD_S8_SB_S5_SD_SB_S5_PS7_21rocsparse_index_base_SF_SF_SF_bbb
		.amdhsa_group_segment_fixed_size 0
		.amdhsa_private_segment_fixed_size 40
		.amdhsa_kernarg_size 172
		.amdhsa_user_sgpr_count 15
		.amdhsa_user_sgpr_dispatch_ptr 0
		.amdhsa_user_sgpr_queue_ptr 0
		.amdhsa_user_sgpr_kernarg_segment_ptr 1
		.amdhsa_user_sgpr_dispatch_id 0
		.amdhsa_user_sgpr_private_segment_size 0
		.amdhsa_wavefront_size32 1
		.amdhsa_uses_dynamic_stack 0
		.amdhsa_enable_private_segment 1
		.amdhsa_system_sgpr_workgroup_id_x 1
		.amdhsa_system_sgpr_workgroup_id_y 0
		.amdhsa_system_sgpr_workgroup_id_z 0
		.amdhsa_system_sgpr_workgroup_info 0
		.amdhsa_system_vgpr_workitem_id 0
		.amdhsa_next_free_vgpr 36
		.amdhsa_next_free_sgpr 76
		.amdhsa_reserve_vcc 1
		.amdhsa_float_round_mode_32 0
		.amdhsa_float_round_mode_16_64 0
		.amdhsa_float_denorm_mode_32 3
		.amdhsa_float_denorm_mode_16_64 3
		.amdhsa_dx10_clamp 1
		.amdhsa_ieee_mode 1
		.amdhsa_fp16_overflow 0
		.amdhsa_workgroup_processor_mode 1
		.amdhsa_memory_ordered 1
		.amdhsa_forward_progress 0
		.amdhsa_shared_vgpr_count 0
		.amdhsa_exception_fp_ieee_invalid_op 0
		.amdhsa_exception_fp_denorm_src 0
		.amdhsa_exception_fp_ieee_div_zero 0
		.amdhsa_exception_fp_ieee_overflow 0
		.amdhsa_exception_fp_ieee_underflow 0
		.amdhsa_exception_fp_ieee_inexact 0
		.amdhsa_exception_int_div_zero 0
	.end_amdhsa_kernel
	.section	.text._ZN9rocsparseL41csrgemm_numeric_fill_block_per_row_kernelILj1024ELj64ELj32768ELj137ELj32Ell21rocsparse_complex_numIdEEEvT5_PKS3_S5_NS_24const_host_device_scalarIT6_EEPKT4_S5_PKS7_SB_S5_SD_S8_SB_S5_SD_SB_S5_PS7_21rocsparse_index_base_SF_SF_SF_bbb,"axG",@progbits,_ZN9rocsparseL41csrgemm_numeric_fill_block_per_row_kernelILj1024ELj64ELj32768ELj137ELj32Ell21rocsparse_complex_numIdEEEvT5_PKS3_S5_NS_24const_host_device_scalarIT6_EEPKT4_S5_PKS7_SB_S5_SD_S8_SB_S5_SD_SB_S5_PS7_21rocsparse_index_base_SF_SF_SF_bbb,comdat
.Lfunc_end156:
	.size	_ZN9rocsparseL41csrgemm_numeric_fill_block_per_row_kernelILj1024ELj64ELj32768ELj137ELj32Ell21rocsparse_complex_numIdEEEvT5_PKS3_S5_NS_24const_host_device_scalarIT6_EEPKT4_S5_PKS7_SB_S5_SD_S8_SB_S5_SD_SB_S5_PS7_21rocsparse_index_base_SF_SF_SF_bbb, .Lfunc_end156-_ZN9rocsparseL41csrgemm_numeric_fill_block_per_row_kernelILj1024ELj64ELj32768ELj137ELj32Ell21rocsparse_complex_numIdEEEvT5_PKS3_S5_NS_24const_host_device_scalarIT6_EEPKT4_S5_PKS7_SB_S5_SD_S8_SB_S5_SD_SB_S5_PS7_21rocsparse_index_base_SF_SF_SF_bbb
                                        ; -- End function
	.section	.AMDGPU.csdata,"",@progbits
; Kernel info:
; codeLenInByte = 5676
; NumSgprs: 78
; NumVgprs: 36
; ScratchSize: 40
; MemoryBound: 0
; FloatMode: 240
; IeeeMode: 1
; LDSByteSize: 0 bytes/workgroup (compile time only)
; SGPRBlocks: 9
; VGPRBlocks: 4
; NumSGPRsForWavesPerEU: 78
; NumVGPRsForWavesPerEU: 36
; Occupancy: 16
; WaveLimiterHint : 1
; COMPUTE_PGM_RSRC2:SCRATCH_EN: 1
; COMPUTE_PGM_RSRC2:USER_SGPR: 15
; COMPUTE_PGM_RSRC2:TRAP_HANDLER: 0
; COMPUTE_PGM_RSRC2:TGID_X_EN: 1
; COMPUTE_PGM_RSRC2:TGID_Y_EN: 0
; COMPUTE_PGM_RSRC2:TGID_Z_EN: 0
; COMPUTE_PGM_RSRC2:TIDIG_COMP_CNT: 0
	.section	.text._ZN9rocsparseL41csrgemm_numeric_fill_block_per_row_kernelILj1024ELj64ELj32768ELj137ELj64Ell21rocsparse_complex_numIdEEEvT5_PKS3_S5_NS_24const_host_device_scalarIT6_EEPKT4_S5_PKS7_SB_S5_SD_S8_SB_S5_SD_SB_S5_PS7_21rocsparse_index_base_SF_SF_SF_bbb,"axG",@progbits,_ZN9rocsparseL41csrgemm_numeric_fill_block_per_row_kernelILj1024ELj64ELj32768ELj137ELj64Ell21rocsparse_complex_numIdEEEvT5_PKS3_S5_NS_24const_host_device_scalarIT6_EEPKT4_S5_PKS7_SB_S5_SD_S8_SB_S5_SD_SB_S5_PS7_21rocsparse_index_base_SF_SF_SF_bbb,comdat
	.globl	_ZN9rocsparseL41csrgemm_numeric_fill_block_per_row_kernelILj1024ELj64ELj32768ELj137ELj64Ell21rocsparse_complex_numIdEEEvT5_PKS3_S5_NS_24const_host_device_scalarIT6_EEPKT4_S5_PKS7_SB_S5_SD_S8_SB_S5_SD_SB_S5_PS7_21rocsparse_index_base_SF_SF_SF_bbb ; -- Begin function _ZN9rocsparseL41csrgemm_numeric_fill_block_per_row_kernelILj1024ELj64ELj32768ELj137ELj64Ell21rocsparse_complex_numIdEEEvT5_PKS3_S5_NS_24const_host_device_scalarIT6_EEPKT4_S5_PKS7_SB_S5_SD_S8_SB_S5_SD_SB_S5_PS7_21rocsparse_index_base_SF_SF_SF_bbb
	.p2align	8
	.type	_ZN9rocsparseL41csrgemm_numeric_fill_block_per_row_kernelILj1024ELj64ELj32768ELj137ELj64Ell21rocsparse_complex_numIdEEEvT5_PKS3_S5_NS_24const_host_device_scalarIT6_EEPKT4_S5_PKS7_SB_S5_SD_S8_SB_S5_SD_SB_S5_PS7_21rocsparse_index_base_SF_SF_SF_bbb,@function
_ZN9rocsparseL41csrgemm_numeric_fill_block_per_row_kernelILj1024ELj64ELj32768ELj137ELj64Ell21rocsparse_complex_numIdEEEvT5_PKS3_S5_NS_24const_host_device_scalarIT6_EEPKT4_S5_PKS7_SB_S5_SD_S8_SB_S5_SD_SB_S5_PS7_21rocsparse_index_base_SF_SF_SF_bbb: ; @_ZN9rocsparseL41csrgemm_numeric_fill_block_per_row_kernelILj1024ELj64ELj32768ELj137ELj64Ell21rocsparse_complex_numIdEEEvT5_PKS3_S5_NS_24const_host_device_scalarIT6_EEPKT4_S5_PKS7_SB_S5_SD_S8_SB_S5_SD_SB_S5_PS7_21rocsparse_index_base_SF_SF_SF_bbb
; %bb.0:
	s_clause 0x3
	s_load_b32 s42, s[0:1], 0xa8
	s_load_b128 s[4:7], s[0:1], 0x18
	s_load_b128 s[28:31], s[0:1], 0x58
	;; [unrolled: 1-line block ×3, first 2 shown]
	v_mov_b32_e32 v1, 0
	v_mov_b32_e32 v2, 0
	s_mov_b32 s40, s15
	s_waitcnt lgkmcnt(0)
	s_bitcmp1_b32 s42, 0
	v_mov_b32_e32 v3, s4
	s_cselect_b32 s33, -1, 0
	s_bitcmp1_b32 s42, 16
	v_dual_mov_b32 v6, v2 :: v_dual_mov_b32 v5, v1
	s_cselect_b32 s2, -1, 0
	v_mov_b32_e32 v4, s5
	s_xor_b32 s41, s2, -1
	v_dual_mov_b32 v9, s28 :: v_dual_mov_b32 v10, s29
	v_cndmask_b32_e64 v7, 0, 1, s41
	s_bitcmp0_b32 s42, 0
	s_clause 0x1
	scratch_store_b64 off, v[3:4], off offset:16
	scratch_store_b64 off, v[9:10], off offset:24
	v_cmp_ne_u32_e32 vcc_lo, 1, v7
	v_dual_mov_b32 v8, v2 :: v_dual_mov_b32 v7, v1
	s_cbranch_scc1 .LBB157_3
; %bb.1:
	s_mov_b64 s[8:9], src_private_base
	s_and_b32 s3, s2, exec_lo
	s_cselect_b32 s3, s9, s5
	s_delay_alu instid0(SALU_CYCLE_1) | instskip(SKIP_2) | instid1(VALU_DEP_2)
	v_dual_mov_b32 v3, 16 :: v_dual_mov_b32 v4, s3
	v_dual_mov_b32 v8, s7 :: v_dual_mov_b32 v7, s6
	s_and_b32 vcc_lo, exec_lo, vcc_lo
	v_cndmask_b32_e64 v3, s4, v3, s2
	flat_load_b64 v[5:6], v[3:4]
	s_cbranch_vccnz .LBB157_3
; %bb.2:
	v_dual_mov_b32 v3, s4 :: v_dual_mov_b32 v4, s5
	flat_load_b64 v[7:8], v[3:4] offset:8
.LBB157_3:
	s_clause 0x4
	s_load_b64 s[34:35], s[0:1], 0x90
	s_load_b256 s[12:19], s[0:1], 0x68
	s_load_b128 s[24:27], s[0:1], 0x48
	s_load_b128 s[36:39], s[0:1], 0x8
	s_load_b256 s[4:11], s[0:1], 0x28
	s_bitcmp1_b32 s42, 8
	v_dual_mov_b32 v4, v2 :: v_dual_mov_b32 v3, v1
	s_cselect_b32 s3, -1, 0
	s_bfe_u32 s42, s42, 0x10008
	s_delay_alu instid0(SALU_CYCLE_1)
	s_cmp_eq_u32 s42, 0
	s_cbranch_scc1 .LBB157_6
; %bb.4:
	s_mov_b64 s[42:43], src_private_base
	s_and_b32 s42, s2, exec_lo
	s_cselect_b32 s42, s43, s29
	s_delay_alu instid0(SALU_CYCLE_1) | instskip(SKIP_1) | instid1(VALU_DEP_1)
	v_dual_mov_b32 v1, 24 :: v_dual_mov_b32 v2, s42
	s_and_not1_b32 vcc_lo, exec_lo, s41
	v_cndmask_b32_e64 v1, s28, v1, s2
	flat_load_b64 v[3:4], v[1:2]
	v_dual_mov_b32 v1, s30 :: v_dual_mov_b32 v2, s31
	s_cbranch_vccnz .LBB157_6
; %bb.5:
	v_dual_mov_b32 v1, s28 :: v_dual_mov_b32 v2, s29
	flat_load_b64 v[1:2], v[1:2] offset:8
.LBB157_6:
	s_load_b64 s[28:29], s[0:1], 0x0
	s_mov_b32 s0, 0
	v_or_b32_e32 v27, 0xfffffc00, v0
	v_lshl_add_u32 v28, v0, 3, 0
	s_mov_b32 s1, s0
	s_delay_alu instid0(SALU_CYCLE_1)
	v_dual_mov_b32 v10, s1 :: v_dual_lshlrev_b32 v29, 4, v0
	s_mov_b32 s30, s0
	s_mov_b32 s31, s0
	v_dual_mov_b32 v11, s30 :: v_dual_mov_b32 v16, v28
	v_dual_mov_b32 v9, s0 :: v_dual_mov_b32 v12, s31
	v_add3_u32 v15, v29, 0, 0x40008
	v_mov_b32_e32 v17, v27
	s_waitcnt lgkmcnt(0)
	v_dual_mov_b32 v13, s28 :: v_dual_mov_b32 v14, s29
.LBB157_7:                              ; =>This Inner Loop Header: Depth=1
	s_delay_alu instid0(VALU_DEP_2)
	v_add_nc_u32_e32 v17, 0x400, v17
	ds_store_b64 v16, v[13:14]
	v_add_nc_u32_e32 v18, -8, v15
	v_add_nc_u32_e32 v15, 0x4000, v15
	v_add_nc_u32_e32 v16, 0x2000, v16
	v_cmp_lt_u32_e32 vcc_lo, 0x7bff, v17
	ds_store_2addr_b64 v18, v[9:10], v[11:12] offset1:1
	s_or_b32 s0, vcc_lo, s0
	s_delay_alu instid0(SALU_CYCLE_1)
	s_and_not1_b32 exec_lo, exec_lo, s0
	s_cbranch_execnz .LBB157_7
; %bb.8:
	s_or_b32 exec_lo, exec_lo, s0
	s_waitcnt vmcnt(0) lgkmcnt(0)
	s_waitcnt_vscnt null, 0x0
	s_barrier
	buffer_gl0_inv
	s_load_b64 s[0:1], s[36:37], 0x0
	s_mov_b32 s41, 0
	v_lshrrev_b32_e32 v30, 6, v0
	s_waitcnt lgkmcnt(0)
	s_lshl_b64 s[0:1], s[0:1], 3
	s_delay_alu instid0(SALU_CYCLE_1) | instskip(SKIP_2) | instid1(SALU_CYCLE_1)
	s_add_u32 s2, s38, s0
	s_addc_u32 s30, s39, s1
	s_lshl_b64 s[0:1], s[40:41], 3
	s_add_u32 s0, s2, s0
	s_addc_u32 s1, s30, s1
	s_and_b32 vcc_lo, exec_lo, s33
	s_load_b64 s[30:31], s[0:1], 0x0
	s_cbranch_vccz .LBB157_36
; %bb.9:
	s_waitcnt lgkmcnt(0)
	s_lshl_b64 s[0:1], s[30:31], 3
	s_mov_b32 s2, exec_lo
	s_add_u32 s0, s4, s0
	s_addc_u32 s1, s5, s1
	s_load_b128 s[36:39], s[0:1], 0x0
	v_sub_co_u32 v9, s0, v30, s20
	s_delay_alu instid0(VALU_DEP_1) | instskip(SKIP_1) | instid1(VALU_DEP_2)
	v_sub_co_ci_u32_e64 v10, null, 0, 0, s0
	s_waitcnt lgkmcnt(0)
	v_add_co_u32 v9, vcc_lo, s36, v9
	s_delay_alu instid0(VALU_DEP_2)
	v_add_co_ci_u32_e32 v10, vcc_lo, s37, v10, vcc_lo
	s_sub_u32 s0, s38, s20
	s_subb_u32 s1, s39, 0
	s_delay_alu instid0(VALU_DEP_1) | instid1(SALU_CYCLE_1)
	v_cmpx_gt_i64_e64 s[0:1], v[9:10]
	s_cbranch_execz .LBB157_35
; %bb.10:
	v_and_b32_e32 v11, 63, v0
	s_mov_b32 s5, s21
	s_delay_alu instid0(VALU_DEP_1) | instskip(NEXT) | instid1(VALU_DEP_1)
	v_sub_co_u32 v31, s4, v11, s21
	v_sub_co_ci_u32_e64 v32, null, 0, 0, s4
	s_mov_b32 s4, 0
	s_branch .LBB157_12
.LBB157_11:                             ;   in Loop: Header=BB157_12 Depth=1
	s_or_b32 exec_lo, exec_lo, s21
	v_add_co_u32 v9, vcc_lo, v9, 16
	v_add_co_ci_u32_e32 v10, vcc_lo, 0, v10, vcc_lo
	s_delay_alu instid0(VALU_DEP_1) | instskip(SKIP_1) | instid1(SALU_CYCLE_1)
	v_cmp_le_i64_e32 vcc_lo, s[0:1], v[9:10]
	s_or_b32 s4, vcc_lo, s4
	s_and_not1_b32 exec_lo, exec_lo, s4
	s_cbranch_execz .LBB157_35
.LBB157_12:                             ; =>This Loop Header: Depth=1
                                        ;     Child Loop BB157_15 Depth 2
                                        ;       Child Loop BB157_17 Depth 3
                                        ;         Child Loop BB157_23 Depth 4
                                        ;         Child Loop BB157_25 Depth 4
	;; [unrolled: 1-line block ×4, first 2 shown]
	v_lshlrev_b64 v[11:12], 3, v[9:10]
	s_mov_b32 s21, exec_lo
	s_delay_alu instid0(VALU_DEP_1) | instskip(NEXT) | instid1(VALU_DEP_2)
	v_add_co_u32 v11, vcc_lo, s6, v11
	v_add_co_ci_u32_e32 v12, vcc_lo, s7, v12, vcc_lo
	global_load_b64 v[11:12], v[11:12], off
	s_waitcnt vmcnt(0)
	v_sub_co_u32 v11, vcc_lo, v11, s20
	v_subrev_co_ci_u32_e32 v12, vcc_lo, 0, v12, vcc_lo
	s_delay_alu instid0(VALU_DEP_1) | instskip(NEXT) | instid1(VALU_DEP_1)
	v_lshlrev_b64 v[11:12], 3, v[11:12]
	v_add_co_u32 v11, vcc_lo, s10, v11
	s_delay_alu instid0(VALU_DEP_2)
	v_add_co_ci_u32_e32 v12, vcc_lo, s11, v12, vcc_lo
	global_load_b128 v[13:16], v[11:12], off
	s_waitcnt vmcnt(0)
	v_sub_co_u32 v11, vcc_lo, v15, s5
	v_subrev_co_ci_u32_e32 v12, vcc_lo, 0, v16, vcc_lo
	v_add_co_u32 v13, vcc_lo, v13, v31
	v_add_co_ci_u32_e32 v14, vcc_lo, v14, v32, vcc_lo
	s_delay_alu instid0(VALU_DEP_1)
	v_cmpx_lt_i64_e64 v[13:14], v[11:12]
	s_cbranch_execz .LBB157_11
; %bb.13:                               ;   in Loop: Header=BB157_12 Depth=1
	v_lshlrev_b64 v[15:16], 4, v[9:10]
	s_mov_b32 s33, 0
	s_delay_alu instid0(VALU_DEP_1) | instskip(NEXT) | instid1(VALU_DEP_2)
	v_add_co_u32 v15, vcc_lo, s8, v15
	v_add_co_ci_u32_e32 v16, vcc_lo, s9, v16, vcc_lo
	global_load_b128 v[17:20], v[15:16], off
	s_waitcnt vmcnt(0)
	v_mul_f64 v[15:16], v[19:20], -v[7:8]
	v_mul_f64 v[19:20], v[5:6], v[19:20]
	s_delay_alu instid0(VALU_DEP_2) | instskip(NEXT) | instid1(VALU_DEP_2)
	v_fma_f64 v[15:16], v[5:6], v[17:18], v[15:16]
	v_fma_f64 v[17:18], v[7:8], v[17:18], v[19:20]
	s_branch .LBB157_15
.LBB157_14:                             ;   in Loop: Header=BB157_15 Depth=2
	s_or_b32 exec_lo, exec_lo, s36
	v_add_co_u32 v13, vcc_lo, v13, 64
	v_add_co_ci_u32_e32 v14, vcc_lo, 0, v14, vcc_lo
	s_delay_alu instid0(VALU_DEP_1) | instskip(SKIP_1) | instid1(SALU_CYCLE_1)
	v_cmp_ge_i64_e32 vcc_lo, v[13:14], v[11:12]
	s_or_b32 s33, vcc_lo, s33
	s_and_not1_b32 exec_lo, exec_lo, s33
	s_cbranch_execz .LBB157_11
.LBB157_15:                             ;   Parent Loop BB157_12 Depth=1
                                        ; =>  This Loop Header: Depth=2
                                        ;       Child Loop BB157_17 Depth 3
                                        ;         Child Loop BB157_23 Depth 4
                                        ;         Child Loop BB157_25 Depth 4
	;; [unrolled: 1-line block ×4, first 2 shown]
	v_lshlrev_b64 v[19:20], 4, v[13:14]
	s_mov_b32 s36, 0
	s_delay_alu instid0(VALU_DEP_1) | instskip(NEXT) | instid1(VALU_DEP_2)
	v_add_co_u32 v19, vcc_lo, s26, v19
	v_add_co_ci_u32_e32 v20, vcc_lo, s27, v20, vcc_lo
	global_load_b128 v[21:24], v[19:20], off
	v_lshlrev_b64 v[19:20], 3, v[13:14]
	s_delay_alu instid0(VALU_DEP_1) | instskip(NEXT) | instid1(VALU_DEP_2)
	v_add_co_u32 v19, vcc_lo, s24, v19
	v_add_co_ci_u32_e32 v20, vcc_lo, s25, v20, vcc_lo
	global_load_b64 v[25:26], v[19:20], off
	s_waitcnt vmcnt(1)
	v_mul_f64 v[19:20], v[23:24], -v[17:18]
	v_mul_f64 v[23:24], v[15:16], v[23:24]
	s_delay_alu instid0(VALU_DEP_2) | instskip(NEXT) | instid1(VALU_DEP_2)
	v_fma_f64 v[19:20], v[15:16], v[21:22], v[19:20]
	v_fma_f64 v[21:22], v[17:18], v[21:22], v[23:24]
	s_waitcnt vmcnt(0)
	v_sub_co_u32 v23, vcc_lo, v25, s5
	v_subrev_co_ci_u32_e32 v24, vcc_lo, 0, v26, vcc_lo
	s_delay_alu instid0(VALU_DEP_2) | instskip(NEXT) | instid1(VALU_DEP_1)
	v_mul_lo_u32 v25, 0x89, v23
	v_and_b32_e32 v33, 0x7fff, v25
	s_branch .LBB157_17
.LBB157_16:                             ;   in Loop: Header=BB157_17 Depth=3
	s_or_b32 exec_lo, exec_lo, s37
	s_xor_b32 s37, s38, -1
	s_delay_alu instid0(SALU_CYCLE_1) | instskip(NEXT) | instid1(SALU_CYCLE_1)
	s_and_b32 s37, exec_lo, s37
	s_or_b32 s36, s37, s36
	s_delay_alu instid0(SALU_CYCLE_1)
	s_and_not1_b32 exec_lo, exec_lo, s36
	s_cbranch_execz .LBB157_14
.LBB157_17:                             ;   Parent Loop BB157_12 Depth=1
                                        ;     Parent Loop BB157_15 Depth=2
                                        ; =>    This Loop Header: Depth=3
                                        ;         Child Loop BB157_23 Depth 4
                                        ;         Child Loop BB157_25 Depth 4
                                        ;         Child Loop BB157_31 Depth 4
                                        ;         Child Loop BB157_33 Depth 4
	s_delay_alu instid0(VALU_DEP_1)
	v_lshl_add_u32 v34, v33, 3, 0
	s_mov_b32 s37, exec_lo
                                        ; implicit-def: $sgpr38
	ds_load_b64 v[25:26], v34
	s_waitcnt lgkmcnt(0)
	v_cmpx_ne_u64_e64 v[25:26], v[23:24]
	s_xor_b32 s37, exec_lo, s37
	s_cbranch_execz .LBB157_29
; %bb.18:                               ;   in Loop: Header=BB157_17 Depth=3
	s_mov_b32 s39, exec_lo
                                        ; implicit-def: $sgpr38
	v_cmpx_ne_u64_e64 s[28:29], v[25:26]
	s_xor_b32 s39, exec_lo, s39
; %bb.19:                               ;   in Loop: Header=BB157_17 Depth=3
	v_add_nc_u32_e32 v25, 1, v33
	s_mov_b32 s38, -1
                                        ; implicit-def: $vgpr34
	s_delay_alu instid0(VALU_DEP_1)
	v_and_b32_e32 v33, 0x7fff, v25
; %bb.20:                               ;   in Loop: Header=BB157_17 Depth=3
	s_and_not1_saveexec_b32 s39, s39
	s_cbranch_execz .LBB157_28
; %bb.21:                               ;   in Loop: Header=BB157_17 Depth=3
	v_dual_mov_b32 v25, s28 :: v_dual_mov_b32 v26, s29
	s_mov_b32 s41, -1
	s_mov_b32 s40, exec_lo
	ds_cmpstore_rtn_b64 v[25:26], v34, v[23:24], v[25:26]
	s_waitcnt lgkmcnt(0)
	v_cmpx_eq_u64_e64 s[28:29], v[25:26]
	s_cbranch_execz .LBB157_27
; %bb.22:                               ;   in Loop: Header=BB157_17 Depth=3
	v_lshlrev_b32_e32 v25, 4, v33
	s_mov_b32 s41, 0
	s_delay_alu instid0(VALU_DEP_1)
	v_add3_u32 v34, 0, v25, 0x40000
	ds_load_b64 v[25:26], v34
.LBB157_23:                             ;   Parent Loop BB157_12 Depth=1
                                        ;     Parent Loop BB157_15 Depth=2
                                        ;       Parent Loop BB157_17 Depth=3
                                        ; =>      This Inner Loop Header: Depth=4
	s_waitcnt lgkmcnt(0)
	v_add_f64 v[35:36], v[25:26], v[19:20]
	ds_cmpstore_rtn_b64 v[35:36], v34, v[35:36], v[25:26]
	s_waitcnt lgkmcnt(0)
	v_cmp_eq_u64_e32 vcc_lo, v[35:36], v[25:26]
	v_dual_mov_b32 v25, v35 :: v_dual_mov_b32 v26, v36
	s_or_b32 s41, vcc_lo, s41
	s_delay_alu instid0(SALU_CYCLE_1)
	s_and_not1_b32 exec_lo, exec_lo, s41
	s_cbranch_execnz .LBB157_23
; %bb.24:                               ;   in Loop: Header=BB157_17 Depth=3
	s_or_b32 exec_lo, exec_lo, s41
	ds_load_b64 v[25:26], v34 offset:8
	s_mov_b32 s41, 0
.LBB157_25:                             ;   Parent Loop BB157_12 Depth=1
                                        ;     Parent Loop BB157_15 Depth=2
                                        ;       Parent Loop BB157_17 Depth=3
                                        ; =>      This Inner Loop Header: Depth=4
	s_waitcnt lgkmcnt(0)
	v_add_f64 v[35:36], v[25:26], v[21:22]
	ds_cmpstore_rtn_b64 v[35:36], v34, v[35:36], v[25:26] offset:8
	s_waitcnt lgkmcnt(0)
	v_cmp_eq_u64_e32 vcc_lo, v[35:36], v[25:26]
	v_dual_mov_b32 v25, v35 :: v_dual_mov_b32 v26, v36
	s_or_b32 s41, vcc_lo, s41
	s_delay_alu instid0(SALU_CYCLE_1)
	s_and_not1_b32 exec_lo, exec_lo, s41
	s_cbranch_execnz .LBB157_25
; %bb.26:                               ;   in Loop: Header=BB157_17 Depth=3
	s_or_b32 exec_lo, exec_lo, s41
	s_delay_alu instid0(SALU_CYCLE_1)
	s_xor_b32 s41, exec_lo, -1
.LBB157_27:                             ;   in Loop: Header=BB157_17 Depth=3
	s_or_b32 exec_lo, exec_lo, s40
	s_delay_alu instid0(SALU_CYCLE_1) | instskip(SKIP_1) | instid1(SALU_CYCLE_1)
	s_and_not1_b32 s38, s38, exec_lo
	s_and_b32 s40, s41, exec_lo
	s_or_b32 s38, s38, s40
.LBB157_28:                             ;   in Loop: Header=BB157_17 Depth=3
	s_or_b32 exec_lo, exec_lo, s39
	s_delay_alu instid0(SALU_CYCLE_1)
	s_and_b32 s38, s38, exec_lo
.LBB157_29:                             ;   in Loop: Header=BB157_17 Depth=3
	s_and_not1_saveexec_b32 s37, s37
	s_cbranch_execz .LBB157_16
; %bb.30:                               ;   in Loop: Header=BB157_17 Depth=3
	v_lshlrev_b32_e32 v25, 4, v33
	s_mov_b32 s39, 0
	s_delay_alu instid0(VALU_DEP_1)
	v_add3_u32 v34, 0, v25, 0x40000
	ds_load_b64 v[25:26], v34
.LBB157_31:                             ;   Parent Loop BB157_12 Depth=1
                                        ;     Parent Loop BB157_15 Depth=2
                                        ;       Parent Loop BB157_17 Depth=3
                                        ; =>      This Inner Loop Header: Depth=4
	s_waitcnt lgkmcnt(0)
	v_add_f64 v[35:36], v[25:26], v[19:20]
	ds_cmpstore_rtn_b64 v[35:36], v34, v[35:36], v[25:26]
	s_waitcnt lgkmcnt(0)
	v_cmp_eq_u64_e32 vcc_lo, v[35:36], v[25:26]
	v_dual_mov_b32 v25, v35 :: v_dual_mov_b32 v26, v36
	s_or_b32 s39, vcc_lo, s39
	s_delay_alu instid0(SALU_CYCLE_1)
	s_and_not1_b32 exec_lo, exec_lo, s39
	s_cbranch_execnz .LBB157_31
; %bb.32:                               ;   in Loop: Header=BB157_17 Depth=3
	s_or_b32 exec_lo, exec_lo, s39
	ds_load_b64 v[25:26], v34 offset:8
	s_mov_b32 s39, 0
.LBB157_33:                             ;   Parent Loop BB157_12 Depth=1
                                        ;     Parent Loop BB157_15 Depth=2
                                        ;       Parent Loop BB157_17 Depth=3
                                        ; =>      This Inner Loop Header: Depth=4
	s_waitcnt lgkmcnt(0)
	v_add_f64 v[35:36], v[25:26], v[21:22]
	ds_cmpstore_rtn_b64 v[35:36], v34, v[35:36], v[25:26] offset:8
	s_waitcnt lgkmcnt(0)
	v_cmp_eq_u64_e32 vcc_lo, v[35:36], v[25:26]
	v_dual_mov_b32 v25, v35 :: v_dual_mov_b32 v26, v36
	s_or_b32 s39, vcc_lo, s39
	s_delay_alu instid0(SALU_CYCLE_1)
	s_and_not1_b32 exec_lo, exec_lo, s39
	s_cbranch_execnz .LBB157_33
; %bb.34:                               ;   in Loop: Header=BB157_17 Depth=3
	s_or_b32 exec_lo, exec_lo, s39
	s_delay_alu instid0(SALU_CYCLE_1)
	s_and_not1_b32 s38, s38, exec_lo
	s_branch .LBB157_16
.LBB157_35:
	s_or_b32 exec_lo, exec_lo, s2
.LBB157_36:
	s_delay_alu instid0(SALU_CYCLE_1)
	s_and_not1_b32 vcc_lo, exec_lo, s3
	s_cbranch_vccnz .LBB157_61
; %bb.37:
	s_waitcnt lgkmcnt(0)
	s_lshl_b64 s[0:1], s[30:31], 3
	v_sub_co_u32 v5, s4, v0, s23
	s_add_u32 s0, s12, s0
	s_addc_u32 s1, s13, s1
	v_sub_co_ci_u32_e64 v6, null, 0, 0, s4
	s_load_b128 s[0:3], s[0:1], 0x0
	s_waitcnt lgkmcnt(0)
	v_add_co_u32 v5, vcc_lo, s0, v5
	s_delay_alu instid0(VALU_DEP_2)
	v_add_co_ci_u32_e32 v6, vcc_lo, s1, v6, vcc_lo
	s_sub_u32 s0, s2, s23
	s_subb_u32 s1, s3, 0
	s_mov_b32 s2, 0
	s_mov_b32 s3, exec_lo
	v_cmpx_gt_i64_e64 s[0:1], v[5:6]
	s_cbranch_execz .LBB157_60
; %bb.38:
	s_mov_b32 s4, s23
	s_branch .LBB157_40
.LBB157_39:                             ;   in Loop: Header=BB157_40 Depth=1
	s_or_b32 exec_lo, exec_lo, s5
	v_add_co_u32 v5, vcc_lo, 0x400, v5
	v_add_co_ci_u32_e32 v6, vcc_lo, 0, v6, vcc_lo
	s_delay_alu instid0(VALU_DEP_1) | instskip(SKIP_1) | instid1(SALU_CYCLE_1)
	v_cmp_le_i64_e32 vcc_lo, s[0:1], v[5:6]
	s_or_b32 s2, vcc_lo, s2
	s_and_not1_b32 exec_lo, exec_lo, s2
	s_cbranch_execz .LBB157_60
.LBB157_40:                             ; =>This Loop Header: Depth=1
                                        ;     Child Loop BB157_42 Depth 2
                                        ;       Child Loop BB157_48 Depth 3
                                        ;       Child Loop BB157_50 Depth 3
	;; [unrolled: 1-line block ×4, first 2 shown]
	v_lshlrev_b64 v[7:8], 4, v[5:6]
	s_mov_b32 s5, 0
	s_delay_alu instid0(VALU_DEP_1) | instskip(NEXT) | instid1(VALU_DEP_2)
	v_add_co_u32 v7, vcc_lo, s16, v7
	v_add_co_ci_u32_e32 v8, vcc_lo, s17, v8, vcc_lo
	global_load_b128 v[9:12], v[7:8], off
	v_lshlrev_b64 v[7:8], 3, v[5:6]
	s_delay_alu instid0(VALU_DEP_1) | instskip(NEXT) | instid1(VALU_DEP_2)
	v_add_co_u32 v7, vcc_lo, s14, v7
	v_add_co_ci_u32_e32 v8, vcc_lo, s15, v8, vcc_lo
	global_load_b64 v[13:14], v[7:8], off
	s_waitcnt vmcnt(1)
	v_mul_f64 v[7:8], v[11:12], -v[1:2]
	v_mul_f64 v[11:12], v[3:4], v[11:12]
	s_delay_alu instid0(VALU_DEP_2) | instskip(NEXT) | instid1(VALU_DEP_2)
	v_fma_f64 v[7:8], v[3:4], v[9:10], v[7:8]
	v_fma_f64 v[9:10], v[1:2], v[9:10], v[11:12]
	s_waitcnt vmcnt(0)
	v_sub_co_u32 v11, vcc_lo, v13, s4
	v_subrev_co_ci_u32_e32 v12, vcc_lo, 0, v14, vcc_lo
	s_delay_alu instid0(VALU_DEP_2) | instskip(NEXT) | instid1(VALU_DEP_1)
	v_mul_lo_u32 v13, 0x89, v11
	v_and_b32_e32 v15, 0x7fff, v13
	s_branch .LBB157_42
.LBB157_41:                             ;   in Loop: Header=BB157_42 Depth=2
	s_or_b32 exec_lo, exec_lo, s6
	s_xor_b32 s6, s7, -1
	s_delay_alu instid0(SALU_CYCLE_1) | instskip(NEXT) | instid1(SALU_CYCLE_1)
	s_and_b32 s6, exec_lo, s6
	s_or_b32 s5, s6, s5
	s_delay_alu instid0(SALU_CYCLE_1)
	s_and_not1_b32 exec_lo, exec_lo, s5
	s_cbranch_execz .LBB157_39
.LBB157_42:                             ;   Parent Loop BB157_40 Depth=1
                                        ; =>  This Loop Header: Depth=2
                                        ;       Child Loop BB157_48 Depth 3
                                        ;       Child Loop BB157_50 Depth 3
	;; [unrolled: 1-line block ×4, first 2 shown]
	s_delay_alu instid0(VALU_DEP_1)
	v_lshl_add_u32 v16, v15, 3, 0
	s_mov_b32 s6, exec_lo
                                        ; implicit-def: $sgpr7
	ds_load_b64 v[13:14], v16
	s_waitcnt lgkmcnt(0)
	v_cmpx_ne_u64_e64 v[13:14], v[11:12]
	s_xor_b32 s6, exec_lo, s6
	s_cbranch_execz .LBB157_54
; %bb.43:                               ;   in Loop: Header=BB157_42 Depth=2
	s_mov_b32 s8, exec_lo
                                        ; implicit-def: $sgpr7
	v_cmpx_ne_u64_e64 s[28:29], v[13:14]
	s_xor_b32 s8, exec_lo, s8
; %bb.44:                               ;   in Loop: Header=BB157_42 Depth=2
	v_add_nc_u32_e32 v13, 1, v15
	s_mov_b32 s7, -1
                                        ; implicit-def: $vgpr16
	s_delay_alu instid0(VALU_DEP_1)
	v_and_b32_e32 v15, 0x7fff, v13
; %bb.45:                               ;   in Loop: Header=BB157_42 Depth=2
	s_and_not1_saveexec_b32 s8, s8
	s_cbranch_execz .LBB157_53
; %bb.46:                               ;   in Loop: Header=BB157_42 Depth=2
	v_dual_mov_b32 v13, s28 :: v_dual_mov_b32 v14, s29
	s_mov_b32 s10, -1
	s_mov_b32 s9, exec_lo
	ds_cmpstore_rtn_b64 v[13:14], v16, v[11:12], v[13:14]
	s_waitcnt lgkmcnt(0)
	v_cmpx_eq_u64_e64 s[28:29], v[13:14]
	s_cbranch_execz .LBB157_52
; %bb.47:                               ;   in Loop: Header=BB157_42 Depth=2
	v_lshlrev_b32_e32 v13, 4, v15
	s_mov_b32 s10, 0
	s_delay_alu instid0(VALU_DEP_1)
	v_add3_u32 v16, 0, v13, 0x40000
	ds_load_b64 v[13:14], v16
.LBB157_48:                             ;   Parent Loop BB157_40 Depth=1
                                        ;     Parent Loop BB157_42 Depth=2
                                        ; =>    This Inner Loop Header: Depth=3
	s_waitcnt lgkmcnt(0)
	v_add_f64 v[17:18], v[13:14], v[7:8]
	ds_cmpstore_rtn_b64 v[17:18], v16, v[17:18], v[13:14]
	s_waitcnt lgkmcnt(0)
	v_cmp_eq_u64_e32 vcc_lo, v[17:18], v[13:14]
	v_dual_mov_b32 v13, v17 :: v_dual_mov_b32 v14, v18
	s_or_b32 s10, vcc_lo, s10
	s_delay_alu instid0(SALU_CYCLE_1)
	s_and_not1_b32 exec_lo, exec_lo, s10
	s_cbranch_execnz .LBB157_48
; %bb.49:                               ;   in Loop: Header=BB157_42 Depth=2
	s_or_b32 exec_lo, exec_lo, s10
	ds_load_b64 v[13:14], v16 offset:8
	s_mov_b32 s10, 0
.LBB157_50:                             ;   Parent Loop BB157_40 Depth=1
                                        ;     Parent Loop BB157_42 Depth=2
                                        ; =>    This Inner Loop Header: Depth=3
	s_waitcnt lgkmcnt(0)
	v_add_f64 v[17:18], v[13:14], v[9:10]
	ds_cmpstore_rtn_b64 v[17:18], v16, v[17:18], v[13:14] offset:8
	s_waitcnt lgkmcnt(0)
	v_cmp_eq_u64_e32 vcc_lo, v[17:18], v[13:14]
	v_dual_mov_b32 v13, v17 :: v_dual_mov_b32 v14, v18
	s_or_b32 s10, vcc_lo, s10
	s_delay_alu instid0(SALU_CYCLE_1)
	s_and_not1_b32 exec_lo, exec_lo, s10
	s_cbranch_execnz .LBB157_50
; %bb.51:                               ;   in Loop: Header=BB157_42 Depth=2
	s_or_b32 exec_lo, exec_lo, s10
	s_delay_alu instid0(SALU_CYCLE_1)
	s_xor_b32 s10, exec_lo, -1
.LBB157_52:                             ;   in Loop: Header=BB157_42 Depth=2
	s_or_b32 exec_lo, exec_lo, s9
	s_delay_alu instid0(SALU_CYCLE_1) | instskip(SKIP_1) | instid1(SALU_CYCLE_1)
	s_and_not1_b32 s7, s7, exec_lo
	s_and_b32 s9, s10, exec_lo
	s_or_b32 s7, s7, s9
.LBB157_53:                             ;   in Loop: Header=BB157_42 Depth=2
	s_or_b32 exec_lo, exec_lo, s8
	s_delay_alu instid0(SALU_CYCLE_1)
	s_and_b32 s7, s7, exec_lo
.LBB157_54:                             ;   in Loop: Header=BB157_42 Depth=2
	s_and_not1_saveexec_b32 s6, s6
	s_cbranch_execz .LBB157_41
; %bb.55:                               ;   in Loop: Header=BB157_42 Depth=2
	v_lshlrev_b32_e32 v13, 4, v15
	s_mov_b32 s8, 0
	s_delay_alu instid0(VALU_DEP_1)
	v_add3_u32 v16, 0, v13, 0x40000
	ds_load_b64 v[13:14], v16
.LBB157_56:                             ;   Parent Loop BB157_40 Depth=1
                                        ;     Parent Loop BB157_42 Depth=2
                                        ; =>    This Inner Loop Header: Depth=3
	s_waitcnt lgkmcnt(0)
	v_add_f64 v[17:18], v[13:14], v[7:8]
	ds_cmpstore_rtn_b64 v[17:18], v16, v[17:18], v[13:14]
	s_waitcnt lgkmcnt(0)
	v_cmp_eq_u64_e32 vcc_lo, v[17:18], v[13:14]
	v_dual_mov_b32 v13, v17 :: v_dual_mov_b32 v14, v18
	s_or_b32 s8, vcc_lo, s8
	s_delay_alu instid0(SALU_CYCLE_1)
	s_and_not1_b32 exec_lo, exec_lo, s8
	s_cbranch_execnz .LBB157_56
; %bb.57:                               ;   in Loop: Header=BB157_42 Depth=2
	s_or_b32 exec_lo, exec_lo, s8
	ds_load_b64 v[13:14], v16 offset:8
	s_mov_b32 s8, 0
.LBB157_58:                             ;   Parent Loop BB157_40 Depth=1
                                        ;     Parent Loop BB157_42 Depth=2
                                        ; =>    This Inner Loop Header: Depth=3
	s_waitcnt lgkmcnt(0)
	v_add_f64 v[17:18], v[13:14], v[9:10]
	ds_cmpstore_rtn_b64 v[17:18], v16, v[17:18], v[13:14] offset:8
	s_waitcnt lgkmcnt(0)
	v_cmp_eq_u64_e32 vcc_lo, v[17:18], v[13:14]
	v_dual_mov_b32 v13, v17 :: v_dual_mov_b32 v14, v18
	s_or_b32 s8, vcc_lo, s8
	s_delay_alu instid0(SALU_CYCLE_1)
	s_and_not1_b32 exec_lo, exec_lo, s8
	s_cbranch_execnz .LBB157_58
; %bb.59:                               ;   in Loop: Header=BB157_42 Depth=2
	s_or_b32 exec_lo, exec_lo, s8
	s_delay_alu instid0(SALU_CYCLE_1)
	s_and_not1_b32 s7, s7, exec_lo
	s_branch .LBB157_41
.LBB157_60:
	s_or_b32 exec_lo, exec_lo, s3
.LBB157_61:
	v_mbcnt_lo_u32_b32 v1, -1, 0
	v_dual_mov_b32 v5, 0 :: v_dual_lshlrev_b32 v2, 3, v30
	s_add_i32 s39, 0, 0xc0078
	v_cmp_eq_u32_e32 vcc_lo, 0x3ff, v0
	s_delay_alu instid0(VALU_DEP_3) | instskip(NEXT) | instid1(VALU_DEP_3)
	v_xor_b32_e32 v1, 63, v1
	v_add3_u32 v10, 0, 0xc0000, v2
	v_cmp_lt_u32_e64 s0, 63, v0
	v_cmp_lt_u32_e64 s1, 0x7f, v0
	v_cmp_lt_u32_e64 s2, 0xbf, v0
	v_lshrrev_b64 v[1:2], v1, -1
	v_mov_b32_e32 v2, 0
	v_cmp_lt_u32_e64 s3, 0xff, v0
	v_cmp_lt_u32_e64 s4, 0x13f, v0
	;; [unrolled: 1-line block ×12, first 2 shown]
	v_add3_u32 v11, v29, 0, 0x40000
	v_dual_mov_b32 v3, 0 :: v_dual_mov_b32 v12, s39
	s_mov_b32 s17, 0
	s_add_i32 s20, 0, 0xc0000
	s_add_i32 s21, 0, 0xc0008
	s_add_i32 s23, 0, 0xc0010
	s_add_i32 s24, 0, 0xc0018
	s_add_i32 s25, 0, 0xc0020
	s_add_i32 s26, 0, 0xc0028
	s_add_i32 s27, 0, 0xc0030
	s_add_i32 s33, 0, 0xc0038
	s_add_i32 s36, 0, 0xc0040
	s_add_i32 s37, 0, 0xc0048
	s_add_i32 s38, 0, 0xc0050
	s_add_i32 s40, 0, 0xc0058
	s_add_i32 s41, 0, 0xc0060
	s_add_i32 s42, 0, 0xc0068
	s_add_i32 s43, 0, 0xc0070
	s_waitcnt lgkmcnt(0)
	s_barrier
	buffer_gl0_inv
	s_branch .LBB157_63
.LBB157_62:                             ;   in Loop: Header=BB157_63 Depth=1
	s_or_b32 exec_lo, exec_lo, s15
	s_waitcnt lgkmcnt(0)
	s_barrier
	buffer_gl0_inv
	ds_load_b64 v[6:7], v12
	v_add_nc_u32_e32 v27, 0x400, v27
	v_add_nc_u32_e32 v11, 0x4000, v11
	;; [unrolled: 1-line block ×3, first 2 shown]
	s_delay_alu instid0(VALU_DEP_3) | instskip(NEXT) | instid1(VALU_DEP_1)
	v_cmp_lt_u32_e64 s15, 0x7bff, v27
	s_or_b32 s17, s15, s17
	s_waitcnt lgkmcnt(0)
	v_add_co_u32 v2, s16, v6, v2
	s_delay_alu instid0(VALU_DEP_1)
	v_add_co_ci_u32_e64 v3, s16, v7, v3, s16
	s_and_not1_b32 exec_lo, exec_lo, s17
	s_cbranch_execz .LBB157_97
.LBB157_63:                             ; =>This Inner Loop Header: Depth=1
	ds_load_b64 v[6:7], v28
	ds_load_2addr_b64 v[13:16], v11 offset1:1
	s_waitcnt lgkmcnt(1)
	v_cmp_gt_i64_e64 s15, s[28:29], v[6:7]
	s_waitcnt lgkmcnt(0)
	scratch_store_b128 off, v[13:16], off
	s_waitcnt_vscnt null, 0x0
	s_barrier
	buffer_gl0_inv
	v_and_b32_e32 v8, s15, v1
	s_bcnt1_i32_b32 s16, s15
	s_delay_alu instid0(SALU_CYCLE_1) | instskip(NEXT) | instid1(VALU_DEP_2)
	v_mov_b32_e32 v4, s16
	v_bcnt_u32_b32 v8, v8, 0
	ds_store_b64 v10, v[4:5]
	s_waitcnt lgkmcnt(0)
	s_barrier
	buffer_gl0_inv
	s_and_saveexec_b32 s16, s0
	s_cbranch_execnz .LBB157_80
; %bb.64:                               ;   in Loop: Header=BB157_63 Depth=1
	s_or_b32 exec_lo, exec_lo, s16
	s_and_saveexec_b32 s16, s1
	s_cbranch_execnz .LBB157_81
.LBB157_65:                             ;   in Loop: Header=BB157_63 Depth=1
	s_or_b32 exec_lo, exec_lo, s16
	s_and_saveexec_b32 s16, s2
	s_cbranch_execnz .LBB157_82
.LBB157_66:                             ;   in Loop: Header=BB157_63 Depth=1
	s_or_b32 exec_lo, exec_lo, s16
	s_and_saveexec_b32 s16, s3
	s_cbranch_execnz .LBB157_83
.LBB157_67:                             ;   in Loop: Header=BB157_63 Depth=1
	s_or_b32 exec_lo, exec_lo, s16
	s_and_saveexec_b32 s16, s4
	s_cbranch_execnz .LBB157_84
.LBB157_68:                             ;   in Loop: Header=BB157_63 Depth=1
	s_or_b32 exec_lo, exec_lo, s16
	s_and_saveexec_b32 s16, s5
	s_cbranch_execnz .LBB157_85
.LBB157_69:                             ;   in Loop: Header=BB157_63 Depth=1
	s_or_b32 exec_lo, exec_lo, s16
	s_and_saveexec_b32 s16, s6
	s_cbranch_execnz .LBB157_86
.LBB157_70:                             ;   in Loop: Header=BB157_63 Depth=1
	s_or_b32 exec_lo, exec_lo, s16
	s_and_saveexec_b32 s16, s7
	s_cbranch_execnz .LBB157_87
.LBB157_71:                             ;   in Loop: Header=BB157_63 Depth=1
	s_or_b32 exec_lo, exec_lo, s16
	s_and_saveexec_b32 s16, s8
	s_cbranch_execnz .LBB157_88
.LBB157_72:                             ;   in Loop: Header=BB157_63 Depth=1
	s_or_b32 exec_lo, exec_lo, s16
	s_and_saveexec_b32 s16, s9
	s_cbranch_execnz .LBB157_89
.LBB157_73:                             ;   in Loop: Header=BB157_63 Depth=1
	s_or_b32 exec_lo, exec_lo, s16
	s_and_saveexec_b32 s16, s10
	s_cbranch_execnz .LBB157_90
.LBB157_74:                             ;   in Loop: Header=BB157_63 Depth=1
	s_or_b32 exec_lo, exec_lo, s16
	s_and_saveexec_b32 s16, s11
	s_cbranch_execnz .LBB157_91
.LBB157_75:                             ;   in Loop: Header=BB157_63 Depth=1
	s_or_b32 exec_lo, exec_lo, s16
	s_and_saveexec_b32 s16, s12
	s_cbranch_execnz .LBB157_92
.LBB157_76:                             ;   in Loop: Header=BB157_63 Depth=1
	s_or_b32 exec_lo, exec_lo, s16
	s_and_saveexec_b32 s16, s13
	s_cbranch_execnz .LBB157_93
.LBB157_77:                             ;   in Loop: Header=BB157_63 Depth=1
	s_or_b32 exec_lo, exec_lo, s16
	s_and_saveexec_b32 s16, s14
	s_cbranch_execnz .LBB157_94
.LBB157_78:                             ;   in Loop: Header=BB157_63 Depth=1
	s_or_b32 exec_lo, exec_lo, s16
	v_ashrrev_i32_e32 v9, 31, v8
	s_and_saveexec_b32 s16, s15
	s_cbranch_execnz .LBB157_95
.LBB157_79:                             ;   in Loop: Header=BB157_63 Depth=1
	s_or_b32 exec_lo, exec_lo, s16
	s_and_saveexec_b32 s15, vcc_lo
	s_cbranch_execz .LBB157_62
	s_branch .LBB157_96
.LBB157_80:                             ;   in Loop: Header=BB157_63 Depth=1
	v_mov_b32_e32 v4, s20
	ds_load_b32 v4, v4
	s_waitcnt lgkmcnt(0)
	v_add_nc_u32_e32 v8, v4, v8
	s_or_b32 exec_lo, exec_lo, s16
	s_and_saveexec_b32 s16, s1
	s_cbranch_execz .LBB157_65
.LBB157_81:                             ;   in Loop: Header=BB157_63 Depth=1
	v_mov_b32_e32 v4, s21
	ds_load_b32 v4, v4
	s_waitcnt lgkmcnt(0)
	v_add_nc_u32_e32 v8, v8, v4
	s_or_b32 exec_lo, exec_lo, s16
	s_and_saveexec_b32 s16, s2
	s_cbranch_execz .LBB157_66
.LBB157_82:                             ;   in Loop: Header=BB157_63 Depth=1
	v_mov_b32_e32 v4, s23
	ds_load_b32 v4, v4
	s_waitcnt lgkmcnt(0)
	v_add_nc_u32_e32 v8, v8, v4
	s_or_b32 exec_lo, exec_lo, s16
	s_and_saveexec_b32 s16, s3
	s_cbranch_execz .LBB157_67
.LBB157_83:                             ;   in Loop: Header=BB157_63 Depth=1
	v_mov_b32_e32 v4, s24
	ds_load_b32 v4, v4
	s_waitcnt lgkmcnt(0)
	v_add_nc_u32_e32 v8, v8, v4
	s_or_b32 exec_lo, exec_lo, s16
	s_and_saveexec_b32 s16, s4
	s_cbranch_execz .LBB157_68
.LBB157_84:                             ;   in Loop: Header=BB157_63 Depth=1
	v_mov_b32_e32 v4, s25
	ds_load_b32 v4, v4
	s_waitcnt lgkmcnt(0)
	v_add_nc_u32_e32 v8, v8, v4
	s_or_b32 exec_lo, exec_lo, s16
	s_and_saveexec_b32 s16, s5
	s_cbranch_execz .LBB157_69
.LBB157_85:                             ;   in Loop: Header=BB157_63 Depth=1
	v_mov_b32_e32 v4, s26
	ds_load_b32 v4, v4
	s_waitcnt lgkmcnt(0)
	v_add_nc_u32_e32 v8, v8, v4
	s_or_b32 exec_lo, exec_lo, s16
	s_and_saveexec_b32 s16, s6
	s_cbranch_execz .LBB157_70
.LBB157_86:                             ;   in Loop: Header=BB157_63 Depth=1
	v_mov_b32_e32 v4, s27
	ds_load_b32 v4, v4
	s_waitcnt lgkmcnt(0)
	v_add_nc_u32_e32 v8, v8, v4
	s_or_b32 exec_lo, exec_lo, s16
	s_and_saveexec_b32 s16, s7
	s_cbranch_execz .LBB157_71
.LBB157_87:                             ;   in Loop: Header=BB157_63 Depth=1
	v_mov_b32_e32 v4, s33
	ds_load_b32 v4, v4
	s_waitcnt lgkmcnt(0)
	v_add_nc_u32_e32 v8, v8, v4
	s_or_b32 exec_lo, exec_lo, s16
	s_and_saveexec_b32 s16, s8
	s_cbranch_execz .LBB157_72
.LBB157_88:                             ;   in Loop: Header=BB157_63 Depth=1
	v_mov_b32_e32 v4, s36
	ds_load_b32 v4, v4
	s_waitcnt lgkmcnt(0)
	v_add_nc_u32_e32 v8, v8, v4
	s_or_b32 exec_lo, exec_lo, s16
	s_and_saveexec_b32 s16, s9
	s_cbranch_execz .LBB157_73
.LBB157_89:                             ;   in Loop: Header=BB157_63 Depth=1
	v_mov_b32_e32 v4, s37
	ds_load_b32 v4, v4
	s_waitcnt lgkmcnt(0)
	v_add_nc_u32_e32 v8, v8, v4
	s_or_b32 exec_lo, exec_lo, s16
	s_and_saveexec_b32 s16, s10
	s_cbranch_execz .LBB157_74
.LBB157_90:                             ;   in Loop: Header=BB157_63 Depth=1
	v_mov_b32_e32 v4, s38
	ds_load_b32 v4, v4
	s_waitcnt lgkmcnt(0)
	v_add_nc_u32_e32 v8, v8, v4
	s_or_b32 exec_lo, exec_lo, s16
	s_and_saveexec_b32 s16, s11
	s_cbranch_execz .LBB157_75
.LBB157_91:                             ;   in Loop: Header=BB157_63 Depth=1
	v_mov_b32_e32 v4, s40
	ds_load_b32 v4, v4
	s_waitcnt lgkmcnt(0)
	v_add_nc_u32_e32 v8, v8, v4
	s_or_b32 exec_lo, exec_lo, s16
	s_and_saveexec_b32 s16, s12
	s_cbranch_execz .LBB157_76
.LBB157_92:                             ;   in Loop: Header=BB157_63 Depth=1
	v_mov_b32_e32 v4, s41
	ds_load_b32 v4, v4
	s_waitcnt lgkmcnt(0)
	v_add_nc_u32_e32 v8, v8, v4
	s_or_b32 exec_lo, exec_lo, s16
	s_and_saveexec_b32 s16, s13
	s_cbranch_execz .LBB157_77
.LBB157_93:                             ;   in Loop: Header=BB157_63 Depth=1
	v_mov_b32_e32 v4, s42
	ds_load_b32 v4, v4
	s_waitcnt lgkmcnt(0)
	v_add_nc_u32_e32 v8, v8, v4
	s_or_b32 exec_lo, exec_lo, s16
	s_and_saveexec_b32 s16, s14
	s_cbranch_execz .LBB157_78
.LBB157_94:                             ;   in Loop: Header=BB157_63 Depth=1
	v_mov_b32_e32 v4, s43
	ds_load_b32 v4, v4
	s_waitcnt lgkmcnt(0)
	v_add_nc_u32_e32 v8, v8, v4
	s_or_b32 exec_lo, exec_lo, s16
	s_delay_alu instid0(VALU_DEP_1)
	v_ashrrev_i32_e32 v9, 31, v8
	s_and_saveexec_b32 s16, s15
	s_cbranch_execz .LBB157_79
.LBB157_95:                             ;   in Loop: Header=BB157_63 Depth=1
	scratch_load_b128 v[13:16], off, off
	v_add3_u32 v4, v2, -1, v8
	s_delay_alu instid0(VALU_DEP_1) | instskip(SKIP_1) | instid1(VALU_DEP_2)
	v_lshlrev_b32_e32 v17, 4, v4
	v_lshl_add_u32 v4, v4, 3, 0
	v_add3_u32 v17, 0, v17, 0x40000
	ds_store_b64 v4, v[6:7]
	s_waitcnt vmcnt(0)
	ds_store_2addr_b64 v17, v[13:14], v[15:16] offset1:1
	s_or_b32 exec_lo, exec_lo, s16
	s_and_saveexec_b32 s15, vcc_lo
	s_cbranch_execz .LBB157_62
.LBB157_96:                             ;   in Loop: Header=BB157_63 Depth=1
	v_mov_b32_e32 v4, s39
	ds_store_b64 v4, v[8:9]
	s_branch .LBB157_62
.LBB157_97:
	s_or_b32 exec_lo, exec_lo, s17
	s_lshl_b64 s[0:1], s[30:31], 3
	v_mov_b32_e32 v1, 0
	s_add_u32 s0, s18, s0
	s_addc_u32 s1, s19, s1
	s_mov_b32 s6, exec_lo
	s_load_b128 s[0:3], s[0:1], 0x0
	s_waitcnt lgkmcnt(0)
	s_sub_u32 s4, s2, s0
	s_subb_u32 s5, s3, s1
	s_delay_alu instid0(SALU_CYCLE_1)
	v_cmpx_gt_i64_e64 s[4:5], v[0:1]
	s_cbranch_execz .LBB157_107
; %bb.98:
	s_sub_u32 s8, s0, s22
	s_subb_u32 s9, s1, 0
	s_and_b32 s6, s4, 7
	s_sub_u32 s0, s0, s2
	s_subb_u32 s1, s1, s3
	s_mov_b32 s7, 0
	v_cmp_lt_u64_e64 s12, s[0:1], -7
	s_and_b32 s2, s4, -8
	s_cmp_lg_u64 s[6:7], 0
	s_mov_b32 s3, s5
	s_cselect_b32 s13, -1, 0
	s_mov_b32 s14, s7
	s_branch .LBB157_100
.LBB157_99:                             ;   in Loop: Header=BB157_100 Depth=1
	s_waitcnt lgkmcnt(0)
	v_lshlrev_b32_e32 v2, 4, v0
	v_add_co_u32 v0, vcc_lo, 0x400, v0
	v_add_co_ci_u32_e32 v1, vcc_lo, 0, v1, vcc_lo
	s_delay_alu instid0(VALU_DEP_3) | instskip(NEXT) | instid1(VALU_DEP_2)
	v_add3_u32 v2, 0, v2, 0x40000
	v_cmp_le_i64_e32 vcc_lo, s[4:5], v[0:1]
	ds_load_2addr_b64 v[6:9], v2 offset1:1
	v_lshlrev_b64 v[2:3], 4, v[4:5]
	s_or_b32 s14, vcc_lo, s14
	s_delay_alu instid0(VALU_DEP_1) | instskip(NEXT) | instid1(VALU_DEP_1)
	v_add_co_u32 v2, s0, s34, v2
	v_add_co_ci_u32_e64 v3, s0, s35, v3, s0
	s_waitcnt lgkmcnt(0)
	global_store_b128 v[2:3], v[6:9], off
	s_and_not1_b32 exec_lo, exec_lo, s14
	s_cbranch_execz .LBB157_107
.LBB157_100:                            ; =>This Loop Header: Depth=1
                                        ;     Child Loop BB157_102 Depth 2
                                        ;     Child Loop BB157_106 Depth 2
	v_lshl_add_u32 v2, v0, 3, 0
	v_dual_mov_b32 v4, s8 :: v_dual_mov_b32 v5, s9
	s_and_not1_b32 vcc_lo, exec_lo, s12
	s_mov_b64 s[0:1], 0
	ds_load_b64 v[2:3], v2
	s_cbranch_vccnz .LBB157_104
; %bb.101:                              ;   in Loop: Header=BB157_100 Depth=1
	v_dual_mov_b32 v4, s8 :: v_dual_mov_b32 v5, s9
	s_mov_b64 s[10:11], 0
	s_mov_b32 s1, 0
.LBB157_102:                            ;   Parent Loop BB157_100 Depth=1
                                        ; =>  This Inner Loop Header: Depth=2
	s_delay_alu instid0(SALU_CYCLE_1)
	v_mov_b32_e32 v18, s1
	s_add_u32 s10, s10, 8
	s_addc_u32 s11, s11, 0
	s_add_i32 s1, s1, 64
	s_cmp_eq_u64 s[2:3], s[10:11]
	ds_load_2addr_b64 v[6:9], v18 offset1:1
	ds_load_2addr_b64 v[10:13], v18 offset0:2 offset1:3
	ds_load_2addr_b64 v[14:17], v18 offset0:4 offset1:5
	;; [unrolled: 1-line block ×3, first 2 shown]
	s_waitcnt lgkmcnt(3)
	v_cmp_gt_i64_e32 vcc_lo, v[2:3], v[6:7]
	v_cndmask_b32_e64 v6, 0, 1, vcc_lo
	v_cmp_gt_i64_e32 vcc_lo, v[2:3], v[8:9]
	v_cndmask_b32_e64 v7, 0, 1, vcc_lo
	s_waitcnt lgkmcnt(2)
	v_cmp_gt_i64_e32 vcc_lo, v[2:3], v[10:11]
	v_cndmask_b32_e64 v8, 0, 1, vcc_lo
	v_cmp_gt_i64_e32 vcc_lo, v[2:3], v[12:13]
	v_cndmask_b32_e64 v9, 0, 1, vcc_lo
	s_waitcnt lgkmcnt(1)
	v_cmp_gt_i64_e32 vcc_lo, v[2:3], v[14:15]
	v_cndmask_b32_e64 v10, 0, 1, vcc_lo
	v_add_co_u32 v4, vcc_lo, v4, v6
	v_add_co_ci_u32_e32 v5, vcc_lo, 0, v5, vcc_lo
	v_cmp_gt_i64_e32 vcc_lo, v[2:3], v[16:17]
	s_delay_alu instid0(VALU_DEP_3) | instskip(NEXT) | instid1(VALU_DEP_1)
	v_add_co_u32 v4, s0, v4, v7
	v_add_co_ci_u32_e64 v5, s0, 0, v5, s0
	v_cndmask_b32_e64 v6, 0, 1, vcc_lo
	s_delay_alu instid0(VALU_DEP_3) | instskip(NEXT) | instid1(VALU_DEP_3)
	v_add_co_u32 v4, vcc_lo, v4, v8
	v_add_co_ci_u32_e32 v5, vcc_lo, 0, v5, vcc_lo
	s_waitcnt lgkmcnt(0)
	v_cmp_gt_i64_e32 vcc_lo, v[2:3], v[18:19]
	s_delay_alu instid0(VALU_DEP_3) | instskip(NEXT) | instid1(VALU_DEP_1)
	v_add_co_u32 v4, s0, v4, v9
	v_add_co_ci_u32_e64 v5, s0, 0, v5, s0
	v_cndmask_b32_e64 v7, 0, 1, vcc_lo
	s_delay_alu instid0(VALU_DEP_3) | instskip(NEXT) | instid1(VALU_DEP_3)
	v_add_co_u32 v4, vcc_lo, v4, v10
	v_add_co_ci_u32_e32 v5, vcc_lo, 0, v5, vcc_lo
	v_cmp_gt_i64_e32 vcc_lo, v[2:3], v[20:21]
	s_delay_alu instid0(VALU_DEP_3) | instskip(NEXT) | instid1(VALU_DEP_1)
	v_add_co_u32 v4, s0, v4, v6
	v_add_co_ci_u32_e64 v5, s0, 0, v5, s0
	v_cndmask_b32_e64 v6, 0, 1, vcc_lo
	s_delay_alu instid0(VALU_DEP_3) | instskip(NEXT) | instid1(VALU_DEP_3)
	v_add_co_u32 v4, vcc_lo, v4, v7
	v_add_co_ci_u32_e32 v5, vcc_lo, 0, v5, vcc_lo
	s_delay_alu instid0(VALU_DEP_2) | instskip(NEXT) | instid1(VALU_DEP_2)
	v_add_co_u32 v4, vcc_lo, v4, v6
	v_add_co_ci_u32_e32 v5, vcc_lo, 0, v5, vcc_lo
	s_cbranch_scc0 .LBB157_102
; %bb.103:                              ;   in Loop: Header=BB157_100 Depth=1
	s_mov_b64 s[0:1], s[2:3]
.LBB157_104:                            ;   in Loop: Header=BB157_100 Depth=1
	s_and_not1_b32 vcc_lo, exec_lo, s13
	s_cbranch_vccnz .LBB157_99
; %bb.105:                              ;   in Loop: Header=BB157_100 Depth=1
	s_lshl_b32 s0, s0, 3
	s_delay_alu instid0(SALU_CYCLE_1)
	s_add_i32 s10, s0, 0
	s_mov_b64 s[0:1], s[6:7]
.LBB157_106:                            ;   Parent Loop BB157_100 Depth=1
                                        ; =>  This Inner Loop Header: Depth=2
	v_mov_b32_e32 v6, s10
	s_add_i32 s10, s10, 8
	s_add_u32 s0, s0, -1
	s_addc_u32 s1, s1, -1
	s_delay_alu instid0(SALU_CYCLE_1) | instskip(SKIP_4) | instid1(VALU_DEP_1)
	s_cmp_lg_u64 s[0:1], 0
	ds_load_b64 v[6:7], v6
	s_waitcnt lgkmcnt(0)
	v_cmp_gt_i64_e32 vcc_lo, v[2:3], v[6:7]
	v_cndmask_b32_e64 v6, 0, 1, vcc_lo
	v_add_co_u32 v4, vcc_lo, v4, v6
	v_add_co_ci_u32_e32 v5, vcc_lo, 0, v5, vcc_lo
	s_cbranch_scc1 .LBB157_106
	s_branch .LBB157_99
.LBB157_107:
	s_nop 0
	s_sendmsg sendmsg(MSG_DEALLOC_VGPRS)
	s_endpgm
	.section	.rodata,"a",@progbits
	.p2align	6, 0x0
	.amdhsa_kernel _ZN9rocsparseL41csrgemm_numeric_fill_block_per_row_kernelILj1024ELj64ELj32768ELj137ELj64Ell21rocsparse_complex_numIdEEEvT5_PKS3_S5_NS_24const_host_device_scalarIT6_EEPKT4_S5_PKS7_SB_S5_SD_S8_SB_S5_SD_SB_S5_PS7_21rocsparse_index_base_SF_SF_SF_bbb
		.amdhsa_group_segment_fixed_size 0
		.amdhsa_private_segment_fixed_size 40
		.amdhsa_kernarg_size 172
		.amdhsa_user_sgpr_count 15
		.amdhsa_user_sgpr_dispatch_ptr 0
		.amdhsa_user_sgpr_queue_ptr 0
		.amdhsa_user_sgpr_kernarg_segment_ptr 1
		.amdhsa_user_sgpr_dispatch_id 0
		.amdhsa_user_sgpr_private_segment_size 0
		.amdhsa_wavefront_size32 1
		.amdhsa_uses_dynamic_stack 0
		.amdhsa_enable_private_segment 1
		.amdhsa_system_sgpr_workgroup_id_x 1
		.amdhsa_system_sgpr_workgroup_id_y 0
		.amdhsa_system_sgpr_workgroup_id_z 0
		.amdhsa_system_sgpr_workgroup_info 0
		.amdhsa_system_vgpr_workitem_id 0
		.amdhsa_next_free_vgpr 37
		.amdhsa_next_free_sgpr 44
		.amdhsa_reserve_vcc 1
		.amdhsa_float_round_mode_32 0
		.amdhsa_float_round_mode_16_64 0
		.amdhsa_float_denorm_mode_32 3
		.amdhsa_float_denorm_mode_16_64 3
		.amdhsa_dx10_clamp 1
		.amdhsa_ieee_mode 1
		.amdhsa_fp16_overflow 0
		.amdhsa_workgroup_processor_mode 1
		.amdhsa_memory_ordered 1
		.amdhsa_forward_progress 0
		.amdhsa_shared_vgpr_count 0
		.amdhsa_exception_fp_ieee_invalid_op 0
		.amdhsa_exception_fp_denorm_src 0
		.amdhsa_exception_fp_ieee_div_zero 0
		.amdhsa_exception_fp_ieee_overflow 0
		.amdhsa_exception_fp_ieee_underflow 0
		.amdhsa_exception_fp_ieee_inexact 0
		.amdhsa_exception_int_div_zero 0
	.end_amdhsa_kernel
	.section	.text._ZN9rocsparseL41csrgemm_numeric_fill_block_per_row_kernelILj1024ELj64ELj32768ELj137ELj64Ell21rocsparse_complex_numIdEEEvT5_PKS3_S5_NS_24const_host_device_scalarIT6_EEPKT4_S5_PKS7_SB_S5_SD_S8_SB_S5_SD_SB_S5_PS7_21rocsparse_index_base_SF_SF_SF_bbb,"axG",@progbits,_ZN9rocsparseL41csrgemm_numeric_fill_block_per_row_kernelILj1024ELj64ELj32768ELj137ELj64Ell21rocsparse_complex_numIdEEEvT5_PKS3_S5_NS_24const_host_device_scalarIT6_EEPKT4_S5_PKS7_SB_S5_SD_S8_SB_S5_SD_SB_S5_PS7_21rocsparse_index_base_SF_SF_SF_bbb,comdat
.Lfunc_end157:
	.size	_ZN9rocsparseL41csrgemm_numeric_fill_block_per_row_kernelILj1024ELj64ELj32768ELj137ELj64Ell21rocsparse_complex_numIdEEEvT5_PKS3_S5_NS_24const_host_device_scalarIT6_EEPKT4_S5_PKS7_SB_S5_SD_S8_SB_S5_SD_SB_S5_PS7_21rocsparse_index_base_SF_SF_SF_bbb, .Lfunc_end157-_ZN9rocsparseL41csrgemm_numeric_fill_block_per_row_kernelILj1024ELj64ELj32768ELj137ELj64Ell21rocsparse_complex_numIdEEEvT5_PKS3_S5_NS_24const_host_device_scalarIT6_EEPKT4_S5_PKS7_SB_S5_SD_S8_SB_S5_SD_SB_S5_PS7_21rocsparse_index_base_SF_SF_SF_bbb
                                        ; -- End function
	.section	.AMDGPU.csdata,"",@progbits
; Kernel info:
; codeLenInByte = 4648
; NumSgprs: 46
; NumVgprs: 37
; ScratchSize: 40
; MemoryBound: 0
; FloatMode: 240
; IeeeMode: 1
; LDSByteSize: 0 bytes/workgroup (compile time only)
; SGPRBlocks: 5
; VGPRBlocks: 4
; NumSGPRsForWavesPerEU: 46
; NumVGPRsForWavesPerEU: 37
; Occupancy: 16
; WaveLimiterHint : 1
; COMPUTE_PGM_RSRC2:SCRATCH_EN: 1
; COMPUTE_PGM_RSRC2:USER_SGPR: 15
; COMPUTE_PGM_RSRC2:TRAP_HANDLER: 0
; COMPUTE_PGM_RSRC2:TGID_X_EN: 1
; COMPUTE_PGM_RSRC2:TGID_Y_EN: 0
; COMPUTE_PGM_RSRC2:TGID_Z_EN: 0
; COMPUTE_PGM_RSRC2:TIDIG_COMP_CNT: 0
	.section	.text._ZN9rocsparseL51csrgemm_numeric_fill_block_per_row_multipass_kernelILj512ELj16ELj2048ELj32Ell21rocsparse_complex_numIdEEEvT4_PKS3_S5_NS_24const_host_device_scalarIT5_EEPKT3_S5_PKS7_SB_S5_SD_S8_SB_S5_SD_SB_S5_PS7_PS9_21rocsparse_index_base_SG_SG_SG_bbb,"axG",@progbits,_ZN9rocsparseL51csrgemm_numeric_fill_block_per_row_multipass_kernelILj512ELj16ELj2048ELj32Ell21rocsparse_complex_numIdEEEvT4_PKS3_S5_NS_24const_host_device_scalarIT5_EEPKT3_S5_PKS7_SB_S5_SD_S8_SB_S5_SD_SB_S5_PS7_PS9_21rocsparse_index_base_SG_SG_SG_bbb,comdat
	.globl	_ZN9rocsparseL51csrgemm_numeric_fill_block_per_row_multipass_kernelILj512ELj16ELj2048ELj32Ell21rocsparse_complex_numIdEEEvT4_PKS3_S5_NS_24const_host_device_scalarIT5_EEPKT3_S5_PKS7_SB_S5_SD_S8_SB_S5_SD_SB_S5_PS7_PS9_21rocsparse_index_base_SG_SG_SG_bbb ; -- Begin function _ZN9rocsparseL51csrgemm_numeric_fill_block_per_row_multipass_kernelILj512ELj16ELj2048ELj32Ell21rocsparse_complex_numIdEEEvT4_PKS3_S5_NS_24const_host_device_scalarIT5_EEPKT3_S5_PKS7_SB_S5_SD_S8_SB_S5_SD_SB_S5_PS7_PS9_21rocsparse_index_base_SG_SG_SG_bbb
	.p2align	8
	.type	_ZN9rocsparseL51csrgemm_numeric_fill_block_per_row_multipass_kernelILj512ELj16ELj2048ELj32Ell21rocsparse_complex_numIdEEEvT4_PKS3_S5_NS_24const_host_device_scalarIT5_EEPKT3_S5_PKS7_SB_S5_SD_S8_SB_S5_SD_SB_S5_PS7_PS9_21rocsparse_index_base_SG_SG_SG_bbb,@function
_ZN9rocsparseL51csrgemm_numeric_fill_block_per_row_multipass_kernelILj512ELj16ELj2048ELj32Ell21rocsparse_complex_numIdEEEvT4_PKS3_S5_NS_24const_host_device_scalarIT5_EEPKT3_S5_PKS7_SB_S5_SD_S8_SB_S5_SD_SB_S5_PS7_PS9_21rocsparse_index_base_SG_SG_SG_bbb: ; @_ZN9rocsparseL51csrgemm_numeric_fill_block_per_row_multipass_kernelILj512ELj16ELj2048ELj32Ell21rocsparse_complex_numIdEEEvT4_PKS3_S5_NS_24const_host_device_scalarIT5_EEPKT3_S5_PKS7_SB_S5_SD_S8_SB_S5_SD_SB_S5_PS7_PS9_21rocsparse_index_base_SG_SG_SG_bbb
; %bb.0:
	s_mov_b32 s20, s15
	s_clause 0x3
	s_load_b32 s5, s[2:3], 0xb0
	s_load_b256 s[8:15], s[2:3], 0x8
	s_load_b128 s[16:19], s[2:3], 0x58
	s_load_b128 s[28:31], s[2:3], 0xa0
	v_mov_b32_e32 v8, 0
	v_mov_b32_e32 v9, 0
	s_waitcnt lgkmcnt(0)
	s_bitcmp1_b32 s5, 0
	v_dual_mov_b32 v1, s12 :: v_dual_mov_b32 v2, s13
	s_cselect_b32 s53, -1, 0
	s_bitcmp1_b32 s5, 16
	v_dual_mov_b32 v11, v9 :: v_dual_mov_b32 v10, v8
	s_cselect_b32 s4, -1, 0
	v_dual_mov_b32 v13, v9 :: v_dual_mov_b32 v12, v8
	v_dual_mov_b32 v3, s16 :: v_dual_mov_b32 v4, s17
	s_xor_b32 s21, s4, -1
	s_bitcmp0_b32 s5, 0
	s_clause 0x1
	scratch_store_b64 off, v[1:2], off
	scratch_store_b64 off, v[3:4], off offset:8
	s_cbranch_scc1 .LBB158_3
; %bb.1:
	s_mov_b64 s[6:7], src_private_base
	s_and_b32 s6, s4, exec_lo
	s_cselect_b32 s6, s7, s13
	s_delay_alu instid0(SALU_CYCLE_1) | instskip(SKIP_2) | instid1(VALU_DEP_2)
	v_dual_mov_b32 v1, 0 :: v_dual_mov_b32 v2, s6
	v_dual_mov_b32 v12, s14 :: v_dual_mov_b32 v13, s15
	s_and_not1_b32 vcc_lo, exec_lo, s21
	v_cndmask_b32_e64 v1, s12, v1, s4
	flat_load_b64 v[10:11], v[1:2]
	s_cbranch_vccnz .LBB158_3
; %bb.2:
	v_dual_mov_b32 v1, s12 :: v_dual_mov_b32 v2, s13
	flat_load_b64 v[12:13], v[1:2] offset:8
.LBB158_3:
	s_load_b64 s[12:13], s[2:3], 0x28
	s_bitcmp1_b32 s5, 8
	v_dual_mov_b32 v15, v9 :: v_dual_mov_b32 v14, v8
	s_cselect_b32 s33, -1, 0
	s_bfe_u32 s5, s5, 0x10008
	s_mov_b64 s[6:7], 0
	s_cmp_eq_u32 s5, 0
	s_cbranch_scc1 .LBB158_6
; %bb.4:
	s_mov_b64 s[14:15], src_private_base
	s_and_b32 s5, s4, exec_lo
	s_cselect_b32 s5, s15, s17
	s_delay_alu instid0(SALU_CYCLE_1) | instskip(SKIP_2) | instid1(VALU_DEP_2)
	v_dual_mov_b32 v1, 8 :: v_dual_mov_b32 v2, s5
	v_dual_mov_b32 v8, s18 :: v_dual_mov_b32 v9, s19
	s_and_not1_b32 vcc_lo, exec_lo, s21
	v_cndmask_b32_e64 v1, s16, v1, s4
	flat_load_b64 v[14:15], v[1:2]
	s_cbranch_vccnz .LBB158_6
; %bb.5:
	v_dual_mov_b32 v1, s16 :: v_dual_mov_b32 v2, s17
	flat_load_b64 v[8:9], v[1:2] offset:8
.LBB158_6:
	s_load_b64 s[4:5], s[8:9], 0x0
	s_mov_b32 s21, 0
	s_waitcnt lgkmcnt(0)
	s_lshl_b64 s[4:5], s[4:5], 3
	s_delay_alu instid0(SALU_CYCLE_1) | instskip(SKIP_2) | instid1(SALU_CYCLE_1)
	s_add_u32 s8, s10, s4
	s_addc_u32 s9, s11, s5
	s_lshl_b64 s[4:5], s[20:21], 3
	s_add_u32 s4, s8, s4
	s_addc_u32 s5, s9, s5
	s_and_not1_b32 vcc_lo, exec_lo, s53
	s_load_b64 s[4:5], s[4:5], 0x0
	s_cbranch_vccz .LBB158_9
; %bb.7:
	s_and_not1_b32 vcc_lo, exec_lo, s53
	s_mov_b64 s[34:35], 0
	s_cbranch_vccz .LBB158_10
.LBB158_8:
	s_load_b64 s[48:49], s[2:3], 0x0
	s_waitcnt lgkmcnt(0)
	v_cmp_lt_i64_e64 s8, s[48:49], 1
	s_delay_alu instid0(VALU_DEP_1)
	s_and_b32 vcc_lo, exec_lo, s8
	s_cbranch_vccz .LBB158_11
	s_branch .LBB158_73
.LBB158_9:
	s_waitcnt lgkmcnt(0)
	s_lshl_b64 s[6:7], s[4:5], 3
	s_delay_alu instid0(SALU_CYCLE_1)
	s_add_u32 s6, s12, s6
	s_addc_u32 s7, s13, s7
	s_load_b64 s[6:7], s[6:7], 0x0
	s_waitcnt lgkmcnt(0)
	s_sub_u32 s6, s6, s28
	s_subb_u32 s7, s7, 0
	s_and_not1_b32 vcc_lo, exec_lo, s53
	s_mov_b64 s[34:35], 0
	s_cbranch_vccnz .LBB158_8
.LBB158_10:
	s_waitcnt lgkmcnt(0)
	s_lshl_b64 s[8:9], s[4:5], 3
	s_delay_alu instid0(SALU_CYCLE_1)
	s_add_u32 s8, s12, s8
	s_addc_u32 s9, s13, s9
	s_load_b64 s[8:9], s[8:9], 0x8
	s_waitcnt lgkmcnt(0)
	s_sub_u32 s34, s8, s28
	s_subb_u32 s35, s9, 0
	s_load_b64 s[48:49], s[2:3], 0x0
	s_waitcnt lgkmcnt(0)
	v_cmp_lt_i64_e64 s8, s[48:49], 1
	s_delay_alu instid0(VALU_DEP_1)
	s_and_b32 vcc_lo, exec_lo, s8
	s_cbranch_vccnz .LBB158_73
.LBB158_11:
	s_load_b64 s[8:9], s[0:1], 0x4
	s_clause 0x3
	s_load_b256 s[20:27], s[2:3], 0x68
	s_load_b128 s[44:47], s[2:3], 0x90
	s_load_b64 s[50:51], s[2:3], 0x50
	s_load_b256 s[36:43], s[2:3], 0x30
	v_and_b32_e32 v1, 0x3ff, v0
	v_bfe_u32 v2, v0, 10, 10
	v_bfe_u32 v3, v0, 20, 10
	v_mov_b32_e32 v0, 0
	s_lshl_b64 s[2:3], s[4:5], 3
	v_sub_co_u32 v48, s1, v1, s31
	s_delay_alu instid0(VALU_DEP_1) | instskip(SKIP_4) | instid1(VALU_DEP_4)
	v_sub_co_ci_u32_e64 v49, null, 0, 0, s1
	v_mbcnt_lo_u32_b32 v4, -1, 0
	v_lshrrev_b32_e32 v5, 4, v1
	v_and_b32_e32 v47, 15, v1
	v_dual_mov_b32 v23, 0x800 :: v_dual_mov_b32 v58, 1
	v_xor_b32_e32 v6, 8, v4
	s_waitcnt lgkmcnt(0)
	s_lshr_b32 s1, s8, 16
	s_add_u32 s4, s26, s2
	s_addc_u32 s5, s27, s3
	s_mul_i32 s1, s1, s9
	s_load_b64 s[4:5], s[4:5], 0x0
	v_mul_lo_u32 v20, s1, v1
	v_xor_b32_e32 v7, 4, v4
	v_xor_b32_e32 v18, 2, v4
	v_mul_u32_u24_e32 v2, s9, v2
	v_cmp_gt_i32_e32 vcc_lo, 32, v6
	v_xor_b32_e32 v19, 1, v4
	v_add_co_u32 v16, s1, s6, v5
	s_delay_alu instid0(VALU_DEP_4) | instskip(SKIP_3) | instid1(VALU_DEP_4)
	v_add3_u32 v2, v20, v2, v3
	v_cndmask_b32_e32 v5, v4, v6, vcc_lo
	v_cmp_gt_i32_e32 vcc_lo, 32, v7
	v_add_co_ci_u32_e64 v17, null, s7, 0, s1
	v_lshl_add_u32 v51, v2, 4, 0x8808
	v_lshrrev_b32_e32 v6, 3, v1
	v_cndmask_b32_e32 v3, v4, v7, vcc_lo
	s_delay_alu instid0(VALU_DEP_4)
	v_cmp_gt_i64_e32 vcc_lo, s[34:35], v[16:17]
	v_cmp_eq_u32_e64 s0, 0, v1
	v_cmp_gt_u32_e64 s6, 0x80, v1
	s_waitcnt lgkmcnt(0)
	s_sub_u32 s18, s4, s30
	s_subb_u32 s19, s5, 0
	s_add_u32 s20, s20, s2
	v_cmp_gt_i32_e64 s2, 32, v18
	v_lshlrev_b32_e32 v52, 2, v3
	v_lshlrev_b32_e32 v50, 2, v5
	v_and_b32_e32 v55, 60, v6
	s_addc_u32 s21, s21, s3
	v_cndmask_b32_e64 v2, v4, v18, s2
	v_cmp_gt_i32_e64 s2, 32, v19
	v_cmp_gt_u32_e64 s3, 32, v1
	v_cmp_gt_u32_e64 s4, 64, v1
	;; [unrolled: 1-line block ×3, first 2 shown]
	v_dual_mov_b32 v24, 0 :: v_dual_lshlrev_b32 v53, 2, v2
	v_cndmask_b32_e64 v5, v4, v19, s2
	v_xor_b32_e32 v4, 63, v4
	v_mov_b32_e32 v21, 0
	v_cmp_eq_u32_e64 s2, 0x1ff, v1
	v_cmp_gt_u32_e64 s7, 0xa0, v1
	v_lshlrev_b32_e32 v54, 2, v5
	v_lshrrev_b64 v[18:19], v4, -1
	v_mov_b32_e32 v20, s19
	v_cmp_gt_u32_e64 s8, 0xc0, v1
	v_cmp_gt_u32_e64 s9, 0xe0, v1
	;; [unrolled: 1-line block ×10, first 2 shown]
	v_or_b32_e32 v56, 0xfffffe00, v1
	v_dual_mov_b32 v2, v0 :: v_dual_lshlrev_b32 v57, 4, v1
	v_mov_b32_e32 v22, 0
	v_cmp_eq_u32_e64 s1, 15, v47
	v_mov_b32_e32 v19, s18
	v_mov_b32_e32 v1, v0
	;; [unrolled: 1-line block ×3, first 2 shown]
	s_and_b32 s30, s53, vcc_lo
	s_mov_b32 s52, s31
	s_add_u32 s31, s40, 8
	s_addc_u32 s53, s41, 0
	s_branch .LBB158_13
.LBB158_12:                             ;   in Loop: Header=BB158_13 Depth=1
	s_or_b32 exec_lo, exec_lo, s19
	ds_load_b64 v[21:22], v0 offset:34816
	s_waitcnt lgkmcnt(0)
	s_barrier
	buffer_gl0_inv
	v_cmp_le_i64_e32 vcc_lo, s[48:49], v[21:22]
	v_add_co_u32 v23, s18, 0x800, v21
	s_delay_alu instid0(VALU_DEP_1)
	v_add_co_ci_u32_e64 v24, s18, 0, v22, s18
	s_cbranch_vccnz .LBB158_73
.LBB158_13:                             ; =>This Loop Header: Depth=1
                                        ;     Child Loop BB158_14 Depth 2
                                        ;     Child Loop BB158_20 Depth 2
                                        ;       Child Loop BB158_28 Depth 3
                                        ;         Child Loop BB158_32 Depth 4
                                        ;         Child Loop BB158_34 Depth 4
                                        ;     Child Loop BB158_48 Depth 2
                                        ;       Child Loop BB158_52 Depth 3
                                        ;       Child Loop BB158_54 Depth 3
                                        ;     Child Loop BB158_64 Depth 2
                                        ;     Child Loop BB158_69 Depth 2
	v_dual_mov_b32 v4, v57 :: v_dual_mov_b32 v5, v56
	s_mov_b32 s18, 0
.LBB158_14:                             ;   Parent Loop BB158_13 Depth=1
                                        ; =>  This Inner Loop Header: Depth=2
	ds_store_b8 v5, v0 offset:33280
	v_add_nc_u32_e32 v5, 0x200, v5
	ds_store_b128 v4, v[0:3]
	v_add_nc_u32_e32 v4, 0x2000, v4
	v_cmp_lt_u32_e32 vcc_lo, 0x5ff, v5
	s_or_b32 s18, vcc_lo, s18
	s_delay_alu instid0(SALU_CYCLE_1)
	s_and_not1_b32 exec_lo, exec_lo, s18
	s_cbranch_execnz .LBB158_14
; %bb.15:                               ;   in Loop: Header=BB158_13 Depth=1
	s_or_b32 exec_lo, exec_lo, s18
	s_and_saveexec_b32 s18, s0
	s_cbranch_execz .LBB158_17
; %bb.16:                               ;   in Loop: Header=BB158_13 Depth=1
	v_dual_mov_b32 v4, s48 :: v_dual_mov_b32 v5, s49
	ds_store_b64 v0, v[4:5] offset:34816
.LBB158_17:                             ;   in Loop: Header=BB158_13 Depth=1
	s_or_b32 exec_lo, exec_lo, s18
	v_dual_mov_b32 v25, s48 :: v_dual_mov_b32 v26, s49
	s_waitcnt vmcnt(0) lgkmcnt(0)
	s_waitcnt_vscnt null, 0x0
	s_barrier
	buffer_gl0_inv
	s_and_saveexec_b32 s26, s30
	s_cbranch_execz .LBB158_44
; %bb.18:                               ;   in Loop: Header=BB158_13 Depth=1
	v_cmp_ne_u64_e64 s18, 0, v[21:22]
	v_dual_mov_b32 v25, s48 :: v_dual_mov_b32 v26, s49
	v_dual_mov_b32 v28, v17 :: v_dual_mov_b32 v27, v16
	s_mov_b32 s27, 0
	s_branch .LBB158_20
.LBB158_19:                             ;   in Loop: Header=BB158_20 Depth=2
	s_or_b32 exec_lo, exec_lo, s54
	v_add_co_u32 v27, vcc_lo, v27, 32
	v_add_co_ci_u32_e32 v28, vcc_lo, 0, v28, vcc_lo
	s_delay_alu instid0(VALU_DEP_1) | instskip(SKIP_1) | instid1(SALU_CYCLE_1)
	v_cmp_le_i64_e32 vcc_lo, s[34:35], v[27:28]
	s_or_b32 s27, vcc_lo, s27
	s_and_not1_b32 exec_lo, exec_lo, s27
	s_cbranch_execz .LBB158_43
.LBB158_20:                             ;   Parent Loop BB158_13 Depth=1
                                        ; =>  This Loop Header: Depth=2
                                        ;       Child Loop BB158_28 Depth 3
                                        ;         Child Loop BB158_32 Depth 4
                                        ;         Child Loop BB158_34 Depth 4
	s_delay_alu instid0(VALU_DEP_1) | instskip(SKIP_2) | instid1(VALU_DEP_2)
	v_lshlrev_b64 v[29:30], 3, v[27:28]
	v_lshlrev_b64 v[4:5], 4, v[27:28]
	s_waitcnt lgkmcnt(0)
	v_add_co_u32 v6, vcc_lo, s36, v29
	s_delay_alu instid0(VALU_DEP_3) | instskip(NEXT) | instid1(VALU_DEP_3)
	v_add_co_ci_u32_e32 v7, vcc_lo, s37, v30, vcc_lo
	v_add_co_u32 v4, vcc_lo, s38, v4
	s_delay_alu instid0(VALU_DEP_4)
	v_add_co_ci_u32_e32 v5, vcc_lo, s39, v5, vcc_lo
	s_and_b32 vcc_lo, exec_lo, s18
	global_load_b64 v[33:34], v[6:7], off
	global_load_b128 v[4:7], v[4:5], off
	s_cbranch_vccz .LBB158_22
; %bb.21:                               ;   in Loop: Header=BB158_20 Depth=2
	v_add_co_u32 v31, vcc_lo, s46, v29
	v_add_co_ci_u32_e32 v32, vcc_lo, s47, v30, vcc_lo
	s_mov_b32 s19, 0
	global_load_b64 v[31:32], v[31:32], off
	s_branch .LBB158_23
.LBB158_22:                             ;   in Loop: Header=BB158_20 Depth=2
	s_mov_b32 s19, -1
                                        ; implicit-def: $vgpr31_vgpr32
.LBB158_23:                             ;   in Loop: Header=BB158_20 Depth=2
	s_waitcnt vmcnt(1)
	v_sub_co_u32 v33, vcc_lo, v33, s28
	v_subrev_co_ci_u32_e32 v34, vcc_lo, 0, v34, vcc_lo
	s_and_not1_b32 vcc_lo, exec_lo, s19
	s_delay_alu instid0(VALU_DEP_1)
	v_lshlrev_b64 v[33:34], 3, v[33:34]
	s_cbranch_vccnz .LBB158_25
; %bb.24:                               ;   in Loop: Header=BB158_20 Depth=2
	s_waitcnt vmcnt(0)
	s_delay_alu instid0(VALU_DEP_1) | instskip(NEXT) | instid1(VALU_DEP_2)
	v_add_co_u32 v31, vcc_lo, s40, v33
	v_add_co_ci_u32_e32 v32, vcc_lo, s41, v34, vcc_lo
	global_load_b64 v[31:32], v[31:32], off
	s_waitcnt vmcnt(0)
	v_sub_co_u32 v31, vcc_lo, v31, s29
	v_subrev_co_ci_u32_e32 v32, vcc_lo, 0, v32, vcc_lo
.LBB158_25:                             ;   in Loop: Header=BB158_20 Depth=2
	s_delay_alu instid0(VALU_DEP_1) | instskip(NEXT) | instid1(VALU_DEP_2)
	v_add_co_u32 v33, vcc_lo, s31, v33
	v_add_co_ci_u32_e32 v34, vcc_lo, s53, v34, vcc_lo
	s_mov_b32 s54, exec_lo
	global_load_b64 v[33:34], v[33:34], off
	s_waitcnt vmcnt(0)
	v_sub_co_u32 v33, vcc_lo, v33, s29
	v_subrev_co_ci_u32_e32 v34, vcc_lo, 0, v34, vcc_lo
	v_add_co_u32 v31, vcc_lo, v31, v47
	v_add_co_ci_u32_e32 v32, vcc_lo, 0, v32, vcc_lo
	s_delay_alu instid0(VALU_DEP_1)
	v_cmpx_lt_i64_e64 v[31:32], v[33:34]
	s_cbranch_execz .LBB158_41
; %bb.26:                               ;   in Loop: Header=BB158_20 Depth=2
	v_mul_f64 v[35:36], v[6:7], -v[12:13]
	v_mul_f64 v[6:7], v[10:11], v[6:7]
	v_dual_mov_b32 v42, v32 :: v_dual_mov_b32 v41, v31
	s_mov_b32 s56, 0
                                        ; implicit-def: $sgpr55
                                        ; implicit-def: $sgpr57
	s_delay_alu instid0(VALU_DEP_3) | instskip(NEXT) | instid1(VALU_DEP_3)
	v_fma_f64 v[35:36], v[10:11], v[4:5], v[35:36]
	v_fma_f64 v[37:38], v[12:13], v[4:5], v[6:7]
	s_branch .LBB158_28
.LBB158_27:                             ;   in Loop: Header=BB158_28 Depth=3
	s_or_b32 exec_lo, exec_lo, s58
	s_delay_alu instid0(SALU_CYCLE_1) | instskip(SKIP_4) | instid1(SALU_CYCLE_1)
	s_and_b32 s19, exec_lo, s59
	v_dual_mov_b32 v42, v7 :: v_dual_mov_b32 v41, v6
	s_or_b32 s56, s19, s56
	s_and_not1_b32 s19, s55, exec_lo
	s_and_b32 s55, s57, exec_lo
	s_or_b32 s55, s19, s55
	s_and_not1_b32 exec_lo, exec_lo, s56
	s_cbranch_execz .LBB158_38
.LBB158_28:                             ;   Parent Loop BB158_13 Depth=1
                                        ;     Parent Loop BB158_20 Depth=2
                                        ; =>    This Loop Header: Depth=3
                                        ;         Child Loop BB158_32 Depth 4
                                        ;         Child Loop BB158_34 Depth 4
	v_lshlrev_b64 v[4:5], 3, v[41:42]
	s_delay_alu instid0(VALU_DEP_1) | instskip(NEXT) | instid1(VALU_DEP_2)
	v_add_co_u32 v4, vcc_lo, s42, v4
	v_add_co_ci_u32_e32 v5, vcc_lo, s43, v5, vcc_lo
	global_load_b64 v[4:5], v[4:5], off
	s_waitcnt vmcnt(0)
	v_sub_co_u32 v39, vcc_lo, v4, s29
	v_subrev_co_ci_u32_e32 v40, vcc_lo, 0, v5, vcc_lo
	s_delay_alu instid0(VALU_DEP_1)
	v_cmp_lt_i64_e32 vcc_lo, v[39:40], v[23:24]
	v_cmp_lt_i64_e64 s19, v[39:40], v[21:22]
	s_xor_b32 s58, vcc_lo, -1
	s_delay_alu instid0(VALU_DEP_1) | instid1(SALU_CYCLE_1)
	s_or_b32 s59, s19, s58
	s_mov_b32 s19, 0
                                        ; implicit-def: $sgpr58
	s_and_saveexec_b32 s60, s59
	s_delay_alu instid0(SALU_CYCLE_1)
	s_xor_b32 s59, exec_lo, s60
; %bb.29:                               ;   in Loop: Header=BB158_28 Depth=3
	s_mov_b32 s58, -1
	s_and_b32 s19, vcc_lo, exec_lo
; %bb.30:                               ;   in Loop: Header=BB158_28 Depth=3
	s_and_not1_saveexec_b32 s59, s59
	s_cbranch_execz .LBB158_36
; %bb.31:                               ;   in Loop: Header=BB158_28 Depth=3
	v_lshlrev_b64 v[4:5], 4, v[41:42]
	v_sub_nc_u32_e32 v45, v39, v21
	s_mov_b32 s60, 0
	s_delay_alu instid0(VALU_DEP_1) | instskip(NEXT) | instid1(VALU_DEP_3)
	v_lshlrev_b32_e32 v59, 4, v45
	v_add_co_u32 v4, vcc_lo, s50, v4
	s_delay_alu instid0(VALU_DEP_4)
	v_add_co_ci_u32_e32 v5, vcc_lo, s51, v5, vcc_lo
	ds_store_b8 v45, v58 offset:32768
	ds_load_b64 v[45:46], v59
	global_load_b128 v[4:7], v[4:5], off
	s_waitcnt vmcnt(0)
	v_mul_f64 v[43:44], v[6:7], -v[37:38]
	s_delay_alu instid0(VALU_DEP_1)
	v_fma_f64 v[43:44], v[35:36], v[4:5], v[43:44]
.LBB158_32:                             ;   Parent Loop BB158_13 Depth=1
                                        ;     Parent Loop BB158_20 Depth=2
                                        ;       Parent Loop BB158_28 Depth=3
                                        ; =>      This Inner Loop Header: Depth=4
	s_waitcnt lgkmcnt(0)
	s_delay_alu instid0(VALU_DEP_1)
	v_add_f64 v[60:61], v[45:46], v[43:44]
	ds_cmpstore_rtn_b64 v[60:61], v59, v[60:61], v[45:46]
	s_waitcnt lgkmcnt(0)
	v_cmp_eq_u64_e32 vcc_lo, v[60:61], v[45:46]
	v_dual_mov_b32 v45, v60 :: v_dual_mov_b32 v46, v61
	s_or_b32 s60, vcc_lo, s60
	s_delay_alu instid0(SALU_CYCLE_1)
	s_and_not1_b32 exec_lo, exec_lo, s60
	s_cbranch_execnz .LBB158_32
; %bb.33:                               ;   in Loop: Header=BB158_28 Depth=3
	s_or_b32 exec_lo, exec_lo, s60
	v_mul_f64 v[6:7], v[35:36], v[6:7]
	s_mov_b32 s60, 0
	s_delay_alu instid0(VALU_DEP_1)
	v_fma_f64 v[4:5], v[37:38], v[4:5], v[6:7]
	ds_load_b64 v[6:7], v59 offset:8
.LBB158_34:                             ;   Parent Loop BB158_13 Depth=1
                                        ;     Parent Loop BB158_20 Depth=2
                                        ;       Parent Loop BB158_28 Depth=3
                                        ; =>      This Inner Loop Header: Depth=4
	s_waitcnt lgkmcnt(0)
	v_add_f64 v[43:44], v[6:7], v[4:5]
	ds_cmpstore_rtn_b64 v[43:44], v59, v[43:44], v[6:7] offset:8
	s_waitcnt lgkmcnt(0)
	v_cmp_eq_u64_e32 vcc_lo, v[43:44], v[6:7]
	v_dual_mov_b32 v6, v43 :: v_dual_mov_b32 v7, v44
	s_or_b32 s60, vcc_lo, s60
	s_delay_alu instid0(SALU_CYCLE_1)
	s_and_not1_b32 exec_lo, exec_lo, s60
	s_cbranch_execnz .LBB158_34
; %bb.35:                               ;   in Loop: Header=BB158_28 Depth=3
	s_or_b32 exec_lo, exec_lo, s60
	s_delay_alu instid0(SALU_CYCLE_1)
	s_or_b32 s19, s19, exec_lo
.LBB158_36:                             ;   in Loop: Header=BB158_28 Depth=3
	s_or_b32 exec_lo, exec_lo, s59
	v_dual_mov_b32 v4, v41 :: v_dual_mov_b32 v5, v42
	s_and_not1_b32 s57, s57, exec_lo
	s_and_b32 s58, s58, exec_lo
	s_mov_b32 s59, -1
	s_or_b32 s57, s57, s58
                                        ; implicit-def: $vgpr6_vgpr7
	s_and_saveexec_b32 s58, s19
	s_cbranch_execz .LBB158_27
; %bb.37:                               ;   in Loop: Header=BB158_28 Depth=3
	v_add_co_u32 v6, vcc_lo, v41, 16
	v_add_co_ci_u32_e32 v7, vcc_lo, 0, v42, vcc_lo
	v_dual_mov_b32 v4, v41 :: v_dual_mov_b32 v5, v42
	s_and_not1_b32 s57, s57, exec_lo
	s_delay_alu instid0(VALU_DEP_2)
	v_cmp_ge_i64_e32 vcc_lo, v[6:7], v[33:34]
	s_or_not1_b32 s59, vcc_lo, exec_lo
	s_branch .LBB158_27
.LBB158_38:                             ;   in Loop: Header=BB158_20 Depth=2
	s_or_b32 exec_lo, exec_lo, s56
	s_and_saveexec_b32 s19, s55
	s_delay_alu instid0(SALU_CYCLE_1)
	s_xor_b32 s19, exec_lo, s19
; %bb.39:                               ;   in Loop: Header=BB158_20 Depth=2
	v_cmp_lt_i64_e32 vcc_lo, v[39:40], v[25:26]
	v_dual_mov_b32 v32, v5 :: v_dual_mov_b32 v31, v4
	v_dual_cndmask_b32 v26, v26, v40 :: v_dual_cndmask_b32 v25, v25, v39
; %bb.40:                               ;   in Loop: Header=BB158_20 Depth=2
	s_or_b32 exec_lo, exec_lo, s19
.LBB158_41:                             ;   in Loop: Header=BB158_20 Depth=2
	s_delay_alu instid0(SALU_CYCLE_1)
	s_or_b32 exec_lo, exec_lo, s54
	ds_bpermute_b32 v4, v50, v31
	ds_bpermute_b32 v5, v50, v32
	s_waitcnt lgkmcnt(0)
	v_cmp_lt_i64_e32 vcc_lo, v[4:5], v[31:32]
	v_dual_cndmask_b32 v5, v32, v5 :: v_dual_cndmask_b32 v4, v31, v4
	ds_bpermute_b32 v7, v52, v5
	ds_bpermute_b32 v6, v52, v4
	s_waitcnt lgkmcnt(0)
	v_cmp_lt_i64_e32 vcc_lo, v[6:7], v[4:5]
	v_dual_cndmask_b32 v5, v5, v7 :: v_dual_cndmask_b32 v4, v4, v6
	;; [unrolled: 5-line block ×3, first 2 shown]
	ds_bpermute_b32 v7, v54, v5
	ds_bpermute_b32 v6, v54, v4
	s_and_saveexec_b32 s54, s1
	s_cbranch_execz .LBB158_19
; %bb.42:                               ;   in Loop: Header=BB158_20 Depth=2
	s_waitcnt lgkmcnt(0)
	v_cmp_lt_i64_e32 vcc_lo, v[6:7], v[4:5]
	v_add_co_u32 v29, s19, s46, v29
	s_delay_alu instid0(VALU_DEP_1)
	v_add_co_ci_u32_e64 v30, s19, s47, v30, s19
	v_dual_cndmask_b32 v5, v5, v7 :: v_dual_cndmask_b32 v4, v4, v6
	global_store_b64 v[29:30], v[4:5], off
	s_branch .LBB158_19
.LBB158_43:                             ;   in Loop: Header=BB158_13 Depth=1
	s_or_b32 exec_lo, exec_lo, s27
.LBB158_44:                             ;   in Loop: Header=BB158_13 Depth=1
	s_delay_alu instid0(SALU_CYCLE_1) | instskip(NEXT) | instid1(SALU_CYCLE_1)
	s_or_b32 exec_lo, exec_lo, s26
	s_and_not1_b32 vcc_lo, exec_lo, s33
	s_cbranch_vccnz .LBB158_62
; %bb.45:                               ;   in Loop: Header=BB158_13 Depth=1
	s_load_b128 s[56:59], s[20:21], 0x0
	s_mov_b32 s19, exec_lo
	s_waitcnt lgkmcnt(0)
	v_add_co_u32 v27, vcc_lo, s56, v48
	v_add_co_ci_u32_e32 v28, vcc_lo, s57, v49, vcc_lo
	s_sub_u32 s26, s58, s52
	s_subb_u32 s27, s59, 0
	s_delay_alu instid0(VALU_DEP_1) | instid1(SALU_CYCLE_1)
	v_cmpx_gt_i64_e64 s[26:27], v[27:28]
	s_cbranch_execz .LBB158_61
; %bb.46:                               ;   in Loop: Header=BB158_13 Depth=1
	s_mov_b32 s54, 0
                                        ; implicit-def: $sgpr55
                                        ; implicit-def: $sgpr56
	s_branch .LBB158_48
.LBB158_47:                             ;   in Loop: Header=BB158_48 Depth=2
	s_or_b32 exec_lo, exec_lo, s58
	s_delay_alu instid0(SALU_CYCLE_1) | instskip(NEXT) | instid1(SALU_CYCLE_1)
	s_and_b32 s18, exec_lo, s57
	s_or_b32 s54, s18, s54
	s_and_not1_b32 s18, s55, exec_lo
	s_and_b32 s55, s56, exec_lo
	s_delay_alu instid0(SALU_CYCLE_1)
	s_or_b32 s55, s18, s55
	s_and_not1_b32 exec_lo, exec_lo, s54
	s_cbranch_execz .LBB158_58
.LBB158_48:                             ;   Parent Loop BB158_13 Depth=1
                                        ; =>  This Loop Header: Depth=2
                                        ;       Child Loop BB158_52 Depth 3
                                        ;       Child Loop BB158_54 Depth 3
	v_lshlrev_b64 v[4:5], 3, v[27:28]
	s_delay_alu instid0(VALU_DEP_1) | instskip(NEXT) | instid1(VALU_DEP_2)
	v_add_co_u32 v4, vcc_lo, s22, v4
	v_add_co_ci_u32_e32 v5, vcc_lo, s23, v5, vcc_lo
	global_load_b64 v[4:5], v[4:5], off
	s_waitcnt vmcnt(0)
	v_sub_co_u32 v29, vcc_lo, v4, s52
	v_subrev_co_ci_u32_e32 v30, vcc_lo, 0, v5, vcc_lo
	s_delay_alu instid0(VALU_DEP_1)
	v_cmp_lt_i64_e32 vcc_lo, v[29:30], v[23:24]
	v_cmp_lt_i64_e64 s18, v[29:30], v[21:22]
	s_xor_b32 s57, vcc_lo, -1
	s_delay_alu instid0(VALU_DEP_1) | instid1(SALU_CYCLE_1)
	s_or_b32 s58, s18, s57
	s_mov_b32 s18, 0
                                        ; implicit-def: $sgpr57
	s_and_saveexec_b32 s59, s58
	s_delay_alu instid0(SALU_CYCLE_1)
	s_xor_b32 s58, exec_lo, s59
; %bb.49:                               ;   in Loop: Header=BB158_48 Depth=2
	s_mov_b32 s57, -1
	s_and_b32 s18, vcc_lo, exec_lo
; %bb.50:                               ;   in Loop: Header=BB158_48 Depth=2
	s_and_not1_saveexec_b32 s58, s58
	s_cbranch_execz .LBB158_56
; %bb.51:                               ;   in Loop: Header=BB158_48 Depth=2
	v_lshlrev_b64 v[4:5], 4, v[27:28]
	v_sub_nc_u32_e32 v33, v29, v21
	s_mov_b32 s59, 0
	s_delay_alu instid0(VALU_DEP_1) | instskip(NEXT) | instid1(VALU_DEP_3)
	v_lshlrev_b32_e32 v35, 4, v33
	v_add_co_u32 v4, vcc_lo, s24, v4
	s_delay_alu instid0(VALU_DEP_4)
	v_add_co_ci_u32_e32 v5, vcc_lo, s25, v5, vcc_lo
	ds_store_b8 v33, v58 offset:32768
	ds_load_b64 v[33:34], v35
	global_load_b128 v[4:7], v[4:5], off
	s_waitcnt vmcnt(0)
	v_mul_f64 v[31:32], v[6:7], -v[8:9]
	s_delay_alu instid0(VALU_DEP_1)
	v_fma_f64 v[31:32], v[14:15], v[4:5], v[31:32]
.LBB158_52:                             ;   Parent Loop BB158_13 Depth=1
                                        ;     Parent Loop BB158_48 Depth=2
                                        ; =>    This Inner Loop Header: Depth=3
	s_waitcnt lgkmcnt(0)
	s_delay_alu instid0(VALU_DEP_1)
	v_add_f64 v[36:37], v[33:34], v[31:32]
	ds_cmpstore_rtn_b64 v[36:37], v35, v[36:37], v[33:34]
	s_waitcnt lgkmcnt(0)
	v_cmp_eq_u64_e32 vcc_lo, v[36:37], v[33:34]
	v_dual_mov_b32 v33, v36 :: v_dual_mov_b32 v34, v37
	s_or_b32 s59, vcc_lo, s59
	s_delay_alu instid0(SALU_CYCLE_1)
	s_and_not1_b32 exec_lo, exec_lo, s59
	s_cbranch_execnz .LBB158_52
; %bb.53:                               ;   in Loop: Header=BB158_48 Depth=2
	s_or_b32 exec_lo, exec_lo, s59
	v_mul_f64 v[6:7], v[14:15], v[6:7]
	s_mov_b32 s59, 0
	s_delay_alu instid0(VALU_DEP_1)
	v_fma_f64 v[4:5], v[8:9], v[4:5], v[6:7]
	ds_load_b64 v[6:7], v35 offset:8
.LBB158_54:                             ;   Parent Loop BB158_13 Depth=1
                                        ;     Parent Loop BB158_48 Depth=2
                                        ; =>    This Inner Loop Header: Depth=3
	s_waitcnt lgkmcnt(0)
	v_add_f64 v[31:32], v[6:7], v[4:5]
	ds_cmpstore_rtn_b64 v[31:32], v35, v[31:32], v[6:7] offset:8
	s_waitcnt lgkmcnt(0)
	v_cmp_eq_u64_e32 vcc_lo, v[31:32], v[6:7]
	v_dual_mov_b32 v6, v31 :: v_dual_mov_b32 v7, v32
	s_or_b32 s59, vcc_lo, s59
	s_delay_alu instid0(SALU_CYCLE_1)
	s_and_not1_b32 exec_lo, exec_lo, s59
	s_cbranch_execnz .LBB158_54
; %bb.55:                               ;   in Loop: Header=BB158_48 Depth=2
	s_or_b32 exec_lo, exec_lo, s59
	s_delay_alu instid0(SALU_CYCLE_1)
	s_or_b32 s18, s18, exec_lo
.LBB158_56:                             ;   in Loop: Header=BB158_48 Depth=2
	s_or_b32 exec_lo, exec_lo, s58
	s_delay_alu instid0(SALU_CYCLE_1)
	s_and_not1_b32 s56, s56, exec_lo
	s_and_b32 s58, s57, exec_lo
	s_mov_b32 s57, -1
	s_or_b32 s56, s56, s58
	s_and_saveexec_b32 s58, s18
	s_cbranch_execz .LBB158_47
; %bb.57:                               ;   in Loop: Header=BB158_48 Depth=2
	v_add_co_u32 v27, vcc_lo, 0x200, v27
	v_add_co_ci_u32_e32 v28, vcc_lo, 0, v28, vcc_lo
	s_and_not1_b32 s56, s56, exec_lo
	s_delay_alu instid0(VALU_DEP_1)
	v_cmp_le_i64_e32 vcc_lo, s[26:27], v[27:28]
	s_or_not1_b32 s57, vcc_lo, exec_lo
	s_branch .LBB158_47
.LBB158_58:                             ;   in Loop: Header=BB158_13 Depth=1
	s_or_b32 exec_lo, exec_lo, s54
	s_and_saveexec_b32 s18, s55
	s_delay_alu instid0(SALU_CYCLE_1)
	s_xor_b32 s18, exec_lo, s18
; %bb.59:                               ;   in Loop: Header=BB158_13 Depth=1
	v_cmp_lt_i64_e32 vcc_lo, v[29:30], v[25:26]
	v_dual_cndmask_b32 v26, v26, v30 :: v_dual_cndmask_b32 v25, v25, v29
; %bb.60:                               ;   in Loop: Header=BB158_13 Depth=1
	s_or_b32 exec_lo, exec_lo, s18
.LBB158_61:                             ;   in Loop: Header=BB158_13 Depth=1
	s_delay_alu instid0(SALU_CYCLE_1)
	s_or_b32 exec_lo, exec_lo, s19
.LBB158_62:                             ;   in Loop: Header=BB158_13 Depth=1
	ds_bpermute_b32 v4, v50, v25
	ds_bpermute_b32 v5, v50, v26
	s_waitcnt lgkmcnt(0)
	v_cmp_lt_i64_e32 vcc_lo, v[4:5], v[25:26]
	v_dual_cndmask_b32 v5, v26, v5 :: v_dual_cndmask_b32 v4, v25, v4
	ds_bpermute_b32 v7, v52, v5
	ds_bpermute_b32 v6, v52, v4
	s_waitcnt lgkmcnt(0)
	v_cmp_lt_i64_e32 vcc_lo, v[6:7], v[4:5]
	v_dual_cndmask_b32 v5, v5, v7 :: v_dual_cndmask_b32 v4, v4, v6
	;; [unrolled: 5-line block ×3, first 2 shown]
	ds_bpermute_b32 v7, v54, v5
	ds_bpermute_b32 v6, v54, v4
	s_and_saveexec_b32 s26, s1
	s_cbranch_execz .LBB158_67
; %bb.63:                               ;   in Loop: Header=BB158_13 Depth=1
	s_waitcnt lgkmcnt(0)
	v_cmp_lt_i64_e32 vcc_lo, v[6:7], v[4:5]
	s_mov_b32 s27, exec_lo
	s_mov_b64 s[18:19], -1
	v_dual_cndmask_b32 v5, v5, v7 :: v_dual_cndmask_b32 v4, v4, v6
.LBB158_64:                             ;   Parent Loop BB158_13 Depth=1
                                        ; =>  This Inner Loop Header: Depth=2
	s_ctz_i32_b32 s56, s27
	s_delay_alu instid0(VALU_DEP_1) | instid1(SALU_CYCLE_1)
	v_readlane_b32 s55, v5, s56
	s_delay_alu instid0(VALU_DEP_2) | instskip(NEXT) | instid1(VALU_DEP_1)
	v_readlane_b32 s54, v4, s56
	v_cmp_lt_u64_e64 s57, s[18:19], s[54:55]
	s_delay_alu instid0(VALU_DEP_1) | instskip(SKIP_3) | instid1(SALU_CYCLE_1)
	s_and_b32 s57, s57, exec_lo
	s_cselect_b32 s19, s19, s55
	s_cselect_b32 s18, s18, s54
	s_lshl_b32 s54, 1, s56
	s_and_not1_b32 s27, s27, s54
	s_delay_alu instid0(SALU_CYCLE_1)
	s_cmp_lg_u32 s27, 0
	s_cbranch_scc1 .LBB158_64
; %bb.65:                               ;   in Loop: Header=BB158_13 Depth=1
	v_mbcnt_lo_u32_b32 v4, exec_lo, 0
	s_mov_b32 s27, exec_lo
	s_delay_alu instid0(VALU_DEP_1)
	v_cmpx_eq_u32_e32 0, v4
	s_xor_b32 s27, exec_lo, s27
	s_cbranch_execz .LBB158_67
; %bb.66:                               ;   in Loop: Header=BB158_13 Depth=1
	v_dual_mov_b32 v4, s18 :: v_dual_mov_b32 v5, s19
	ds_min_u64 v0, v[4:5] offset:34816
.LBB158_67:                             ;   in Loop: Header=BB158_13 Depth=1
	s_or_b32 exec_lo, exec_lo, s26
	s_waitcnt lgkmcnt(0)
	v_dual_mov_b32 v6, v57 :: v_dual_mov_b32 v7, v56
	s_mov_b32 s19, 0
	s_waitcnt_vscnt null, 0x0
	s_barrier
	buffer_gl0_inv
	s_branch .LBB158_69
.LBB158_68:                             ;   in Loop: Header=BB158_69 Depth=2
	s_or_b32 exec_lo, exec_lo, s18
	s_waitcnt lgkmcnt(0)
	s_waitcnt_vscnt null, 0x0
	s_barrier
	buffer_gl0_inv
	ds_load_b32 v4, v0 offset:60
	v_add_nc_u32_e32 v7, 0x200, v7
	v_add_nc_u32_e32 v6, 0x2000, v6
	s_delay_alu instid0(VALU_DEP_2) | instskip(SKIP_4) | instid1(VALU_DEP_1)
	v_cmp_lt_u32_e32 vcc_lo, 0x5ff, v7
	s_or_b32 s19, vcc_lo, s19
	s_waitcnt lgkmcnt(0)
	v_ashrrev_i32_e32 v5, 31, v4
	v_add_co_u32 v19, s18, v19, v4
	v_add_co_ci_u32_e64 v20, s18, v20, v5, s18
	s_and_not1_b32 exec_lo, exec_lo, s19
	s_cbranch_execz .LBB158_12
.LBB158_69:                             ;   Parent Loop BB158_13 Depth=1
                                        ; =>  This Inner Loop Header: Depth=2
	ds_load_u8 v4, v7 offset:33280
	ds_load_2addr_b64 v[21:24], v6 offset1:1
	s_waitcnt lgkmcnt(1)
	v_cmp_ne_u16_e32 vcc_lo, 0, v4
	s_waitcnt lgkmcnt(0)
	ds_store_2addr_b64 v51, v[21:22], v[23:24] offset1:1
	s_waitcnt lgkmcnt(0)
	s_barrier
	buffer_gl0_inv
	s_bcnt1_i32_b32 s18, vcc_lo
	s_delay_alu instid0(SALU_CYCLE_1)
	v_mov_b32_e32 v5, s18
	s_mov_b32 s18, exec_lo
	ds_store_b32 v55, v5
	s_waitcnt lgkmcnt(0)
	s_barrier
	buffer_gl0_inv
	ds_load_b128 v[21:24], v0
	ds_load_b128 v[25:28], v0 offset:16
	v_and_b32_e32 v5, vcc_lo, v18
	ds_load_b128 v[29:32], v0 offset:32
	s_waitcnt lgkmcnt(2)
	v_cndmask_b32_e64 v21, v21, 0, s3
	v_cndmask_b32_e64 v33, v22, 0, s4
	;; [unrolled: 1-line block ×4, first 2 shown]
	s_waitcnt lgkmcnt(1)
	v_cndmask_b32_e64 v25, v25, 0, s7
	v_bcnt_u32_b32 v5, v5, v21
	ds_load_b96 v[21:23], v0 offset:48
	v_cndmask_b32_e64 v26, v26, 0, s8
	v_cndmask_b32_e64 v27, v27, 0, s9
	v_add3_u32 v5, v5, v33, v34
	s_delay_alu instid0(VALU_DEP_1) | instskip(SKIP_3) | instid1(VALU_DEP_3)
	v_add3_u32 v5, v5, v24, v25
	v_cndmask_b32_e64 v24, v28, 0, s10
	s_waitcnt lgkmcnt(1)
	v_cndmask_b32_e64 v25, v29, 0, s11
	v_add3_u32 v5, v5, v26, v27
	v_cndmask_b32_e64 v26, v30, 0, s12
	v_cndmask_b32_e64 v27, v31, 0, s13
	s_delay_alu instid0(VALU_DEP_3)
	v_add3_u32 v5, v5, v24, v25
	v_cndmask_b32_e64 v24, v32, 0, s14
	s_waitcnt lgkmcnt(0)
	v_cndmask_b32_e64 v21, v21, 0, s15
	v_cndmask_b32_e64 v22, v22, 0, s16
	;; [unrolled: 1-line block ×3, first 2 shown]
	v_add3_u32 v5, v5, v26, v27
	s_delay_alu instid0(VALU_DEP_1) | instskip(SKIP_1) | instid1(VALU_DEP_2)
	v_add3_u32 v5, v5, v24, v21
	v_and_b32_e32 v21, 1, v4
	v_add3_u32 v4, v5, v22, v23
	s_delay_alu instid0(VALU_DEP_2)
	v_cmpx_eq_u32_e32 1, v21
	s_cbranch_execz .LBB158_71
; %bb.70:                               ;   in Loop: Header=BB158_69 Depth=2
	ds_load_2addr_b64 v[21:24], v51 offset1:1
	v_ashrrev_i32_e32 v5, 31, v4
	v_lshlrev_b64 v[25:26], 4, v[19:20]
	s_delay_alu instid0(VALU_DEP_2) | instskip(NEXT) | instid1(VALU_DEP_2)
	v_lshlrev_b64 v[27:28], 4, v[4:5]
	v_add_co_u32 v5, vcc_lo, s44, v25
	s_delay_alu instid0(VALU_DEP_3) | instskip(NEXT) | instid1(VALU_DEP_2)
	v_add_co_ci_u32_e32 v26, vcc_lo, s45, v26, vcc_lo
	v_add_co_u32 v25, vcc_lo, v5, v27
	s_delay_alu instid0(VALU_DEP_2)
	v_add_co_ci_u32_e32 v26, vcc_lo, v26, v28, vcc_lo
	s_waitcnt lgkmcnt(0)
	global_store_b128 v[25:26], v[21:24], off offset:-16
.LBB158_71:                             ;   in Loop: Header=BB158_69 Depth=2
	s_or_b32 exec_lo, exec_lo, s18
	s_and_saveexec_b32 s18, s2
	s_cbranch_execz .LBB158_68
; %bb.72:                               ;   in Loop: Header=BB158_69 Depth=2
	ds_store_b32 v0, v4 offset:60
	s_branch .LBB158_68
.LBB158_73:
	s_endpgm
	.section	.rodata,"a",@progbits
	.p2align	6, 0x0
	.amdhsa_kernel _ZN9rocsparseL51csrgemm_numeric_fill_block_per_row_multipass_kernelILj512ELj16ELj2048ELj32Ell21rocsparse_complex_numIdEEEvT4_PKS3_S5_NS_24const_host_device_scalarIT5_EEPKT3_S5_PKS7_SB_S5_SD_S8_SB_S5_SD_SB_S5_PS7_PS9_21rocsparse_index_base_SG_SG_SG_bbb
		.amdhsa_group_segment_fixed_size 43016
		.amdhsa_private_segment_fixed_size 24
		.amdhsa_kernarg_size 180
		.amdhsa_user_sgpr_count 15
		.amdhsa_user_sgpr_dispatch_ptr 1
		.amdhsa_user_sgpr_queue_ptr 0
		.amdhsa_user_sgpr_kernarg_segment_ptr 1
		.amdhsa_user_sgpr_dispatch_id 0
		.amdhsa_user_sgpr_private_segment_size 0
		.amdhsa_wavefront_size32 1
		.amdhsa_uses_dynamic_stack 0
		.amdhsa_enable_private_segment 1
		.amdhsa_system_sgpr_workgroup_id_x 1
		.amdhsa_system_sgpr_workgroup_id_y 0
		.amdhsa_system_sgpr_workgroup_id_z 0
		.amdhsa_system_sgpr_workgroup_info 0
		.amdhsa_system_vgpr_workitem_id 2
		.amdhsa_next_free_vgpr 62
		.amdhsa_next_free_sgpr 61
		.amdhsa_reserve_vcc 1
		.amdhsa_float_round_mode_32 0
		.amdhsa_float_round_mode_16_64 0
		.amdhsa_float_denorm_mode_32 3
		.amdhsa_float_denorm_mode_16_64 3
		.amdhsa_dx10_clamp 1
		.amdhsa_ieee_mode 1
		.amdhsa_fp16_overflow 0
		.amdhsa_workgroup_processor_mode 1
		.amdhsa_memory_ordered 1
		.amdhsa_forward_progress 0
		.amdhsa_shared_vgpr_count 0
		.amdhsa_exception_fp_ieee_invalid_op 0
		.amdhsa_exception_fp_denorm_src 0
		.amdhsa_exception_fp_ieee_div_zero 0
		.amdhsa_exception_fp_ieee_overflow 0
		.amdhsa_exception_fp_ieee_underflow 0
		.amdhsa_exception_fp_ieee_inexact 0
		.amdhsa_exception_int_div_zero 0
	.end_amdhsa_kernel
	.section	.text._ZN9rocsparseL51csrgemm_numeric_fill_block_per_row_multipass_kernelILj512ELj16ELj2048ELj32Ell21rocsparse_complex_numIdEEEvT4_PKS3_S5_NS_24const_host_device_scalarIT5_EEPKT3_S5_PKS7_SB_S5_SD_S8_SB_S5_SD_SB_S5_PS7_PS9_21rocsparse_index_base_SG_SG_SG_bbb,"axG",@progbits,_ZN9rocsparseL51csrgemm_numeric_fill_block_per_row_multipass_kernelILj512ELj16ELj2048ELj32Ell21rocsparse_complex_numIdEEEvT4_PKS3_S5_NS_24const_host_device_scalarIT5_EEPKT3_S5_PKS7_SB_S5_SD_S8_SB_S5_SD_SB_S5_PS7_PS9_21rocsparse_index_base_SG_SG_SG_bbb,comdat
.Lfunc_end158:
	.size	_ZN9rocsparseL51csrgemm_numeric_fill_block_per_row_multipass_kernelILj512ELj16ELj2048ELj32Ell21rocsparse_complex_numIdEEEvT4_PKS3_S5_NS_24const_host_device_scalarIT5_EEPKT3_S5_PKS7_SB_S5_SD_S8_SB_S5_SD_SB_S5_PS7_PS9_21rocsparse_index_base_SG_SG_SG_bbb, .Lfunc_end158-_ZN9rocsparseL51csrgemm_numeric_fill_block_per_row_multipass_kernelILj512ELj16ELj2048ELj32Ell21rocsparse_complex_numIdEEEvT4_PKS3_S5_NS_24const_host_device_scalarIT5_EEPKT3_S5_PKS7_SB_S5_SD_S8_SB_S5_SD_SB_S5_PS7_PS9_21rocsparse_index_base_SG_SG_SG_bbb
                                        ; -- End function
	.section	.AMDGPU.csdata,"",@progbits
; Kernel info:
; codeLenInByte = 3852
; NumSgprs: 63
; NumVgprs: 62
; ScratchSize: 24
; MemoryBound: 0
; FloatMode: 240
; IeeeMode: 1
; LDSByteSize: 43016 bytes/workgroup (compile time only)
; SGPRBlocks: 7
; VGPRBlocks: 7
; NumSGPRsForWavesPerEU: 63
; NumVGPRsForWavesPerEU: 62
; Occupancy: 12
; WaveLimiterHint : 1
; COMPUTE_PGM_RSRC2:SCRATCH_EN: 1
; COMPUTE_PGM_RSRC2:USER_SGPR: 15
; COMPUTE_PGM_RSRC2:TRAP_HANDLER: 0
; COMPUTE_PGM_RSRC2:TGID_X_EN: 1
; COMPUTE_PGM_RSRC2:TGID_Y_EN: 0
; COMPUTE_PGM_RSRC2:TGID_Z_EN: 0
; COMPUTE_PGM_RSRC2:TIDIG_COMP_CNT: 2
	.section	.text._ZN9rocsparseL51csrgemm_numeric_fill_block_per_row_multipass_kernelILj512ELj16ELj2048ELj64Ell21rocsparse_complex_numIdEEEvT4_PKS3_S5_NS_24const_host_device_scalarIT5_EEPKT3_S5_PKS7_SB_S5_SD_S8_SB_S5_SD_SB_S5_PS7_PS9_21rocsparse_index_base_SG_SG_SG_bbb,"axG",@progbits,_ZN9rocsparseL51csrgemm_numeric_fill_block_per_row_multipass_kernelILj512ELj16ELj2048ELj64Ell21rocsparse_complex_numIdEEEvT4_PKS3_S5_NS_24const_host_device_scalarIT5_EEPKT3_S5_PKS7_SB_S5_SD_S8_SB_S5_SD_SB_S5_PS7_PS9_21rocsparse_index_base_SG_SG_SG_bbb,comdat
	.globl	_ZN9rocsparseL51csrgemm_numeric_fill_block_per_row_multipass_kernelILj512ELj16ELj2048ELj64Ell21rocsparse_complex_numIdEEEvT4_PKS3_S5_NS_24const_host_device_scalarIT5_EEPKT3_S5_PKS7_SB_S5_SD_S8_SB_S5_SD_SB_S5_PS7_PS9_21rocsparse_index_base_SG_SG_SG_bbb ; -- Begin function _ZN9rocsparseL51csrgemm_numeric_fill_block_per_row_multipass_kernelILj512ELj16ELj2048ELj64Ell21rocsparse_complex_numIdEEEvT4_PKS3_S5_NS_24const_host_device_scalarIT5_EEPKT3_S5_PKS7_SB_S5_SD_S8_SB_S5_SD_SB_S5_PS7_PS9_21rocsparse_index_base_SG_SG_SG_bbb
	.p2align	8
	.type	_ZN9rocsparseL51csrgemm_numeric_fill_block_per_row_multipass_kernelILj512ELj16ELj2048ELj64Ell21rocsparse_complex_numIdEEEvT4_PKS3_S5_NS_24const_host_device_scalarIT5_EEPKT3_S5_PKS7_SB_S5_SD_S8_SB_S5_SD_SB_S5_PS7_PS9_21rocsparse_index_base_SG_SG_SG_bbb,@function
_ZN9rocsparseL51csrgemm_numeric_fill_block_per_row_multipass_kernelILj512ELj16ELj2048ELj64Ell21rocsparse_complex_numIdEEEvT4_PKS3_S5_NS_24const_host_device_scalarIT5_EEPKT3_S5_PKS7_SB_S5_SD_S8_SB_S5_SD_SB_S5_PS7_PS9_21rocsparse_index_base_SG_SG_SG_bbb: ; @_ZN9rocsparseL51csrgemm_numeric_fill_block_per_row_multipass_kernelILj512ELj16ELj2048ELj64Ell21rocsparse_complex_numIdEEEvT4_PKS3_S5_NS_24const_host_device_scalarIT5_EEPKT3_S5_PKS7_SB_S5_SD_S8_SB_S5_SD_SB_S5_PS7_PS9_21rocsparse_index_base_SG_SG_SG_bbb
; %bb.0:
	s_mov_b32 s20, s15
	s_clause 0x3
	s_load_b32 s5, s[2:3], 0xb0
	s_load_b256 s[8:15], s[2:3], 0x8
	s_load_b128 s[16:19], s[2:3], 0x58
	s_load_b128 s[28:31], s[2:3], 0xa0
	v_mov_b32_e32 v8, 0
	v_mov_b32_e32 v9, 0
	s_waitcnt lgkmcnt(0)
	s_bitcmp1_b32 s5, 0
	v_dual_mov_b32 v1, s12 :: v_dual_mov_b32 v2, s13
	s_cselect_b32 s45, -1, 0
	s_bitcmp1_b32 s5, 16
	v_dual_mov_b32 v11, v9 :: v_dual_mov_b32 v10, v8
	s_cselect_b32 s4, -1, 0
	v_dual_mov_b32 v13, v9 :: v_dual_mov_b32 v12, v8
	v_dual_mov_b32 v3, s16 :: v_dual_mov_b32 v4, s17
	s_xor_b32 s21, s4, -1
	s_bitcmp0_b32 s5, 0
	s_clause 0x1
	scratch_store_b64 off, v[1:2], off
	scratch_store_b64 off, v[3:4], off offset:8
	s_cbranch_scc1 .LBB159_3
; %bb.1:
	s_mov_b64 s[6:7], src_private_base
	s_and_b32 s6, s4, exec_lo
	s_cselect_b32 s6, s7, s13
	s_delay_alu instid0(SALU_CYCLE_1) | instskip(SKIP_2) | instid1(VALU_DEP_2)
	v_dual_mov_b32 v1, 0 :: v_dual_mov_b32 v2, s6
	v_dual_mov_b32 v12, s14 :: v_dual_mov_b32 v13, s15
	s_and_not1_b32 vcc_lo, exec_lo, s21
	v_cndmask_b32_e64 v1, s12, v1, s4
	flat_load_b64 v[10:11], v[1:2]
	s_cbranch_vccnz .LBB159_3
; %bb.2:
	v_dual_mov_b32 v1, s12 :: v_dual_mov_b32 v2, s13
	flat_load_b64 v[12:13], v[1:2] offset:8
.LBB159_3:
	s_load_b64 s[12:13], s[2:3], 0x28
	s_bitcmp1_b32 s5, 8
	v_dual_mov_b32 v15, v9 :: v_dual_mov_b32 v14, v8
	s_cselect_b32 s33, -1, 0
	s_bfe_u32 s5, s5, 0x10008
	s_mov_b64 s[6:7], 0
	s_cmp_eq_u32 s5, 0
	s_cbranch_scc1 .LBB159_6
; %bb.4:
	s_mov_b64 s[14:15], src_private_base
	s_and_b32 s5, s4, exec_lo
	s_cselect_b32 s5, s15, s17
	s_delay_alu instid0(SALU_CYCLE_1) | instskip(SKIP_2) | instid1(VALU_DEP_2)
	v_dual_mov_b32 v1, 8 :: v_dual_mov_b32 v2, s5
	v_dual_mov_b32 v8, s18 :: v_dual_mov_b32 v9, s19
	s_and_not1_b32 vcc_lo, exec_lo, s21
	v_cndmask_b32_e64 v1, s16, v1, s4
	flat_load_b64 v[14:15], v[1:2]
	s_cbranch_vccnz .LBB159_6
; %bb.5:
	v_dual_mov_b32 v1, s16 :: v_dual_mov_b32 v2, s17
	flat_load_b64 v[8:9], v[1:2] offset:8
.LBB159_6:
	s_load_b64 s[4:5], s[8:9], 0x0
	s_mov_b32 s21, 0
	s_waitcnt lgkmcnt(0)
	s_lshl_b64 s[4:5], s[4:5], 3
	s_delay_alu instid0(SALU_CYCLE_1) | instskip(SKIP_2) | instid1(SALU_CYCLE_1)
	s_add_u32 s8, s10, s4
	s_addc_u32 s9, s11, s5
	s_lshl_b64 s[4:5], s[20:21], 3
	s_add_u32 s4, s8, s4
	s_addc_u32 s5, s9, s5
	s_and_not1_b32 vcc_lo, exec_lo, s45
	s_load_b64 s[4:5], s[4:5], 0x0
	s_cbranch_vccz .LBB159_9
; %bb.7:
	s_and_not1_b32 vcc_lo, exec_lo, s45
	s_mov_b64 s[34:35], 0
	s_cbranch_vccz .LBB159_10
.LBB159_8:
	s_load_b64 s[40:41], s[2:3], 0x0
	s_waitcnt lgkmcnt(0)
	v_cmp_lt_i64_e64 s8, s[40:41], 1
	s_delay_alu instid0(VALU_DEP_1)
	s_and_b32 vcc_lo, exec_lo, s8
	s_cbranch_vccz .LBB159_11
	s_branch .LBB159_73
.LBB159_9:
	s_waitcnt lgkmcnt(0)
	s_lshl_b64 s[6:7], s[4:5], 3
	s_delay_alu instid0(SALU_CYCLE_1)
	s_add_u32 s6, s12, s6
	s_addc_u32 s7, s13, s7
	s_load_b64 s[6:7], s[6:7], 0x0
	s_waitcnt lgkmcnt(0)
	s_sub_u32 s6, s6, s28
	s_subb_u32 s7, s7, 0
	s_and_not1_b32 vcc_lo, exec_lo, s45
	s_mov_b64 s[34:35], 0
	s_cbranch_vccnz .LBB159_8
.LBB159_10:
	s_waitcnt lgkmcnt(0)
	s_lshl_b64 s[8:9], s[4:5], 3
	s_delay_alu instid0(SALU_CYCLE_1)
	s_add_u32 s8, s12, s8
	s_addc_u32 s9, s13, s9
	s_load_b64 s[8:9], s[8:9], 0x8
	s_waitcnt lgkmcnt(0)
	s_sub_u32 s34, s8, s28
	s_subb_u32 s35, s9, 0
	s_load_b64 s[40:41], s[2:3], 0x0
	s_waitcnt lgkmcnt(0)
	v_cmp_lt_i64_e64 s8, s[40:41], 1
	s_delay_alu instid0(VALU_DEP_1)
	s_and_b32 vcc_lo, exec_lo, s8
	s_cbranch_vccnz .LBB159_73
.LBB159_11:
	s_load_b64 s[8:9], s[0:1], 0x4
	s_clause 0x3
	s_load_b256 s[12:19], s[2:3], 0x68
	s_load_b128 s[36:39], s[2:3], 0x90
	s_load_b64 s[42:43], s[2:3], 0x50
	s_load_b256 s[20:27], s[2:3], 0x30
	s_lshl_b64 s[2:3], s[4:5], 3
	v_and_b32_e32 v1, 0x3ff, v0
	v_bfe_u32 v2, v0, 10, 10
	v_mbcnt_lo_u32_b32 v4, -1, 0
	v_bfe_u32 v3, v0, 20, 10
	v_mov_b32_e32 v0, 0
	v_lshrrev_b32_e32 v5, 4, v1
	v_dual_mov_b32 v23, 0x800 :: v_dual_mov_b32 v58, 1
	v_xor_b32_e32 v6, 8, v4
	v_xor_b32_e32 v18, 2, v4
	;; [unrolled: 1-line block ×4, first 2 shown]
	v_cmp_eq_u32_e64 s0, 0, v1
	v_cmp_gt_i32_e32 vcc_lo, 32, v6
	s_waitcnt lgkmcnt(0)
	s_lshr_b32 s1, s8, 16
	s_add_u32 s4, s18, s2
	s_addc_u32 s5, s19, s3
	s_mul_i32 s1, s1, s9
	s_load_b64 s[4:5], s[4:5], 0x0
	v_mul_lo_u32 v19, s1, v1
	v_mul_u32_u24_e32 v2, s9, v2
	v_add_co_u32 v16, s1, s6, v5
	s_delay_alu instid0(VALU_DEP_1) | instskip(SKIP_1) | instid1(VALU_DEP_4)
	v_add_co_ci_u32_e64 v17, null, s7, 0, s1
	v_sub_co_u32 v48, s8, v1, s31
	v_add3_u32 v2, v19, v2, v3
	v_cndmask_b32_e32 v3, v4, v6, vcc_lo
	v_cmp_gt_i32_e32 vcc_lo, 32, v7
	v_and_b32_e32 v47, 15, v1
	v_sub_co_ci_u32_e64 v49, null, 0, 0, s8
	v_lshl_add_u32 v50, v2, 4, 0x8808
	v_cndmask_b32_e32 v6, v4, v7, vcc_lo
	v_cmp_gt_i64_e32 vcc_lo, s[34:35], v[16:17]
	v_mov_b32_e32 v21, 0
	v_cmp_eq_u32_e64 s1, 15, v47
	s_waitcnt lgkmcnt(0)
	s_sub_u32 s10, s4, s30
	s_subb_u32 s11, s5, 0
	s_add_u32 s12, s12, s2
	v_cmp_gt_i32_e64 s2, 32, v18
	v_lshlrev_b32_e32 v52, 2, v6
	v_and_b32_e32 v55, 28, v5
	s_addc_u32 s13, s13, s3
	v_cmp_gt_u32_e64 s3, 64, v1
	v_cndmask_b32_e64 v2, v4, v18, s2
	v_cmp_gt_i32_e64 s2, 32, v20
	v_cmp_gt_u32_e64 s4, 0x80, v1
	v_cmp_gt_u32_e64 s5, 0xc0, v1
	;; [unrolled: 1-line block ×3, first 2 shown]
	v_dual_mov_b32 v24, 0 :: v_dual_lshlrev_b32 v53, 2, v2
	v_cndmask_b32_e64 v7, v4, v20, s2
	v_xor_b32_e32 v4, 63, v4
	v_cmp_eq_u32_e64 s2, 0x1ff, v1
	v_cmp_gt_u32_e64 s7, 0x140, v1
	v_cmp_gt_u32_e64 s8, 0x180, v1
	v_lshlrev_b32_e32 v54, 2, v7
	v_lshrrev_b64 v[18:19], v4, -1
	v_dual_mov_b32 v20, s11 :: v_dual_lshlrev_b32 v51, 2, v3
	v_mov_b32_e32 v22, 0
	v_cmp_gt_u32_e64 s9, 0x1c0, v1
	v_or_b32_e32 v56, 0xfffffe00, v1
	v_dual_mov_b32 v2, v0 :: v_dual_lshlrev_b32 v57, 4, v1
	v_mov_b32_e32 v19, s10
	v_mov_b32_e32 v1, v0
	;; [unrolled: 1-line block ×3, first 2 shown]
	s_and_b32 s30, s45, vcc_lo
	s_mov_b32 s44, s31
	s_add_u32 s31, s24, 8
	s_addc_u32 s45, s25, 0
	s_branch .LBB159_13
.LBB159_12:                             ;   in Loop: Header=BB159_13 Depth=1
	s_or_b32 exec_lo, exec_lo, s11
	ds_load_b64 v[21:22], v0 offset:34816
	s_waitcnt lgkmcnt(0)
	s_barrier
	buffer_gl0_inv
	v_cmp_le_i64_e32 vcc_lo, s[40:41], v[21:22]
	v_add_co_u32 v23, s10, 0x800, v21
	s_delay_alu instid0(VALU_DEP_1)
	v_add_co_ci_u32_e64 v24, s10, 0, v22, s10
	s_cbranch_vccnz .LBB159_73
.LBB159_13:                             ; =>This Loop Header: Depth=1
                                        ;     Child Loop BB159_14 Depth 2
                                        ;     Child Loop BB159_20 Depth 2
                                        ;       Child Loop BB159_28 Depth 3
                                        ;         Child Loop BB159_32 Depth 4
                                        ;         Child Loop BB159_34 Depth 4
                                        ;     Child Loop BB159_48 Depth 2
                                        ;       Child Loop BB159_52 Depth 3
                                        ;       Child Loop BB159_54 Depth 3
                                        ;     Child Loop BB159_64 Depth 2
                                        ;     Child Loop BB159_69 Depth 2
	v_dual_mov_b32 v4, v57 :: v_dual_mov_b32 v5, v56
	s_mov_b32 s10, 0
.LBB159_14:                             ;   Parent Loop BB159_13 Depth=1
                                        ; =>  This Inner Loop Header: Depth=2
	ds_store_b8 v5, v0 offset:33280
	v_add_nc_u32_e32 v5, 0x200, v5
	ds_store_b128 v4, v[0:3]
	v_add_nc_u32_e32 v4, 0x2000, v4
	v_cmp_lt_u32_e32 vcc_lo, 0x5ff, v5
	s_or_b32 s10, vcc_lo, s10
	s_delay_alu instid0(SALU_CYCLE_1)
	s_and_not1_b32 exec_lo, exec_lo, s10
	s_cbranch_execnz .LBB159_14
; %bb.15:                               ;   in Loop: Header=BB159_13 Depth=1
	s_or_b32 exec_lo, exec_lo, s10
	s_and_saveexec_b32 s10, s0
	s_cbranch_execz .LBB159_17
; %bb.16:                               ;   in Loop: Header=BB159_13 Depth=1
	v_dual_mov_b32 v4, s40 :: v_dual_mov_b32 v5, s41
	ds_store_b64 v0, v[4:5] offset:34816
.LBB159_17:                             ;   in Loop: Header=BB159_13 Depth=1
	s_or_b32 exec_lo, exec_lo, s10
	v_dual_mov_b32 v25, s40 :: v_dual_mov_b32 v26, s41
	s_waitcnt vmcnt(0) lgkmcnt(0)
	s_waitcnt_vscnt null, 0x0
	s_barrier
	buffer_gl0_inv
	s_and_saveexec_b32 s18, s30
	s_cbranch_execz .LBB159_44
; %bb.18:                               ;   in Loop: Header=BB159_13 Depth=1
	v_cmp_ne_u64_e64 s10, 0, v[21:22]
	v_dual_mov_b32 v25, s40 :: v_dual_mov_b32 v26, s41
	v_dual_mov_b32 v28, v17 :: v_dual_mov_b32 v27, v16
	s_mov_b32 s19, 0
	s_branch .LBB159_20
.LBB159_19:                             ;   in Loop: Header=BB159_20 Depth=2
	s_or_b32 exec_lo, exec_lo, s46
	v_add_co_u32 v27, vcc_lo, v27, 32
	v_add_co_ci_u32_e32 v28, vcc_lo, 0, v28, vcc_lo
	s_delay_alu instid0(VALU_DEP_1) | instskip(SKIP_1) | instid1(SALU_CYCLE_1)
	v_cmp_le_i64_e32 vcc_lo, s[34:35], v[27:28]
	s_or_b32 s19, vcc_lo, s19
	s_and_not1_b32 exec_lo, exec_lo, s19
	s_cbranch_execz .LBB159_43
.LBB159_20:                             ;   Parent Loop BB159_13 Depth=1
                                        ; =>  This Loop Header: Depth=2
                                        ;       Child Loop BB159_28 Depth 3
                                        ;         Child Loop BB159_32 Depth 4
                                        ;         Child Loop BB159_34 Depth 4
	s_delay_alu instid0(VALU_DEP_1) | instskip(SKIP_2) | instid1(VALU_DEP_2)
	v_lshlrev_b64 v[29:30], 3, v[27:28]
	v_lshlrev_b64 v[4:5], 4, v[27:28]
	s_waitcnt lgkmcnt(0)
	v_add_co_u32 v6, vcc_lo, s20, v29
	s_delay_alu instid0(VALU_DEP_3) | instskip(NEXT) | instid1(VALU_DEP_3)
	v_add_co_ci_u32_e32 v7, vcc_lo, s21, v30, vcc_lo
	v_add_co_u32 v4, vcc_lo, s22, v4
	s_delay_alu instid0(VALU_DEP_4)
	v_add_co_ci_u32_e32 v5, vcc_lo, s23, v5, vcc_lo
	s_and_b32 vcc_lo, exec_lo, s10
	global_load_b64 v[33:34], v[6:7], off
	global_load_b128 v[4:7], v[4:5], off
	s_cbranch_vccz .LBB159_22
; %bb.21:                               ;   in Loop: Header=BB159_20 Depth=2
	v_add_co_u32 v31, vcc_lo, s38, v29
	v_add_co_ci_u32_e32 v32, vcc_lo, s39, v30, vcc_lo
	s_mov_b32 s11, 0
	global_load_b64 v[31:32], v[31:32], off
	s_branch .LBB159_23
.LBB159_22:                             ;   in Loop: Header=BB159_20 Depth=2
	s_mov_b32 s11, -1
                                        ; implicit-def: $vgpr31_vgpr32
.LBB159_23:                             ;   in Loop: Header=BB159_20 Depth=2
	s_waitcnt vmcnt(1)
	v_sub_co_u32 v33, vcc_lo, v33, s28
	v_subrev_co_ci_u32_e32 v34, vcc_lo, 0, v34, vcc_lo
	s_and_not1_b32 vcc_lo, exec_lo, s11
	s_delay_alu instid0(VALU_DEP_1)
	v_lshlrev_b64 v[33:34], 3, v[33:34]
	s_cbranch_vccnz .LBB159_25
; %bb.24:                               ;   in Loop: Header=BB159_20 Depth=2
	s_waitcnt vmcnt(0)
	s_delay_alu instid0(VALU_DEP_1) | instskip(NEXT) | instid1(VALU_DEP_2)
	v_add_co_u32 v31, vcc_lo, s24, v33
	v_add_co_ci_u32_e32 v32, vcc_lo, s25, v34, vcc_lo
	global_load_b64 v[31:32], v[31:32], off
	s_waitcnt vmcnt(0)
	v_sub_co_u32 v31, vcc_lo, v31, s29
	v_subrev_co_ci_u32_e32 v32, vcc_lo, 0, v32, vcc_lo
.LBB159_25:                             ;   in Loop: Header=BB159_20 Depth=2
	s_delay_alu instid0(VALU_DEP_1) | instskip(NEXT) | instid1(VALU_DEP_2)
	v_add_co_u32 v33, vcc_lo, s31, v33
	v_add_co_ci_u32_e32 v34, vcc_lo, s45, v34, vcc_lo
	s_mov_b32 s46, exec_lo
	global_load_b64 v[33:34], v[33:34], off
	s_waitcnt vmcnt(0)
	v_sub_co_u32 v33, vcc_lo, v33, s29
	v_subrev_co_ci_u32_e32 v34, vcc_lo, 0, v34, vcc_lo
	v_add_co_u32 v31, vcc_lo, v31, v47
	v_add_co_ci_u32_e32 v32, vcc_lo, 0, v32, vcc_lo
	s_delay_alu instid0(VALU_DEP_1)
	v_cmpx_lt_i64_e64 v[31:32], v[33:34]
	s_cbranch_execz .LBB159_41
; %bb.26:                               ;   in Loop: Header=BB159_20 Depth=2
	v_mul_f64 v[35:36], v[6:7], -v[12:13]
	v_mul_f64 v[6:7], v[10:11], v[6:7]
	v_dual_mov_b32 v42, v32 :: v_dual_mov_b32 v41, v31
	s_mov_b32 s48, 0
                                        ; implicit-def: $sgpr47
                                        ; implicit-def: $sgpr49
	s_delay_alu instid0(VALU_DEP_3) | instskip(NEXT) | instid1(VALU_DEP_3)
	v_fma_f64 v[35:36], v[10:11], v[4:5], v[35:36]
	v_fma_f64 v[37:38], v[12:13], v[4:5], v[6:7]
	s_branch .LBB159_28
.LBB159_27:                             ;   in Loop: Header=BB159_28 Depth=3
	s_or_b32 exec_lo, exec_lo, s50
	s_delay_alu instid0(SALU_CYCLE_1) | instskip(SKIP_4) | instid1(SALU_CYCLE_1)
	s_and_b32 s11, exec_lo, s51
	v_dual_mov_b32 v42, v7 :: v_dual_mov_b32 v41, v6
	s_or_b32 s48, s11, s48
	s_and_not1_b32 s11, s47, exec_lo
	s_and_b32 s47, s49, exec_lo
	s_or_b32 s47, s11, s47
	s_and_not1_b32 exec_lo, exec_lo, s48
	s_cbranch_execz .LBB159_38
.LBB159_28:                             ;   Parent Loop BB159_13 Depth=1
                                        ;     Parent Loop BB159_20 Depth=2
                                        ; =>    This Loop Header: Depth=3
                                        ;         Child Loop BB159_32 Depth 4
                                        ;         Child Loop BB159_34 Depth 4
	v_lshlrev_b64 v[4:5], 3, v[41:42]
	s_delay_alu instid0(VALU_DEP_1) | instskip(NEXT) | instid1(VALU_DEP_2)
	v_add_co_u32 v4, vcc_lo, s26, v4
	v_add_co_ci_u32_e32 v5, vcc_lo, s27, v5, vcc_lo
	global_load_b64 v[4:5], v[4:5], off
	s_waitcnt vmcnt(0)
	v_sub_co_u32 v39, vcc_lo, v4, s29
	v_subrev_co_ci_u32_e32 v40, vcc_lo, 0, v5, vcc_lo
	s_delay_alu instid0(VALU_DEP_1)
	v_cmp_lt_i64_e32 vcc_lo, v[39:40], v[23:24]
	v_cmp_lt_i64_e64 s11, v[39:40], v[21:22]
	s_xor_b32 s50, vcc_lo, -1
	s_delay_alu instid0(VALU_DEP_1) | instid1(SALU_CYCLE_1)
	s_or_b32 s51, s11, s50
	s_mov_b32 s11, 0
                                        ; implicit-def: $sgpr50
	s_and_saveexec_b32 s52, s51
	s_delay_alu instid0(SALU_CYCLE_1)
	s_xor_b32 s51, exec_lo, s52
; %bb.29:                               ;   in Loop: Header=BB159_28 Depth=3
	s_mov_b32 s50, -1
	s_and_b32 s11, vcc_lo, exec_lo
; %bb.30:                               ;   in Loop: Header=BB159_28 Depth=3
	s_and_not1_saveexec_b32 s51, s51
	s_cbranch_execz .LBB159_36
; %bb.31:                               ;   in Loop: Header=BB159_28 Depth=3
	v_lshlrev_b64 v[4:5], 4, v[41:42]
	v_sub_nc_u32_e32 v45, v39, v21
	s_mov_b32 s52, 0
	s_delay_alu instid0(VALU_DEP_1) | instskip(NEXT) | instid1(VALU_DEP_3)
	v_lshlrev_b32_e32 v59, 4, v45
	v_add_co_u32 v4, vcc_lo, s42, v4
	s_delay_alu instid0(VALU_DEP_4)
	v_add_co_ci_u32_e32 v5, vcc_lo, s43, v5, vcc_lo
	ds_store_b8 v45, v58 offset:32768
	ds_load_b64 v[45:46], v59
	global_load_b128 v[4:7], v[4:5], off
	s_waitcnt vmcnt(0)
	v_mul_f64 v[43:44], v[6:7], -v[37:38]
	s_delay_alu instid0(VALU_DEP_1)
	v_fma_f64 v[43:44], v[35:36], v[4:5], v[43:44]
.LBB159_32:                             ;   Parent Loop BB159_13 Depth=1
                                        ;     Parent Loop BB159_20 Depth=2
                                        ;       Parent Loop BB159_28 Depth=3
                                        ; =>      This Inner Loop Header: Depth=4
	s_waitcnt lgkmcnt(0)
	s_delay_alu instid0(VALU_DEP_1)
	v_add_f64 v[60:61], v[45:46], v[43:44]
	ds_cmpstore_rtn_b64 v[60:61], v59, v[60:61], v[45:46]
	s_waitcnt lgkmcnt(0)
	v_cmp_eq_u64_e32 vcc_lo, v[60:61], v[45:46]
	v_dual_mov_b32 v45, v60 :: v_dual_mov_b32 v46, v61
	s_or_b32 s52, vcc_lo, s52
	s_delay_alu instid0(SALU_CYCLE_1)
	s_and_not1_b32 exec_lo, exec_lo, s52
	s_cbranch_execnz .LBB159_32
; %bb.33:                               ;   in Loop: Header=BB159_28 Depth=3
	s_or_b32 exec_lo, exec_lo, s52
	v_mul_f64 v[6:7], v[35:36], v[6:7]
	s_mov_b32 s52, 0
	s_delay_alu instid0(VALU_DEP_1)
	v_fma_f64 v[4:5], v[37:38], v[4:5], v[6:7]
	ds_load_b64 v[6:7], v59 offset:8
.LBB159_34:                             ;   Parent Loop BB159_13 Depth=1
                                        ;     Parent Loop BB159_20 Depth=2
                                        ;       Parent Loop BB159_28 Depth=3
                                        ; =>      This Inner Loop Header: Depth=4
	s_waitcnt lgkmcnt(0)
	v_add_f64 v[43:44], v[6:7], v[4:5]
	ds_cmpstore_rtn_b64 v[43:44], v59, v[43:44], v[6:7] offset:8
	s_waitcnt lgkmcnt(0)
	v_cmp_eq_u64_e32 vcc_lo, v[43:44], v[6:7]
	v_dual_mov_b32 v6, v43 :: v_dual_mov_b32 v7, v44
	s_or_b32 s52, vcc_lo, s52
	s_delay_alu instid0(SALU_CYCLE_1)
	s_and_not1_b32 exec_lo, exec_lo, s52
	s_cbranch_execnz .LBB159_34
; %bb.35:                               ;   in Loop: Header=BB159_28 Depth=3
	s_or_b32 exec_lo, exec_lo, s52
	s_delay_alu instid0(SALU_CYCLE_1)
	s_or_b32 s11, s11, exec_lo
.LBB159_36:                             ;   in Loop: Header=BB159_28 Depth=3
	s_or_b32 exec_lo, exec_lo, s51
	v_dual_mov_b32 v4, v41 :: v_dual_mov_b32 v5, v42
	s_and_not1_b32 s49, s49, exec_lo
	s_and_b32 s50, s50, exec_lo
	s_mov_b32 s51, -1
	s_or_b32 s49, s49, s50
                                        ; implicit-def: $vgpr6_vgpr7
	s_and_saveexec_b32 s50, s11
	s_cbranch_execz .LBB159_27
; %bb.37:                               ;   in Loop: Header=BB159_28 Depth=3
	v_add_co_u32 v6, vcc_lo, v41, 16
	v_add_co_ci_u32_e32 v7, vcc_lo, 0, v42, vcc_lo
	v_dual_mov_b32 v4, v41 :: v_dual_mov_b32 v5, v42
	s_and_not1_b32 s49, s49, exec_lo
	s_delay_alu instid0(VALU_DEP_2)
	v_cmp_ge_i64_e32 vcc_lo, v[6:7], v[33:34]
	s_or_not1_b32 s51, vcc_lo, exec_lo
	s_branch .LBB159_27
.LBB159_38:                             ;   in Loop: Header=BB159_20 Depth=2
	s_or_b32 exec_lo, exec_lo, s48
	s_and_saveexec_b32 s11, s47
	s_delay_alu instid0(SALU_CYCLE_1)
	s_xor_b32 s11, exec_lo, s11
; %bb.39:                               ;   in Loop: Header=BB159_20 Depth=2
	v_cmp_lt_i64_e32 vcc_lo, v[39:40], v[25:26]
	v_dual_mov_b32 v32, v5 :: v_dual_mov_b32 v31, v4
	v_dual_cndmask_b32 v26, v26, v40 :: v_dual_cndmask_b32 v25, v25, v39
; %bb.40:                               ;   in Loop: Header=BB159_20 Depth=2
	s_or_b32 exec_lo, exec_lo, s11
.LBB159_41:                             ;   in Loop: Header=BB159_20 Depth=2
	s_delay_alu instid0(SALU_CYCLE_1)
	s_or_b32 exec_lo, exec_lo, s46
	ds_bpermute_b32 v4, v51, v31
	ds_bpermute_b32 v5, v51, v32
	s_waitcnt lgkmcnt(0)
	v_cmp_lt_i64_e32 vcc_lo, v[4:5], v[31:32]
	v_dual_cndmask_b32 v5, v32, v5 :: v_dual_cndmask_b32 v4, v31, v4
	ds_bpermute_b32 v7, v52, v5
	ds_bpermute_b32 v6, v52, v4
	s_waitcnt lgkmcnt(0)
	v_cmp_lt_i64_e32 vcc_lo, v[6:7], v[4:5]
	v_dual_cndmask_b32 v5, v5, v7 :: v_dual_cndmask_b32 v4, v4, v6
	;; [unrolled: 5-line block ×3, first 2 shown]
	ds_bpermute_b32 v7, v54, v5
	ds_bpermute_b32 v6, v54, v4
	s_and_saveexec_b32 s46, s1
	s_cbranch_execz .LBB159_19
; %bb.42:                               ;   in Loop: Header=BB159_20 Depth=2
	s_waitcnt lgkmcnt(0)
	v_cmp_lt_i64_e32 vcc_lo, v[6:7], v[4:5]
	v_add_co_u32 v29, s11, s38, v29
	s_delay_alu instid0(VALU_DEP_1)
	v_add_co_ci_u32_e64 v30, s11, s39, v30, s11
	v_dual_cndmask_b32 v5, v5, v7 :: v_dual_cndmask_b32 v4, v4, v6
	global_store_b64 v[29:30], v[4:5], off
	s_branch .LBB159_19
.LBB159_43:                             ;   in Loop: Header=BB159_13 Depth=1
	s_or_b32 exec_lo, exec_lo, s19
.LBB159_44:                             ;   in Loop: Header=BB159_13 Depth=1
	s_delay_alu instid0(SALU_CYCLE_1) | instskip(NEXT) | instid1(SALU_CYCLE_1)
	s_or_b32 exec_lo, exec_lo, s18
	s_and_not1_b32 vcc_lo, exec_lo, s33
	s_cbranch_vccnz .LBB159_62
; %bb.45:                               ;   in Loop: Header=BB159_13 Depth=1
	s_load_b128 s[48:51], s[12:13], 0x0
	s_mov_b32 s11, exec_lo
	s_waitcnt lgkmcnt(0)
	v_add_co_u32 v27, vcc_lo, s48, v48
	v_add_co_ci_u32_e32 v28, vcc_lo, s49, v49, vcc_lo
	s_sub_u32 s18, s50, s44
	s_subb_u32 s19, s51, 0
	s_delay_alu instid0(VALU_DEP_1) | instid1(SALU_CYCLE_1)
	v_cmpx_gt_i64_e64 s[18:19], v[27:28]
	s_cbranch_execz .LBB159_61
; %bb.46:                               ;   in Loop: Header=BB159_13 Depth=1
	s_mov_b32 s46, 0
                                        ; implicit-def: $sgpr47
                                        ; implicit-def: $sgpr48
	s_branch .LBB159_48
.LBB159_47:                             ;   in Loop: Header=BB159_48 Depth=2
	s_or_b32 exec_lo, exec_lo, s50
	s_delay_alu instid0(SALU_CYCLE_1) | instskip(NEXT) | instid1(SALU_CYCLE_1)
	s_and_b32 s10, exec_lo, s49
	s_or_b32 s46, s10, s46
	s_and_not1_b32 s10, s47, exec_lo
	s_and_b32 s47, s48, exec_lo
	s_delay_alu instid0(SALU_CYCLE_1)
	s_or_b32 s47, s10, s47
	s_and_not1_b32 exec_lo, exec_lo, s46
	s_cbranch_execz .LBB159_58
.LBB159_48:                             ;   Parent Loop BB159_13 Depth=1
                                        ; =>  This Loop Header: Depth=2
                                        ;       Child Loop BB159_52 Depth 3
                                        ;       Child Loop BB159_54 Depth 3
	v_lshlrev_b64 v[4:5], 3, v[27:28]
	s_delay_alu instid0(VALU_DEP_1) | instskip(NEXT) | instid1(VALU_DEP_2)
	v_add_co_u32 v4, vcc_lo, s14, v4
	v_add_co_ci_u32_e32 v5, vcc_lo, s15, v5, vcc_lo
	global_load_b64 v[4:5], v[4:5], off
	s_waitcnt vmcnt(0)
	v_sub_co_u32 v29, vcc_lo, v4, s44
	v_subrev_co_ci_u32_e32 v30, vcc_lo, 0, v5, vcc_lo
	s_delay_alu instid0(VALU_DEP_1)
	v_cmp_lt_i64_e32 vcc_lo, v[29:30], v[23:24]
	v_cmp_lt_i64_e64 s10, v[29:30], v[21:22]
	s_xor_b32 s49, vcc_lo, -1
	s_delay_alu instid0(VALU_DEP_1) | instid1(SALU_CYCLE_1)
	s_or_b32 s50, s10, s49
	s_mov_b32 s10, 0
                                        ; implicit-def: $sgpr49
	s_and_saveexec_b32 s51, s50
	s_delay_alu instid0(SALU_CYCLE_1)
	s_xor_b32 s50, exec_lo, s51
; %bb.49:                               ;   in Loop: Header=BB159_48 Depth=2
	s_mov_b32 s49, -1
	s_and_b32 s10, vcc_lo, exec_lo
; %bb.50:                               ;   in Loop: Header=BB159_48 Depth=2
	s_and_not1_saveexec_b32 s50, s50
	s_cbranch_execz .LBB159_56
; %bb.51:                               ;   in Loop: Header=BB159_48 Depth=2
	v_lshlrev_b64 v[4:5], 4, v[27:28]
	v_sub_nc_u32_e32 v33, v29, v21
	s_mov_b32 s51, 0
	s_delay_alu instid0(VALU_DEP_1) | instskip(NEXT) | instid1(VALU_DEP_3)
	v_lshlrev_b32_e32 v35, 4, v33
	v_add_co_u32 v4, vcc_lo, s16, v4
	s_delay_alu instid0(VALU_DEP_4)
	v_add_co_ci_u32_e32 v5, vcc_lo, s17, v5, vcc_lo
	ds_store_b8 v33, v58 offset:32768
	ds_load_b64 v[33:34], v35
	global_load_b128 v[4:7], v[4:5], off
	s_waitcnt vmcnt(0)
	v_mul_f64 v[31:32], v[6:7], -v[8:9]
	s_delay_alu instid0(VALU_DEP_1)
	v_fma_f64 v[31:32], v[14:15], v[4:5], v[31:32]
.LBB159_52:                             ;   Parent Loop BB159_13 Depth=1
                                        ;     Parent Loop BB159_48 Depth=2
                                        ; =>    This Inner Loop Header: Depth=3
	s_waitcnt lgkmcnt(0)
	s_delay_alu instid0(VALU_DEP_1)
	v_add_f64 v[36:37], v[33:34], v[31:32]
	ds_cmpstore_rtn_b64 v[36:37], v35, v[36:37], v[33:34]
	s_waitcnt lgkmcnt(0)
	v_cmp_eq_u64_e32 vcc_lo, v[36:37], v[33:34]
	v_dual_mov_b32 v33, v36 :: v_dual_mov_b32 v34, v37
	s_or_b32 s51, vcc_lo, s51
	s_delay_alu instid0(SALU_CYCLE_1)
	s_and_not1_b32 exec_lo, exec_lo, s51
	s_cbranch_execnz .LBB159_52
; %bb.53:                               ;   in Loop: Header=BB159_48 Depth=2
	s_or_b32 exec_lo, exec_lo, s51
	v_mul_f64 v[6:7], v[14:15], v[6:7]
	s_mov_b32 s51, 0
	s_delay_alu instid0(VALU_DEP_1)
	v_fma_f64 v[4:5], v[8:9], v[4:5], v[6:7]
	ds_load_b64 v[6:7], v35 offset:8
.LBB159_54:                             ;   Parent Loop BB159_13 Depth=1
                                        ;     Parent Loop BB159_48 Depth=2
                                        ; =>    This Inner Loop Header: Depth=3
	s_waitcnt lgkmcnt(0)
	v_add_f64 v[31:32], v[6:7], v[4:5]
	ds_cmpstore_rtn_b64 v[31:32], v35, v[31:32], v[6:7] offset:8
	s_waitcnt lgkmcnt(0)
	v_cmp_eq_u64_e32 vcc_lo, v[31:32], v[6:7]
	v_dual_mov_b32 v6, v31 :: v_dual_mov_b32 v7, v32
	s_or_b32 s51, vcc_lo, s51
	s_delay_alu instid0(SALU_CYCLE_1)
	s_and_not1_b32 exec_lo, exec_lo, s51
	s_cbranch_execnz .LBB159_54
; %bb.55:                               ;   in Loop: Header=BB159_48 Depth=2
	s_or_b32 exec_lo, exec_lo, s51
	s_delay_alu instid0(SALU_CYCLE_1)
	s_or_b32 s10, s10, exec_lo
.LBB159_56:                             ;   in Loop: Header=BB159_48 Depth=2
	s_or_b32 exec_lo, exec_lo, s50
	s_delay_alu instid0(SALU_CYCLE_1)
	s_and_not1_b32 s48, s48, exec_lo
	s_and_b32 s50, s49, exec_lo
	s_mov_b32 s49, -1
	s_or_b32 s48, s48, s50
	s_and_saveexec_b32 s50, s10
	s_cbranch_execz .LBB159_47
; %bb.57:                               ;   in Loop: Header=BB159_48 Depth=2
	v_add_co_u32 v27, vcc_lo, 0x200, v27
	v_add_co_ci_u32_e32 v28, vcc_lo, 0, v28, vcc_lo
	s_and_not1_b32 s48, s48, exec_lo
	s_delay_alu instid0(VALU_DEP_1)
	v_cmp_le_i64_e32 vcc_lo, s[18:19], v[27:28]
	s_or_not1_b32 s49, vcc_lo, exec_lo
	s_branch .LBB159_47
.LBB159_58:                             ;   in Loop: Header=BB159_13 Depth=1
	s_or_b32 exec_lo, exec_lo, s46
	s_and_saveexec_b32 s10, s47
	s_delay_alu instid0(SALU_CYCLE_1)
	s_xor_b32 s10, exec_lo, s10
; %bb.59:                               ;   in Loop: Header=BB159_13 Depth=1
	v_cmp_lt_i64_e32 vcc_lo, v[29:30], v[25:26]
	v_dual_cndmask_b32 v26, v26, v30 :: v_dual_cndmask_b32 v25, v25, v29
; %bb.60:                               ;   in Loop: Header=BB159_13 Depth=1
	s_or_b32 exec_lo, exec_lo, s10
.LBB159_61:                             ;   in Loop: Header=BB159_13 Depth=1
	s_delay_alu instid0(SALU_CYCLE_1)
	s_or_b32 exec_lo, exec_lo, s11
.LBB159_62:                             ;   in Loop: Header=BB159_13 Depth=1
	ds_bpermute_b32 v4, v51, v25
	ds_bpermute_b32 v5, v51, v26
	s_waitcnt lgkmcnt(0)
	v_cmp_lt_i64_e32 vcc_lo, v[4:5], v[25:26]
	v_dual_cndmask_b32 v5, v26, v5 :: v_dual_cndmask_b32 v4, v25, v4
	ds_bpermute_b32 v7, v52, v5
	ds_bpermute_b32 v6, v52, v4
	s_waitcnt lgkmcnt(0)
	v_cmp_lt_i64_e32 vcc_lo, v[6:7], v[4:5]
	v_dual_cndmask_b32 v5, v5, v7 :: v_dual_cndmask_b32 v4, v4, v6
	;; [unrolled: 5-line block ×3, first 2 shown]
	ds_bpermute_b32 v7, v54, v5
	ds_bpermute_b32 v6, v54, v4
	s_and_saveexec_b32 s18, s1
	s_cbranch_execz .LBB159_67
; %bb.63:                               ;   in Loop: Header=BB159_13 Depth=1
	s_waitcnt lgkmcnt(0)
	v_cmp_lt_i64_e32 vcc_lo, v[6:7], v[4:5]
	s_mov_b32 s19, exec_lo
	s_mov_b64 s[10:11], -1
	v_dual_cndmask_b32 v5, v5, v7 :: v_dual_cndmask_b32 v4, v4, v6
.LBB159_64:                             ;   Parent Loop BB159_13 Depth=1
                                        ; =>  This Inner Loop Header: Depth=2
	s_ctz_i32_b32 s48, s19
	s_delay_alu instid0(VALU_DEP_1) | instid1(SALU_CYCLE_1)
	v_readlane_b32 s47, v5, s48
	s_delay_alu instid0(VALU_DEP_2) | instskip(NEXT) | instid1(VALU_DEP_1)
	v_readlane_b32 s46, v4, s48
	v_cmp_lt_u64_e64 s49, s[10:11], s[46:47]
	s_delay_alu instid0(VALU_DEP_1) | instskip(SKIP_3) | instid1(SALU_CYCLE_1)
	s_and_b32 s49, s49, exec_lo
	s_cselect_b32 s11, s11, s47
	s_cselect_b32 s10, s10, s46
	s_lshl_b32 s46, 1, s48
	s_and_not1_b32 s19, s19, s46
	s_delay_alu instid0(SALU_CYCLE_1)
	s_cmp_lg_u32 s19, 0
	s_cbranch_scc1 .LBB159_64
; %bb.65:                               ;   in Loop: Header=BB159_13 Depth=1
	v_mbcnt_lo_u32_b32 v4, exec_lo, 0
	s_mov_b32 s19, exec_lo
	s_delay_alu instid0(VALU_DEP_1)
	v_cmpx_eq_u32_e32 0, v4
	s_xor_b32 s19, exec_lo, s19
	s_cbranch_execz .LBB159_67
; %bb.66:                               ;   in Loop: Header=BB159_13 Depth=1
	v_dual_mov_b32 v4, s10 :: v_dual_mov_b32 v5, s11
	ds_min_u64 v0, v[4:5] offset:34816
.LBB159_67:                             ;   in Loop: Header=BB159_13 Depth=1
	s_or_b32 exec_lo, exec_lo, s18
	s_waitcnt lgkmcnt(0)
	v_dual_mov_b32 v6, v57 :: v_dual_mov_b32 v7, v56
	s_mov_b32 s11, 0
	s_waitcnt_vscnt null, 0x0
	s_barrier
	buffer_gl0_inv
	s_branch .LBB159_69
.LBB159_68:                             ;   in Loop: Header=BB159_69 Depth=2
	s_or_b32 exec_lo, exec_lo, s10
	s_waitcnt lgkmcnt(0)
	s_waitcnt_vscnt null, 0x0
	s_barrier
	buffer_gl0_inv
	ds_load_b32 v4, v0 offset:28
	v_add_nc_u32_e32 v7, 0x200, v7
	v_add_nc_u32_e32 v6, 0x2000, v6
	s_delay_alu instid0(VALU_DEP_2) | instskip(SKIP_4) | instid1(VALU_DEP_1)
	v_cmp_lt_u32_e32 vcc_lo, 0x5ff, v7
	s_or_b32 s11, vcc_lo, s11
	s_waitcnt lgkmcnt(0)
	v_ashrrev_i32_e32 v5, 31, v4
	v_add_co_u32 v19, s10, v19, v4
	v_add_co_ci_u32_e64 v20, s10, v20, v5, s10
	s_and_not1_b32 exec_lo, exec_lo, s11
	s_cbranch_execz .LBB159_12
.LBB159_69:                             ;   Parent Loop BB159_13 Depth=1
                                        ; =>  This Inner Loop Header: Depth=2
	ds_load_u8 v4, v7 offset:33280
	ds_load_2addr_b64 v[21:24], v6 offset1:1
	s_waitcnt lgkmcnt(1)
	v_cmp_ne_u16_e32 vcc_lo, 0, v4
	s_waitcnt lgkmcnt(0)
	ds_store_2addr_b64 v50, v[21:22], v[23:24] offset1:1
	s_waitcnt lgkmcnt(0)
	s_barrier
	buffer_gl0_inv
	s_bcnt1_i32_b32 s10, vcc_lo
	s_delay_alu instid0(SALU_CYCLE_1)
	v_mov_b32_e32 v5, s10
	s_mov_b32 s10, exec_lo
	ds_store_b32 v55, v5
	s_waitcnt lgkmcnt(0)
	s_barrier
	buffer_gl0_inv
	ds_load_b128 v[21:24], v0
	ds_load_b96 v[25:27], v0 offset:16
	v_and_b32_e32 v5, vcc_lo, v18
	s_waitcnt lgkmcnt(1)
	v_cndmask_b32_e64 v21, v21, 0, s3
	v_cndmask_b32_e64 v22, v22, 0, s4
	;; [unrolled: 1-line block ×3, first 2 shown]
	s_delay_alu instid0(VALU_DEP_3) | instskip(SKIP_3) | instid1(VALU_DEP_3)
	v_bcnt_u32_b32 v5, v5, v21
	v_cndmask_b32_e64 v21, v24, 0, s6
	s_waitcnt lgkmcnt(0)
	v_cndmask_b32_e64 v24, v25, 0, s7
	v_add3_u32 v5, v5, v22, v23
	v_cndmask_b32_e64 v22, v26, 0, s8
	v_cndmask_b32_e64 v23, v27, 0, s9
	s_delay_alu instid0(VALU_DEP_3) | instskip(SKIP_1) | instid1(VALU_DEP_2)
	v_add3_u32 v5, v5, v21, v24
	v_and_b32_e32 v21, 1, v4
	v_add3_u32 v4, v5, v22, v23
	s_delay_alu instid0(VALU_DEP_2)
	v_cmpx_eq_u32_e32 1, v21
	s_cbranch_execz .LBB159_71
; %bb.70:                               ;   in Loop: Header=BB159_69 Depth=2
	ds_load_2addr_b64 v[21:24], v50 offset1:1
	v_ashrrev_i32_e32 v5, 31, v4
	v_lshlrev_b64 v[25:26], 4, v[19:20]
	s_delay_alu instid0(VALU_DEP_2) | instskip(NEXT) | instid1(VALU_DEP_2)
	v_lshlrev_b64 v[27:28], 4, v[4:5]
	v_add_co_u32 v5, vcc_lo, s36, v25
	s_delay_alu instid0(VALU_DEP_3) | instskip(NEXT) | instid1(VALU_DEP_2)
	v_add_co_ci_u32_e32 v26, vcc_lo, s37, v26, vcc_lo
	v_add_co_u32 v25, vcc_lo, v5, v27
	s_delay_alu instid0(VALU_DEP_2)
	v_add_co_ci_u32_e32 v26, vcc_lo, v26, v28, vcc_lo
	s_waitcnt lgkmcnt(0)
	global_store_b128 v[25:26], v[21:24], off offset:-16
.LBB159_71:                             ;   in Loop: Header=BB159_69 Depth=2
	s_or_b32 exec_lo, exec_lo, s10
	s_and_saveexec_b32 s10, s2
	s_cbranch_execz .LBB159_68
; %bb.72:                               ;   in Loop: Header=BB159_69 Depth=2
	ds_store_b32 v0, v4 offset:28
	s_branch .LBB159_68
.LBB159_73:
	s_endpgm
	.section	.rodata,"a",@progbits
	.p2align	6, 0x0
	.amdhsa_kernel _ZN9rocsparseL51csrgemm_numeric_fill_block_per_row_multipass_kernelILj512ELj16ELj2048ELj64Ell21rocsparse_complex_numIdEEEvT4_PKS3_S5_NS_24const_host_device_scalarIT5_EEPKT3_S5_PKS7_SB_S5_SD_S8_SB_S5_SD_SB_S5_PS7_PS9_21rocsparse_index_base_SG_SG_SG_bbb
		.amdhsa_group_segment_fixed_size 43016
		.amdhsa_private_segment_fixed_size 24
		.amdhsa_kernarg_size 180
		.amdhsa_user_sgpr_count 15
		.amdhsa_user_sgpr_dispatch_ptr 1
		.amdhsa_user_sgpr_queue_ptr 0
		.amdhsa_user_sgpr_kernarg_segment_ptr 1
		.amdhsa_user_sgpr_dispatch_id 0
		.amdhsa_user_sgpr_private_segment_size 0
		.amdhsa_wavefront_size32 1
		.amdhsa_uses_dynamic_stack 0
		.amdhsa_enable_private_segment 1
		.amdhsa_system_sgpr_workgroup_id_x 1
		.amdhsa_system_sgpr_workgroup_id_y 0
		.amdhsa_system_sgpr_workgroup_id_z 0
		.amdhsa_system_sgpr_workgroup_info 0
		.amdhsa_system_vgpr_workitem_id 2
		.amdhsa_next_free_vgpr 62
		.amdhsa_next_free_sgpr 53
		.amdhsa_reserve_vcc 1
		.amdhsa_float_round_mode_32 0
		.amdhsa_float_round_mode_16_64 0
		.amdhsa_float_denorm_mode_32 3
		.amdhsa_float_denorm_mode_16_64 3
		.amdhsa_dx10_clamp 1
		.amdhsa_ieee_mode 1
		.amdhsa_fp16_overflow 0
		.amdhsa_workgroup_processor_mode 1
		.amdhsa_memory_ordered 1
		.amdhsa_forward_progress 0
		.amdhsa_shared_vgpr_count 0
		.amdhsa_exception_fp_ieee_invalid_op 0
		.amdhsa_exception_fp_denorm_src 0
		.amdhsa_exception_fp_ieee_div_zero 0
		.amdhsa_exception_fp_ieee_overflow 0
		.amdhsa_exception_fp_ieee_underflow 0
		.amdhsa_exception_fp_ieee_inexact 0
		.amdhsa_exception_int_div_zero 0
	.end_amdhsa_kernel
	.section	.text._ZN9rocsparseL51csrgemm_numeric_fill_block_per_row_multipass_kernelILj512ELj16ELj2048ELj64Ell21rocsparse_complex_numIdEEEvT4_PKS3_S5_NS_24const_host_device_scalarIT5_EEPKT3_S5_PKS7_SB_S5_SD_S8_SB_S5_SD_SB_S5_PS7_PS9_21rocsparse_index_base_SG_SG_SG_bbb,"axG",@progbits,_ZN9rocsparseL51csrgemm_numeric_fill_block_per_row_multipass_kernelILj512ELj16ELj2048ELj64Ell21rocsparse_complex_numIdEEEvT4_PKS3_S5_NS_24const_host_device_scalarIT5_EEPKT3_S5_PKS7_SB_S5_SD_S8_SB_S5_SD_SB_S5_PS7_PS9_21rocsparse_index_base_SG_SG_SG_bbb,comdat
.Lfunc_end159:
	.size	_ZN9rocsparseL51csrgemm_numeric_fill_block_per_row_multipass_kernelILj512ELj16ELj2048ELj64Ell21rocsparse_complex_numIdEEEvT4_PKS3_S5_NS_24const_host_device_scalarIT5_EEPKT3_S5_PKS7_SB_S5_SD_S8_SB_S5_SD_SB_S5_PS7_PS9_21rocsparse_index_base_SG_SG_SG_bbb, .Lfunc_end159-_ZN9rocsparseL51csrgemm_numeric_fill_block_per_row_multipass_kernelILj512ELj16ELj2048ELj64Ell21rocsparse_complex_numIdEEEvT4_PKS3_S5_NS_24const_host_device_scalarIT5_EEPKT3_S5_PKS7_SB_S5_SD_S8_SB_S5_SD_SB_S5_PS7_PS9_21rocsparse_index_base_SG_SG_SG_bbb
                                        ; -- End function
	.section	.AMDGPU.csdata,"",@progbits
; Kernel info:
; codeLenInByte = 3624
; NumSgprs: 55
; NumVgprs: 62
; ScratchSize: 24
; MemoryBound: 0
; FloatMode: 240
; IeeeMode: 1
; LDSByteSize: 43016 bytes/workgroup (compile time only)
; SGPRBlocks: 6
; VGPRBlocks: 7
; NumSGPRsForWavesPerEU: 55
; NumVGPRsForWavesPerEU: 62
; Occupancy: 12
; WaveLimiterHint : 1
; COMPUTE_PGM_RSRC2:SCRATCH_EN: 1
; COMPUTE_PGM_RSRC2:USER_SGPR: 15
; COMPUTE_PGM_RSRC2:TRAP_HANDLER: 0
; COMPUTE_PGM_RSRC2:TGID_X_EN: 1
; COMPUTE_PGM_RSRC2:TGID_Y_EN: 0
; COMPUTE_PGM_RSRC2:TGID_Z_EN: 0
; COMPUTE_PGM_RSRC2:TIDIG_COMP_CNT: 2
	.section	.text._ZN9rocsparseL38csrgemm_numeric_fill_wf_per_row_kernelILj256ELj8ELj16ELj137ElifEEvT4_S1_PKS1_S3_NS_24const_host_device_scalarIT5_EEPKT3_S3_PKS5_S9_S3_SB_S6_S9_S3_SB_S9_S3_PS5_21rocsparse_index_base_SD_SD_SD_bbb,"axG",@progbits,_ZN9rocsparseL38csrgemm_numeric_fill_wf_per_row_kernelILj256ELj8ELj16ELj137ElifEEvT4_S1_PKS1_S3_NS_24const_host_device_scalarIT5_EEPKT3_S3_PKS5_S9_S3_SB_S6_S9_S3_SB_S9_S3_PS5_21rocsparse_index_base_SD_SD_SD_bbb,comdat
	.globl	_ZN9rocsparseL38csrgemm_numeric_fill_wf_per_row_kernelILj256ELj8ELj16ELj137ElifEEvT4_S1_PKS1_S3_NS_24const_host_device_scalarIT5_EEPKT3_S3_PKS5_S9_S3_SB_S6_S9_S3_SB_S9_S3_PS5_21rocsparse_index_base_SD_SD_SD_bbb ; -- Begin function _ZN9rocsparseL38csrgemm_numeric_fill_wf_per_row_kernelILj256ELj8ELj16ELj137ElifEEvT4_S1_PKS1_S3_NS_24const_host_device_scalarIT5_EEPKT3_S3_PKS5_S9_S3_SB_S6_S9_S3_SB_S9_S3_PS5_21rocsparse_index_base_SD_SD_SD_bbb
	.p2align	8
	.type	_ZN9rocsparseL38csrgemm_numeric_fill_wf_per_row_kernelILj256ELj8ELj16ELj137ElifEEvT4_S1_PKS1_S3_NS_24const_host_device_scalarIT5_EEPKT3_S3_PKS5_S9_S3_SB_S6_S9_S3_SB_S9_S3_PS5_21rocsparse_index_base_SD_SD_SD_bbb,@function
_ZN9rocsparseL38csrgemm_numeric_fill_wf_per_row_kernelILj256ELj8ELj16ELj137ElifEEvT4_S1_PKS1_S3_NS_24const_host_device_scalarIT5_EEPKT3_S3_PKS5_S9_S3_SB_S6_S9_S3_SB_S9_S3_PS5_21rocsparse_index_base_SD_SD_SD_bbb: ; @_ZN9rocsparseL38csrgemm_numeric_fill_wf_per_row_kernelILj256ELj8ELj16ELj137ElifEEvT4_S1_PKS1_S3_NS_24const_host_device_scalarIT5_EEPKT3_S3_PKS5_S9_S3_SB_S6_S9_S3_SB_S9_S3_PS5_21rocsparse_index_base_SD_SD_SD_bbb
; %bb.0:
	s_clause 0x3
	s_load_b32 s14, s[0:1], 0x98
	s_load_b128 s[24:27], s[0:1], 0x88
	s_load_b64 s[2:3], s[0:1], 0x18
	s_load_b64 s[12:13], s[0:1], 0x50
	s_waitcnt lgkmcnt(0)
	s_bitcmp1_b32 s14, 0
	s_cselect_b32 s33, -1, 0
	s_bitcmp1_b32 s14, 16
	s_cselect_b32 s34, -1, 0
	s_xor_b32 s4, s33, -1
	s_delay_alu instid0(SALU_CYCLE_1) | instskip(NEXT) | instid1(SALU_CYCLE_1)
	s_or_b32 s4, s4, s34
	s_and_b32 vcc_lo, exec_lo, s4
	s_cbranch_vccnz .LBB160_2
; %bb.1:
	s_load_b32 s2, s[2:3], 0x0
	s_waitcnt lgkmcnt(0)
	v_mov_b32_e32 v17, s2
	s_branch .LBB160_3
.LBB160_2:
	v_cndmask_b32_e64 v17, 0, s2, s33
.LBB160_3:
	s_clause 0x4
	s_load_b64 s[2:3], s[0:1], 0x80
	s_load_b256 s[4:11], s[0:1], 0x58
	s_load_b128 s[28:31], s[0:1], 0x40
	s_load_b128 s[36:39], s[0:1], 0x8
	s_load_b256 s[16:23], s[0:1], 0x20
	s_bitcmp1_b32 s14, 8
	s_cselect_b32 s14, -1, 0
	s_delay_alu instid0(SALU_CYCLE_1) | instskip(NEXT) | instid1(SALU_CYCLE_1)
	s_xor_b32 s35, s14, -1
	s_or_b32 s34, s35, s34
	s_delay_alu instid0(SALU_CYCLE_1)
	s_and_b32 vcc_lo, exec_lo, s34
	s_cbranch_vccnz .LBB160_5
; %bb.4:
	s_load_b32 s12, s[12:13], 0x0
	s_waitcnt lgkmcnt(0)
	v_mov_b32_e32 v15, s12
	s_branch .LBB160_6
.LBB160_5:
	v_cndmask_b32_e64 v15, 0, s12, s14
.LBB160_6:
	s_load_b64 s[0:1], s[0:1], 0x0
	v_and_b32_e32 v18, 7, v0
	v_lshrrev_b32_e32 v2, 3, v0
	s_mov_b32 s12, 0
	s_waitcnt lgkmcnt(0)
	s_delay_alu instid0(VALU_DEP_2) | instskip(NEXT) | instid1(VALU_DEP_1)
	v_dual_mov_b32 v3, s1 :: v_dual_lshlrev_b32 v0, 2, v18
	v_lshl_or_b32 v12, v2, 6, v0
	s_delay_alu instid0(VALU_DEP_1) | instskip(SKIP_1) | instid1(VALU_DEP_1)
	v_dual_mov_b32 v0, 0 :: v_dual_mov_b32 v1, v12
	v_or_b32_e32 v13, -8, v18
	v_mov_b32_e32 v4, v13
.LBB160_7:                              ; =>This Inner Loop Header: Depth=1
	s_delay_alu instid0(VALU_DEP_1) | instskip(NEXT) | instid1(VALU_DEP_1)
	v_add_co_u32 v4, s13, v4, 8
	s_xor_b32 s13, s13, -1
	ds_store_2addr_stride64_b32 v1, v0, v3 offset1:8
	v_add_nc_u32_e32 v1, 32, v1
	s_and_b32 s13, exec_lo, s13
	s_delay_alu instid0(SALU_CYCLE_1) | instskip(NEXT) | instid1(SALU_CYCLE_1)
	s_or_b32 s12, s13, s12
	s_and_not1_b32 exec_lo, exec_lo, s12
	s_cbranch_execnz .LBB160_7
; %bb.8:
	s_or_b32 exec_lo, exec_lo, s12
	s_lshl_b32 s12, s15, 5
	s_waitcnt lgkmcnt(0)
	buffer_gl0_inv
	v_and_or_b32 v0, 0x1fffffe0, s12, v2
	s_delay_alu instid0(VALU_DEP_1)
	v_cmp_gt_i32_e32 vcc_lo, s0, v0
	s_and_saveexec_b32 s0, vcc_lo
	s_cbranch_execz .LBB160_51
; %bb.9:
	s_cmp_eq_u64 s[38:39], 0
	s_cbranch_scc1 .LBB160_11
; %bb.10:
	s_load_b32 s0, s[36:37], 0x0
	s_waitcnt lgkmcnt(0)
	v_add_nc_u32_e32 v0, s0, v0
	s_delay_alu instid0(VALU_DEP_1) | instskip(NEXT) | instid1(VALU_DEP_1)
	v_ashrrev_i32_e32 v1, 31, v0
	v_lshlrev_b64 v[0:1], 2, v[0:1]
	s_delay_alu instid0(VALU_DEP_1) | instskip(NEXT) | instid1(VALU_DEP_2)
	v_add_co_u32 v0, vcc_lo, s38, v0
	v_add_co_ci_u32_e32 v1, vcc_lo, s39, v1, vcc_lo
	global_load_b32 v0, v[0:1], off
.LBB160_11:
	s_waitcnt vmcnt(0)
	v_ashrrev_i32_e32 v1, 31, v0
	v_lshlrev_b32_e32 v16, 6, v2
	s_and_not1_b32 vcc_lo, exec_lo, s33
	s_delay_alu instid0(VALU_DEP_2) | instskip(NEXT) | instid1(VALU_DEP_2)
	v_lshlrev_b64 v[4:5], 3, v[0:1]
	v_or_b32_e32 v14, 0x800, v16
	s_cbranch_vccnz .LBB160_31
; %bb.12:
	s_delay_alu instid0(VALU_DEP_2) | instskip(NEXT) | instid1(VALU_DEP_3)
	v_add_co_u32 v0, vcc_lo, s16, v4
	v_add_co_ci_u32_e32 v1, vcc_lo, s17, v5, vcc_lo
	v_sub_co_u32 v8, s0, v18, s24
	s_delay_alu instid0(VALU_DEP_1)
	v_sub_co_ci_u32_e64 v9, null, 0, 0, s0
	global_load_b128 v[0:3], v[0:1], off
	s_mov_b32 s12, 0
	s_mov_b32 s0, exec_lo
	s_waitcnt vmcnt(0)
	v_sub_co_u32 v6, vcc_lo, v2, s24
	v_subrev_co_ci_u32_e32 v7, vcc_lo, 0, v3, vcc_lo
	v_add_co_u32 v8, vcc_lo, v0, v8
	v_add_co_ci_u32_e32 v9, vcc_lo, v1, v9, vcc_lo
	s_delay_alu instid0(VALU_DEP_1)
	v_cmpx_lt_i64_e64 v[8:9], v[6:7]
	s_cbranch_execz .LBB160_30
; %bb.13:
	s_mov_b32 s13, s25
	s_branch .LBB160_15
.LBB160_14:                             ;   in Loop: Header=BB160_15 Depth=1
	s_or_b32 exec_lo, exec_lo, s15
	v_add_co_u32 v8, vcc_lo, v8, 8
	v_add_co_ci_u32_e32 v9, vcc_lo, 0, v9, vcc_lo
	s_delay_alu instid0(VALU_DEP_1) | instskip(SKIP_1) | instid1(SALU_CYCLE_1)
	v_cmp_ge_i64_e32 vcc_lo, v[8:9], v[6:7]
	s_or_b32 s12, vcc_lo, s12
	s_and_not1_b32 exec_lo, exec_lo, s12
	s_cbranch_execz .LBB160_30
.LBB160_15:                             ; =>This Loop Header: Depth=1
                                        ;     Child Loop BB160_18 Depth 2
                                        ;       Child Loop BB160_20 Depth 3
	v_lshlrev_b64 v[10:11], 2, v[8:9]
	s_mov_b32 s15, exec_lo
	s_delay_alu instid0(VALU_DEP_1) | instskip(NEXT) | instid1(VALU_DEP_2)
	v_add_co_u32 v0, vcc_lo, s18, v10
	v_add_co_ci_u32_e32 v1, vcc_lo, s19, v11, vcc_lo
	global_load_b32 v0, v[0:1], off
	s_waitcnt vmcnt(0)
	v_subrev_nc_u32_e32 v0, s24, v0
	s_delay_alu instid0(VALU_DEP_1) | instskip(NEXT) | instid1(VALU_DEP_1)
	v_ashrrev_i32_e32 v1, 31, v0
	v_lshlrev_b64 v[0:1], 3, v[0:1]
	s_delay_alu instid0(VALU_DEP_1) | instskip(NEXT) | instid1(VALU_DEP_2)
	v_add_co_u32 v0, vcc_lo, s22, v0
	v_add_co_ci_u32_e32 v1, vcc_lo, s23, v1, vcc_lo
	global_load_b128 v[0:3], v[0:1], off
	s_waitcnt vmcnt(0)
	v_cmpx_lt_i64_e64 v[0:1], v[2:3]
	s_cbranch_execz .LBB160_14
; %bb.16:                               ;   in Loop: Header=BB160_15 Depth=1
	v_add_co_u32 v10, vcc_lo, s20, v10
	v_add_co_ci_u32_e32 v11, vcc_lo, s21, v11, vcc_lo
	v_sub_co_u32 v2, vcc_lo, v2, s13
	v_subrev_co_ci_u32_e32 v3, vcc_lo, 0, v3, vcc_lo
	global_load_b32 v10, v[10:11], off
	v_sub_co_u32 v0, vcc_lo, v0, s13
	v_subrev_co_ci_u32_e32 v1, vcc_lo, 0, v1, vcc_lo
	s_mov_b32 s16, 0
	s_waitcnt vmcnt(0)
	v_mul_f32_e32 v10, v17, v10
	s_branch .LBB160_18
.LBB160_17:                             ;   in Loop: Header=BB160_18 Depth=2
	s_or_b32 exec_lo, exec_lo, s17
	v_add_co_u32 v0, vcc_lo, v0, 1
	v_add_co_ci_u32_e32 v1, vcc_lo, 0, v1, vcc_lo
	s_delay_alu instid0(VALU_DEP_1) | instskip(SKIP_1) | instid1(SALU_CYCLE_1)
	v_cmp_ge_i64_e32 vcc_lo, v[0:1], v[2:3]
	s_or_b32 s16, vcc_lo, s16
	s_and_not1_b32 exec_lo, exec_lo, s16
	s_cbranch_execz .LBB160_14
.LBB160_18:                             ;   Parent Loop BB160_15 Depth=1
                                        ; =>  This Loop Header: Depth=2
                                        ;       Child Loop BB160_20 Depth 3
	v_lshlrev_b64 v[19:20], 2, v[0:1]
	s_mov_b32 s17, 0
	s_delay_alu instid0(VALU_DEP_1) | instskip(NEXT) | instid1(VALU_DEP_2)
	v_add_co_u32 v21, vcc_lo, s28, v19
	v_add_co_ci_u32_e32 v22, vcc_lo, s29, v20, vcc_lo
	v_add_co_u32 v19, vcc_lo, s30, v19
	v_add_co_ci_u32_e32 v20, vcc_lo, s31, v20, vcc_lo
	global_load_b32 v11, v[21:22], off
	global_load_b32 v19, v[19:20], off
	s_waitcnt vmcnt(1)
	v_subrev_nc_u32_e32 v11, s25, v11
	s_delay_alu instid0(VALU_DEP_1) | instskip(SKIP_1) | instid1(VALU_DEP_1)
	v_lshl_add_u32 v20, v11, 3, v11
	s_waitcnt vmcnt(0)
	v_dual_mul_f32 v19, v10, v19 :: v_dual_and_b32 v20, 15, v20
	s_branch .LBB160_20
.LBB160_19:                             ;   in Loop: Header=BB160_20 Depth=3
	s_or_b32 exec_lo, exec_lo, s33
	s_xor_b32 s33, s34, -1
	s_delay_alu instid0(SALU_CYCLE_1) | instskip(NEXT) | instid1(SALU_CYCLE_1)
	s_and_b32 s33, exec_lo, s33
	s_or_b32 s17, s33, s17
	s_delay_alu instid0(SALU_CYCLE_1)
	s_and_not1_b32 exec_lo, exec_lo, s17
	s_cbranch_execz .LBB160_17
.LBB160_20:                             ;   Parent Loop BB160_15 Depth=1
                                        ;     Parent Loop BB160_18 Depth=2
                                        ; =>    This Inner Loop Header: Depth=3
	s_delay_alu instid0(VALU_DEP_1)
	v_lshl_add_u32 v21, v20, 2, v14
	s_mov_b32 s33, exec_lo
                                        ; implicit-def: $sgpr34
	ds_load_b32 v22, v21
	s_waitcnt lgkmcnt(0)
	v_cmpx_ne_u32_e64 v22, v11
	s_xor_b32 s33, exec_lo, s33
	s_cbranch_execz .LBB160_28
; %bb.21:                               ;   in Loop: Header=BB160_20 Depth=3
	s_mov_b32 s35, exec_lo
                                        ; implicit-def: $sgpr34
	v_cmpx_ne_u32_e64 s1, v22
	s_xor_b32 s35, exec_lo, s35
; %bb.22:                               ;   in Loop: Header=BB160_20 Depth=3
	v_add_nc_u32_e32 v20, 1, v20
	s_mov_b32 s34, -1
                                        ; implicit-def: $vgpr21
	s_delay_alu instid0(VALU_DEP_1)
	v_and_b32_e32 v20, 15, v20
; %bb.23:                               ;   in Loop: Header=BB160_20 Depth=3
	s_and_not1_saveexec_b32 s35, s35
	s_cbranch_execz .LBB160_27
; %bb.24:                               ;   in Loop: Header=BB160_20 Depth=3
	v_mov_b32_e32 v22, s1
	s_mov_b32 s36, -1
	s_mov_b32 s37, exec_lo
	ds_cmpstore_rtn_b32 v21, v21, v11, v22
	s_waitcnt lgkmcnt(0)
	v_cmpx_eq_u32_e64 s1, v21
	s_cbranch_execz .LBB160_26
; %bb.25:                               ;   in Loop: Header=BB160_20 Depth=3
	v_lshl_add_u32 v21, v20, 2, v16
	s_xor_b32 s36, exec_lo, -1
	ds_add_f32 v21, v19
.LBB160_26:                             ;   in Loop: Header=BB160_20 Depth=3
	s_or_b32 exec_lo, exec_lo, s37
	s_delay_alu instid0(SALU_CYCLE_1) | instskip(SKIP_1) | instid1(SALU_CYCLE_1)
	s_and_not1_b32 s34, s34, exec_lo
	s_and_b32 s36, s36, exec_lo
	s_or_b32 s34, s34, s36
.LBB160_27:                             ;   in Loop: Header=BB160_20 Depth=3
	s_or_b32 exec_lo, exec_lo, s35
	s_delay_alu instid0(SALU_CYCLE_1)
	s_and_b32 s34, s34, exec_lo
.LBB160_28:                             ;   in Loop: Header=BB160_20 Depth=3
	s_and_not1_saveexec_b32 s33, s33
	s_cbranch_execz .LBB160_19
; %bb.29:                               ;   in Loop: Header=BB160_20 Depth=3
	v_lshl_add_u32 v21, v20, 2, v16
	s_and_not1_b32 s34, s34, exec_lo
	ds_add_f32 v21, v19
	s_branch .LBB160_19
.LBB160_30:
	s_or_b32 exec_lo, exec_lo, s0
.LBB160_31:
	s_delay_alu instid0(SALU_CYCLE_1)
	s_and_not1_b32 vcc_lo, exec_lo, s14
	s_cbranch_vccnz .LBB160_34
; %bb.32:
	s_delay_alu instid0(VALU_DEP_2) | instskip(SKIP_2) | instid1(VALU_DEP_1)
	v_add_co_u32 v0, vcc_lo, s4, v4
	v_add_co_ci_u32_e32 v1, vcc_lo, s5, v5, vcc_lo
	v_sub_co_u32 v2, s0, v18, s27
	v_sub_co_ci_u32_e64 v3, null, 0, 0, s0
	global_load_b128 v[6:9], v[0:1], off
	s_mov_b32 s4, 0
	s_mov_b32 s0, exec_lo
	s_waitcnt vmcnt(0)
	v_sub_co_u32 v0, vcc_lo, v8, s27
	v_subrev_co_ci_u32_e32 v1, vcc_lo, 0, v9, vcc_lo
	v_add_co_u32 v2, vcc_lo, v6, v2
	v_add_co_ci_u32_e32 v3, vcc_lo, v7, v3, vcc_lo
	s_delay_alu instid0(VALU_DEP_1)
	v_cmpx_lt_i64_e64 v[2:3], v[0:1]
	s_cbranch_execnz .LBB160_39
.LBB160_33:
	s_or_b32 exec_lo, exec_lo, s0
.LBB160_34:
	s_delay_alu instid0(VALU_DEP_2)
	v_add_co_u32 v0, vcc_lo, s10, v4
	v_add_co_ci_u32_e32 v1, vcc_lo, s11, v5, vcc_lo
	s_waitcnt lgkmcnt(0)
	buffer_gl0_inv
	s_mov_b32 s0, 0
	global_load_b64 v[0:1], v[0:1], off
	s_waitcnt vmcnt(0)
	v_sub_co_u32 v0, vcc_lo, v0, s26
	v_subrev_co_ci_u32_e32 v1, vcc_lo, 0, v1, vcc_lo
	s_delay_alu instid0(VALU_DEP_1) | instskip(NEXT) | instid1(VALU_DEP_1)
	v_lshlrev_b64 v[0:1], 2, v[0:1]
	v_add_co_u32 v0, vcc_lo, s2, v0
	s_delay_alu instid0(VALU_DEP_2)
	v_add_co_ci_u32_e32 v1, vcc_lo, s3, v1, vcc_lo
	s_branch .LBB160_36
.LBB160_35:                             ;   in Loop: Header=BB160_36 Depth=1
	s_or_b32 exec_lo, exec_lo, s2
	v_add_co_u32 v13, s2, v13, 8
	s_delay_alu instid0(VALU_DEP_1) | instskip(SKIP_2) | instid1(SALU_CYCLE_1)
	s_xor_b32 s2, s2, -1
	v_add_nc_u32_e32 v12, 32, v12
	s_and_b32 s2, exec_lo, s2
	s_or_b32 s0, s2, s0
	s_delay_alu instid0(SALU_CYCLE_1)
	s_and_not1_b32 exec_lo, exec_lo, s0
	s_cbranch_execz .LBB160_51
.LBB160_36:                             ; =>This Inner Loop Header: Depth=1
	ds_load_b32 v2, v12 offset:2048
	s_mov_b32 s2, exec_lo
	s_waitcnt lgkmcnt(0)
	v_cmpx_gt_i32_e64 s1, v2
	s_cbranch_execz .LBB160_35
; %bb.37:                               ;   in Loop: Header=BB160_36 Depth=1
	ds_load_b128 v[3:6], v14
	ds_load_b128 v[7:10], v14 offset:16
	ds_load_b128 v[15:18], v14 offset:32
	;; [unrolled: 1-line block ×3, first 2 shown]
	ds_load_b32 v11, v12
	s_waitcnt lgkmcnt(4)
	v_cmp_gt_i32_e32 vcc_lo, v2, v3
	v_cndmask_b32_e64 v3, 0, 1, vcc_lo
	v_cmp_gt_i32_e32 vcc_lo, v2, v4
	s_delay_alu instid0(VALU_DEP_2) | instskip(SKIP_2) | instid1(VALU_DEP_2)
	v_lshlrev_b32_e32 v3, 2, v3
	v_cndmask_b32_e64 v4, 0, 1, vcc_lo
	v_cmp_gt_i32_e32 vcc_lo, v2, v5
	v_lshlrev_b32_e32 v4, 2, v4
	v_cndmask_b32_e64 v5, 0, 1, vcc_lo
	v_cmp_gt_i32_e32 vcc_lo, v2, v6
	s_delay_alu instid0(VALU_DEP_2) | instskip(SKIP_3) | instid1(VALU_DEP_2)
	v_lshlrev_b32_e32 v5, 2, v5
	v_cndmask_b32_e64 v6, 0, 1, vcc_lo
	s_waitcnt lgkmcnt(3)
	v_cmp_gt_i32_e32 vcc_lo, v2, v7
	v_lshlrev_b32_e32 v6, 2, v6
	v_cndmask_b32_e64 v7, 0, 1, vcc_lo
	v_cmp_gt_i32_e32 vcc_lo, v2, v8
	v_cndmask_b32_e64 v8, 0, 1, vcc_lo
	v_cmp_gt_i32_e32 vcc_lo, v2, v9
	;; [unrolled: 2-line block ×3, first 2 shown]
	v_cndmask_b32_e64 v10, 0, 1, vcc_lo
	s_waitcnt lgkmcnt(2)
	v_cmp_gt_i32_e32 vcc_lo, v2, v15
	v_cndmask_b32_e64 v15, 0, 1, vcc_lo
	v_cmp_gt_i32_e32 vcc_lo, v2, v16
	v_cndmask_b32_e64 v16, 0, 1, vcc_lo
	v_add_co_u32 v3, vcc_lo, v0, v3
	v_add_co_ci_u32_e32 v23, vcc_lo, 0, v1, vcc_lo
	s_delay_alu instid0(VALU_DEP_2) | instskip(NEXT) | instid1(VALU_DEP_2)
	v_add_co_u32 v3, vcc_lo, v3, v4
	v_add_co_ci_u32_e32 v4, vcc_lo, 0, v23, vcc_lo
	s_delay_alu instid0(VALU_DEP_2) | instskip(NEXT) | instid1(VALU_DEP_2)
	v_add_co_u32 v3, vcc_lo, v3, v5
	v_add_co_ci_u32_e32 v4, vcc_lo, 0, v4, vcc_lo
	v_lshlrev_b32_e32 v5, 2, v7
	s_delay_alu instid0(VALU_DEP_3) | instskip(NEXT) | instid1(VALU_DEP_3)
	v_add_co_u32 v3, vcc_lo, v3, v6
	v_add_co_ci_u32_e32 v4, vcc_lo, 0, v4, vcc_lo
	v_lshlrev_b32_e32 v6, 2, v8
	s_delay_alu instid0(VALU_DEP_3) | instskip(NEXT) | instid1(VALU_DEP_3)
	;; [unrolled: 4-line block ×5, first 2 shown]
	v_add_co_u32 v3, vcc_lo, v3, v6
	v_add_co_ci_u32_e32 v4, vcc_lo, 0, v4, vcc_lo
	v_cmp_gt_i32_e32 vcc_lo, v2, v17
	v_cndmask_b32_e64 v6, 0, 1, vcc_lo
	s_delay_alu instid0(VALU_DEP_4) | instskip(NEXT) | instid1(VALU_DEP_4)
	v_add_co_u32 v3, vcc_lo, v3, v5
	v_add_co_ci_u32_e32 v4, vcc_lo, 0, v4, vcc_lo
	v_lshlrev_b32_e32 v5, 2, v16
	v_cmp_gt_i32_e32 vcc_lo, v2, v18
	v_lshlrev_b32_e32 v6, 2, v6
	v_cndmask_b32_e64 v7, 0, 1, vcc_lo
	s_delay_alu instid0(VALU_DEP_4) | instskip(SKIP_1) | instid1(VALU_DEP_3)
	v_add_co_u32 v3, vcc_lo, v3, v5
	v_add_co_ci_u32_e32 v4, vcc_lo, 0, v4, vcc_lo
	v_lshlrev_b32_e32 v5, 2, v7
	s_delay_alu instid0(VALU_DEP_3) | instskip(NEXT) | instid1(VALU_DEP_3)
	v_add_co_u32 v3, vcc_lo, v3, v6
	v_add_co_ci_u32_e32 v4, vcc_lo, 0, v4, vcc_lo
	s_waitcnt lgkmcnt(1)
	v_cmp_gt_i32_e32 vcc_lo, v2, v19
	v_cndmask_b32_e64 v6, 0, 1, vcc_lo
	v_add_co_u32 v3, vcc_lo, v3, v5
	v_add_co_ci_u32_e32 v4, vcc_lo, 0, v4, vcc_lo
	v_cmp_gt_i32_e32 vcc_lo, v2, v20
	s_delay_alu instid0(VALU_DEP_4) | instskip(SKIP_3) | instid1(VALU_DEP_4)
	v_lshlrev_b32_e32 v5, 2, v6
	v_cndmask_b32_e64 v6, 0, 1, vcc_lo
	v_cmp_gt_i32_e32 vcc_lo, v2, v21
	v_cndmask_b32_e64 v7, 0, 1, vcc_lo
	v_add_co_u32 v3, vcc_lo, v3, v5
	v_add_co_ci_u32_e32 v4, vcc_lo, 0, v4, vcc_lo
	v_lshlrev_b32_e32 v5, 2, v6
	v_cmp_gt_i32_e32 vcc_lo, v2, v22
	v_lshlrev_b32_e32 v6, 2, v7
	v_cndmask_b32_e64 v2, 0, 1, vcc_lo
	s_delay_alu instid0(VALU_DEP_4) | instskip(SKIP_1) | instid1(VALU_DEP_3)
	v_add_co_u32 v3, vcc_lo, v3, v5
	v_add_co_ci_u32_e32 v4, vcc_lo, 0, v4, vcc_lo
	v_lshlrev_b32_e32 v2, 2, v2
	s_delay_alu instid0(VALU_DEP_3) | instskip(NEXT) | instid1(VALU_DEP_3)
	v_add_co_u32 v3, vcc_lo, v3, v6
	v_add_co_ci_u32_e32 v4, vcc_lo, 0, v4, vcc_lo
	s_delay_alu instid0(VALU_DEP_2) | instskip(NEXT) | instid1(VALU_DEP_2)
	v_add_co_u32 v2, vcc_lo, v3, v2
	v_add_co_ci_u32_e32 v3, vcc_lo, 0, v4, vcc_lo
	s_waitcnt lgkmcnt(0)
	global_store_b32 v[2:3], v11, off
	s_branch .LBB160_35
.LBB160_38:                             ;   in Loop: Header=BB160_39 Depth=1
	s_or_b32 exec_lo, exec_lo, s5
	v_add_co_u32 v2, vcc_lo, v2, 8
	v_add_co_ci_u32_e32 v3, vcc_lo, 0, v3, vcc_lo
	s_delay_alu instid0(VALU_DEP_1) | instskip(SKIP_1) | instid1(SALU_CYCLE_1)
	v_cmp_ge_i64_e32 vcc_lo, v[2:3], v[0:1]
	s_or_b32 s4, vcc_lo, s4
	s_and_not1_b32 exec_lo, exec_lo, s4
	s_cbranch_execz .LBB160_33
.LBB160_39:                             ; =>This Loop Header: Depth=1
                                        ;     Child Loop BB160_41 Depth 2
	v_lshlrev_b64 v[6:7], 2, v[2:3]
	s_mov_b32 s5, 0
	s_delay_alu instid0(VALU_DEP_1) | instskip(NEXT) | instid1(VALU_DEP_2)
	v_add_co_u32 v8, vcc_lo, s6, v6
	v_add_co_ci_u32_e32 v9, vcc_lo, s7, v7, vcc_lo
	v_add_co_u32 v6, vcc_lo, s8, v6
	v_add_co_ci_u32_e32 v7, vcc_lo, s9, v7, vcc_lo
	global_load_b32 v8, v[8:9], off
	global_load_b32 v7, v[6:7], off
	s_waitcnt vmcnt(1)
	v_subrev_nc_u32_e32 v6, s27, v8
	s_delay_alu instid0(VALU_DEP_1) | instskip(SKIP_1) | instid1(VALU_DEP_1)
	v_lshl_add_u32 v8, v6, 3, v6
	s_waitcnt vmcnt(0)
	v_dual_mul_f32 v7, v15, v7 :: v_dual_and_b32 v8, 15, v8
	s_branch .LBB160_41
.LBB160_40:                             ;   in Loop: Header=BB160_41 Depth=2
	s_or_b32 exec_lo, exec_lo, s12
	s_xor_b32 s12, s13, -1
	s_delay_alu instid0(SALU_CYCLE_1) | instskip(NEXT) | instid1(SALU_CYCLE_1)
	s_and_b32 s12, exec_lo, s12
	s_or_b32 s5, s12, s5
	s_delay_alu instid0(SALU_CYCLE_1)
	s_and_not1_b32 exec_lo, exec_lo, s5
	s_cbranch_execz .LBB160_38
.LBB160_41:                             ;   Parent Loop BB160_39 Depth=1
                                        ; =>  This Inner Loop Header: Depth=2
	s_delay_alu instid0(VALU_DEP_1)
	v_lshl_add_u32 v9, v8, 2, v14
	s_mov_b32 s12, exec_lo
                                        ; implicit-def: $sgpr13
	ds_load_b32 v10, v9
	s_waitcnt lgkmcnt(0)
	v_cmpx_ne_u32_e64 v10, v6
	s_xor_b32 s12, exec_lo, s12
	s_cbranch_execz .LBB160_49
; %bb.42:                               ;   in Loop: Header=BB160_41 Depth=2
	s_mov_b32 s14, exec_lo
                                        ; implicit-def: $sgpr13
	v_cmpx_ne_u32_e64 s1, v10
	s_xor_b32 s14, exec_lo, s14
; %bb.43:                               ;   in Loop: Header=BB160_41 Depth=2
	v_add_nc_u32_e32 v8, 1, v8
	s_mov_b32 s13, -1
                                        ; implicit-def: $vgpr9
	s_delay_alu instid0(VALU_DEP_1)
	v_and_b32_e32 v8, 15, v8
; %bb.44:                               ;   in Loop: Header=BB160_41 Depth=2
	s_and_not1_saveexec_b32 s14, s14
	s_cbranch_execz .LBB160_48
; %bb.45:                               ;   in Loop: Header=BB160_41 Depth=2
	v_mov_b32_e32 v10, s1
	s_mov_b32 s15, -1
	s_mov_b32 s16, exec_lo
	ds_cmpstore_rtn_b32 v9, v9, v6, v10
	s_waitcnt lgkmcnt(0)
	v_cmpx_eq_u32_e64 s1, v9
	s_cbranch_execz .LBB160_47
; %bb.46:                               ;   in Loop: Header=BB160_41 Depth=2
	v_lshl_add_u32 v9, v8, 2, v16
	s_xor_b32 s15, exec_lo, -1
	ds_add_f32 v9, v7
.LBB160_47:                             ;   in Loop: Header=BB160_41 Depth=2
	s_or_b32 exec_lo, exec_lo, s16
	s_delay_alu instid0(SALU_CYCLE_1) | instskip(SKIP_1) | instid1(SALU_CYCLE_1)
	s_and_not1_b32 s13, s13, exec_lo
	s_and_b32 s15, s15, exec_lo
	s_or_b32 s13, s13, s15
.LBB160_48:                             ;   in Loop: Header=BB160_41 Depth=2
	s_or_b32 exec_lo, exec_lo, s14
	s_delay_alu instid0(SALU_CYCLE_1)
	s_and_b32 s13, s13, exec_lo
.LBB160_49:                             ;   in Loop: Header=BB160_41 Depth=2
	s_and_not1_saveexec_b32 s12, s12
	s_cbranch_execz .LBB160_40
; %bb.50:                               ;   in Loop: Header=BB160_41 Depth=2
	v_lshl_add_u32 v9, v8, 2, v16
	s_and_not1_b32 s13, s13, exec_lo
	ds_add_f32 v9, v7
	s_branch .LBB160_40
.LBB160_51:
	s_nop 0
	s_sendmsg sendmsg(MSG_DEALLOC_VGPRS)
	s_endpgm
	.section	.rodata,"a",@progbits
	.p2align	6, 0x0
	.amdhsa_kernel _ZN9rocsparseL38csrgemm_numeric_fill_wf_per_row_kernelILj256ELj8ELj16ELj137ElifEEvT4_S1_PKS1_S3_NS_24const_host_device_scalarIT5_EEPKT3_S3_PKS5_S9_S3_SB_S6_S9_S3_SB_S9_S3_PS5_21rocsparse_index_base_SD_SD_SD_bbb
		.amdhsa_group_segment_fixed_size 4096
		.amdhsa_private_segment_fixed_size 0
		.amdhsa_kernarg_size 156
		.amdhsa_user_sgpr_count 15
		.amdhsa_user_sgpr_dispatch_ptr 0
		.amdhsa_user_sgpr_queue_ptr 0
		.amdhsa_user_sgpr_kernarg_segment_ptr 1
		.amdhsa_user_sgpr_dispatch_id 0
		.amdhsa_user_sgpr_private_segment_size 0
		.amdhsa_wavefront_size32 1
		.amdhsa_uses_dynamic_stack 0
		.amdhsa_enable_private_segment 0
		.amdhsa_system_sgpr_workgroup_id_x 1
		.amdhsa_system_sgpr_workgroup_id_y 0
		.amdhsa_system_sgpr_workgroup_id_z 0
		.amdhsa_system_sgpr_workgroup_info 0
		.amdhsa_system_vgpr_workitem_id 0
		.amdhsa_next_free_vgpr 24
		.amdhsa_next_free_sgpr 40
		.amdhsa_reserve_vcc 1
		.amdhsa_float_round_mode_32 0
		.amdhsa_float_round_mode_16_64 0
		.amdhsa_float_denorm_mode_32 3
		.amdhsa_float_denorm_mode_16_64 3
		.amdhsa_dx10_clamp 1
		.amdhsa_ieee_mode 1
		.amdhsa_fp16_overflow 0
		.amdhsa_workgroup_processor_mode 1
		.amdhsa_memory_ordered 1
		.amdhsa_forward_progress 0
		.amdhsa_shared_vgpr_count 0
		.amdhsa_exception_fp_ieee_invalid_op 0
		.amdhsa_exception_fp_denorm_src 0
		.amdhsa_exception_fp_ieee_div_zero 0
		.amdhsa_exception_fp_ieee_overflow 0
		.amdhsa_exception_fp_ieee_underflow 0
		.amdhsa_exception_fp_ieee_inexact 0
		.amdhsa_exception_int_div_zero 0
	.end_amdhsa_kernel
	.section	.text._ZN9rocsparseL38csrgemm_numeric_fill_wf_per_row_kernelILj256ELj8ELj16ELj137ElifEEvT4_S1_PKS1_S3_NS_24const_host_device_scalarIT5_EEPKT3_S3_PKS5_S9_S3_SB_S6_S9_S3_SB_S9_S3_PS5_21rocsparse_index_base_SD_SD_SD_bbb,"axG",@progbits,_ZN9rocsparseL38csrgemm_numeric_fill_wf_per_row_kernelILj256ELj8ELj16ELj137ElifEEvT4_S1_PKS1_S3_NS_24const_host_device_scalarIT5_EEPKT3_S3_PKS5_S9_S3_SB_S6_S9_S3_SB_S9_S3_PS5_21rocsparse_index_base_SD_SD_SD_bbb,comdat
.Lfunc_end160:
	.size	_ZN9rocsparseL38csrgemm_numeric_fill_wf_per_row_kernelILj256ELj8ELj16ELj137ElifEEvT4_S1_PKS1_S3_NS_24const_host_device_scalarIT5_EEPKT3_S3_PKS5_S9_S3_SB_S6_S9_S3_SB_S9_S3_PS5_21rocsparse_index_base_SD_SD_SD_bbb, .Lfunc_end160-_ZN9rocsparseL38csrgemm_numeric_fill_wf_per_row_kernelILj256ELj8ELj16ELj137ElifEEvT4_S1_PKS1_S3_NS_24const_host_device_scalarIT5_EEPKT3_S3_PKS5_S9_S3_SB_S6_S9_S3_SB_S9_S3_PS5_21rocsparse_index_base_SD_SD_SD_bbb
                                        ; -- End function
	.section	.AMDGPU.csdata,"",@progbits
; Kernel info:
; codeLenInByte = 2368
; NumSgprs: 42
; NumVgprs: 24
; ScratchSize: 0
; MemoryBound: 0
; FloatMode: 240
; IeeeMode: 1
; LDSByteSize: 4096 bytes/workgroup (compile time only)
; SGPRBlocks: 5
; VGPRBlocks: 2
; NumSGPRsForWavesPerEU: 42
; NumVGPRsForWavesPerEU: 24
; Occupancy: 16
; WaveLimiterHint : 1
; COMPUTE_PGM_RSRC2:SCRATCH_EN: 0
; COMPUTE_PGM_RSRC2:USER_SGPR: 15
; COMPUTE_PGM_RSRC2:TRAP_HANDLER: 0
; COMPUTE_PGM_RSRC2:TGID_X_EN: 1
; COMPUTE_PGM_RSRC2:TGID_Y_EN: 0
; COMPUTE_PGM_RSRC2:TGID_Z_EN: 0
; COMPUTE_PGM_RSRC2:TIDIG_COMP_CNT: 0
	.section	.text._ZN9rocsparseL38csrgemm_numeric_fill_wf_per_row_kernelILj256ELj16ELj32ELj137ElifEEvT4_S1_PKS1_S3_NS_24const_host_device_scalarIT5_EEPKT3_S3_PKS5_S9_S3_SB_S6_S9_S3_SB_S9_S3_PS5_21rocsparse_index_base_SD_SD_SD_bbb,"axG",@progbits,_ZN9rocsparseL38csrgemm_numeric_fill_wf_per_row_kernelILj256ELj16ELj32ELj137ElifEEvT4_S1_PKS1_S3_NS_24const_host_device_scalarIT5_EEPKT3_S3_PKS5_S9_S3_SB_S6_S9_S3_SB_S9_S3_PS5_21rocsparse_index_base_SD_SD_SD_bbb,comdat
	.globl	_ZN9rocsparseL38csrgemm_numeric_fill_wf_per_row_kernelILj256ELj16ELj32ELj137ElifEEvT4_S1_PKS1_S3_NS_24const_host_device_scalarIT5_EEPKT3_S3_PKS5_S9_S3_SB_S6_S9_S3_SB_S9_S3_PS5_21rocsparse_index_base_SD_SD_SD_bbb ; -- Begin function _ZN9rocsparseL38csrgemm_numeric_fill_wf_per_row_kernelILj256ELj16ELj32ELj137ElifEEvT4_S1_PKS1_S3_NS_24const_host_device_scalarIT5_EEPKT3_S3_PKS5_S9_S3_SB_S6_S9_S3_SB_S9_S3_PS5_21rocsparse_index_base_SD_SD_SD_bbb
	.p2align	8
	.type	_ZN9rocsparseL38csrgemm_numeric_fill_wf_per_row_kernelILj256ELj16ELj32ELj137ElifEEvT4_S1_PKS1_S3_NS_24const_host_device_scalarIT5_EEPKT3_S3_PKS5_S9_S3_SB_S6_S9_S3_SB_S9_S3_PS5_21rocsparse_index_base_SD_SD_SD_bbb,@function
_ZN9rocsparseL38csrgemm_numeric_fill_wf_per_row_kernelILj256ELj16ELj32ELj137ElifEEvT4_S1_PKS1_S3_NS_24const_host_device_scalarIT5_EEPKT3_S3_PKS5_S9_S3_SB_S6_S9_S3_SB_S9_S3_PS5_21rocsparse_index_base_SD_SD_SD_bbb: ; @_ZN9rocsparseL38csrgemm_numeric_fill_wf_per_row_kernelILj256ELj16ELj32ELj137ElifEEvT4_S1_PKS1_S3_NS_24const_host_device_scalarIT5_EEPKT3_S3_PKS5_S9_S3_SB_S6_S9_S3_SB_S9_S3_PS5_21rocsparse_index_base_SD_SD_SD_bbb
; %bb.0:
	s_clause 0x3
	s_load_b32 s14, s[0:1], 0x98
	s_load_b128 s[24:27], s[0:1], 0x88
	s_load_b64 s[2:3], s[0:1], 0x18
	s_load_b64 s[12:13], s[0:1], 0x50
	s_waitcnt lgkmcnt(0)
	s_bitcmp1_b32 s14, 0
	s_cselect_b32 s33, -1, 0
	s_bitcmp1_b32 s14, 16
	s_cselect_b32 s34, -1, 0
	s_xor_b32 s4, s33, -1
	s_delay_alu instid0(SALU_CYCLE_1) | instskip(NEXT) | instid1(SALU_CYCLE_1)
	s_or_b32 s4, s4, s34
	s_and_b32 vcc_lo, exec_lo, s4
	s_cbranch_vccnz .LBB161_2
; %bb.1:
	s_load_b32 s2, s[2:3], 0x0
	s_waitcnt lgkmcnt(0)
	v_mov_b32_e32 v17, s2
	s_branch .LBB161_3
.LBB161_2:
	v_cndmask_b32_e64 v17, 0, s2, s33
.LBB161_3:
	s_clause 0x4
	s_load_b64 s[2:3], s[0:1], 0x80
	s_load_b256 s[4:11], s[0:1], 0x58
	s_load_b128 s[28:31], s[0:1], 0x40
	s_load_b128 s[36:39], s[0:1], 0x8
	s_load_b256 s[16:23], s[0:1], 0x20
	s_bitcmp1_b32 s14, 8
	s_cselect_b32 s14, -1, 0
	s_delay_alu instid0(SALU_CYCLE_1) | instskip(NEXT) | instid1(SALU_CYCLE_1)
	s_xor_b32 s35, s14, -1
	s_or_b32 s34, s35, s34
	s_delay_alu instid0(SALU_CYCLE_1)
	s_and_b32 vcc_lo, exec_lo, s34
	s_cbranch_vccnz .LBB161_5
; %bb.4:
	s_load_b32 s12, s[12:13], 0x0
	s_waitcnt lgkmcnt(0)
	v_mov_b32_e32 v15, s12
	s_branch .LBB161_6
.LBB161_5:
	v_cndmask_b32_e64 v15, 0, s12, s14
.LBB161_6:
	s_load_b64 s[0:1], s[0:1], 0x0
	v_and_b32_e32 v18, 15, v0
	v_lshrrev_b32_e32 v2, 4, v0
	s_mov_b32 s12, 0
	s_waitcnt lgkmcnt(0)
	s_delay_alu instid0(VALU_DEP_2) | instskip(NEXT) | instid1(VALU_DEP_1)
	v_dual_mov_b32 v3, s1 :: v_dual_lshlrev_b32 v0, 2, v18
	v_lshl_or_b32 v12, v2, 7, v0
	s_delay_alu instid0(VALU_DEP_1) | instskip(SKIP_1) | instid1(VALU_DEP_1)
	v_dual_mov_b32 v0, 0 :: v_dual_mov_b32 v1, v12
	v_or_b32_e32 v13, -16, v18
	v_mov_b32_e32 v4, v13
.LBB161_7:                              ; =>This Inner Loop Header: Depth=1
	s_delay_alu instid0(VALU_DEP_1) | instskip(NEXT) | instid1(VALU_DEP_1)
	v_add_co_u32 v4, s13, v4, 16
	s_xor_b32 s13, s13, -1
	ds_store_2addr_stride64_b32 v1, v0, v3 offset1:8
	v_add_nc_u32_e32 v1, 64, v1
	s_and_b32 s13, exec_lo, s13
	s_delay_alu instid0(SALU_CYCLE_1) | instskip(NEXT) | instid1(SALU_CYCLE_1)
	s_or_b32 s12, s13, s12
	s_and_not1_b32 exec_lo, exec_lo, s12
	s_cbranch_execnz .LBB161_7
; %bb.8:
	s_or_b32 exec_lo, exec_lo, s12
	s_lshl_b32 s12, s15, 4
	s_waitcnt lgkmcnt(0)
	buffer_gl0_inv
	v_and_or_b32 v0, 0xffffff0, s12, v2
	s_delay_alu instid0(VALU_DEP_1)
	v_cmp_gt_i32_e32 vcc_lo, s0, v0
	s_and_saveexec_b32 s0, vcc_lo
	s_cbranch_execz .LBB161_51
; %bb.9:
	s_cmp_eq_u64 s[38:39], 0
	s_cbranch_scc1 .LBB161_11
; %bb.10:
	s_load_b32 s0, s[36:37], 0x0
	s_waitcnt lgkmcnt(0)
	v_add_nc_u32_e32 v0, s0, v0
	s_delay_alu instid0(VALU_DEP_1) | instskip(NEXT) | instid1(VALU_DEP_1)
	v_ashrrev_i32_e32 v1, 31, v0
	v_lshlrev_b64 v[0:1], 2, v[0:1]
	s_delay_alu instid0(VALU_DEP_1) | instskip(NEXT) | instid1(VALU_DEP_2)
	v_add_co_u32 v0, vcc_lo, s38, v0
	v_add_co_ci_u32_e32 v1, vcc_lo, s39, v1, vcc_lo
	global_load_b32 v0, v[0:1], off
.LBB161_11:
	s_waitcnt vmcnt(0)
	v_ashrrev_i32_e32 v1, 31, v0
	v_lshlrev_b32_e32 v16, 7, v2
	s_and_not1_b32 vcc_lo, exec_lo, s33
	s_delay_alu instid0(VALU_DEP_2) | instskip(NEXT) | instid1(VALU_DEP_2)
	v_lshlrev_b64 v[4:5], 3, v[0:1]
	v_or_b32_e32 v14, 0x800, v16
	s_cbranch_vccnz .LBB161_31
; %bb.12:
	s_delay_alu instid0(VALU_DEP_2) | instskip(NEXT) | instid1(VALU_DEP_3)
	v_add_co_u32 v0, vcc_lo, s16, v4
	v_add_co_ci_u32_e32 v1, vcc_lo, s17, v5, vcc_lo
	v_sub_co_u32 v8, s0, v18, s24
	s_delay_alu instid0(VALU_DEP_1)
	v_sub_co_ci_u32_e64 v9, null, 0, 0, s0
	global_load_b128 v[0:3], v[0:1], off
	s_mov_b32 s12, 0
	s_mov_b32 s0, exec_lo
	s_waitcnt vmcnt(0)
	v_sub_co_u32 v6, vcc_lo, v2, s24
	v_subrev_co_ci_u32_e32 v7, vcc_lo, 0, v3, vcc_lo
	v_add_co_u32 v8, vcc_lo, v0, v8
	v_add_co_ci_u32_e32 v9, vcc_lo, v1, v9, vcc_lo
	s_delay_alu instid0(VALU_DEP_1)
	v_cmpx_lt_i64_e64 v[8:9], v[6:7]
	s_cbranch_execz .LBB161_30
; %bb.13:
	s_mov_b32 s13, s25
	s_branch .LBB161_15
.LBB161_14:                             ;   in Loop: Header=BB161_15 Depth=1
	s_or_b32 exec_lo, exec_lo, s15
	v_add_co_u32 v8, vcc_lo, v8, 16
	v_add_co_ci_u32_e32 v9, vcc_lo, 0, v9, vcc_lo
	s_delay_alu instid0(VALU_DEP_1) | instskip(SKIP_1) | instid1(SALU_CYCLE_1)
	v_cmp_ge_i64_e32 vcc_lo, v[8:9], v[6:7]
	s_or_b32 s12, vcc_lo, s12
	s_and_not1_b32 exec_lo, exec_lo, s12
	s_cbranch_execz .LBB161_30
.LBB161_15:                             ; =>This Loop Header: Depth=1
                                        ;     Child Loop BB161_18 Depth 2
                                        ;       Child Loop BB161_20 Depth 3
	v_lshlrev_b64 v[10:11], 2, v[8:9]
	s_mov_b32 s15, exec_lo
	s_delay_alu instid0(VALU_DEP_1) | instskip(NEXT) | instid1(VALU_DEP_2)
	v_add_co_u32 v0, vcc_lo, s18, v10
	v_add_co_ci_u32_e32 v1, vcc_lo, s19, v11, vcc_lo
	global_load_b32 v0, v[0:1], off
	s_waitcnt vmcnt(0)
	v_subrev_nc_u32_e32 v0, s24, v0
	s_delay_alu instid0(VALU_DEP_1) | instskip(NEXT) | instid1(VALU_DEP_1)
	v_ashrrev_i32_e32 v1, 31, v0
	v_lshlrev_b64 v[0:1], 3, v[0:1]
	s_delay_alu instid0(VALU_DEP_1) | instskip(NEXT) | instid1(VALU_DEP_2)
	v_add_co_u32 v0, vcc_lo, s22, v0
	v_add_co_ci_u32_e32 v1, vcc_lo, s23, v1, vcc_lo
	global_load_b128 v[0:3], v[0:1], off
	s_waitcnt vmcnt(0)
	v_cmpx_lt_i64_e64 v[0:1], v[2:3]
	s_cbranch_execz .LBB161_14
; %bb.16:                               ;   in Loop: Header=BB161_15 Depth=1
	v_add_co_u32 v10, vcc_lo, s20, v10
	v_add_co_ci_u32_e32 v11, vcc_lo, s21, v11, vcc_lo
	v_sub_co_u32 v2, vcc_lo, v2, s13
	v_subrev_co_ci_u32_e32 v3, vcc_lo, 0, v3, vcc_lo
	global_load_b32 v10, v[10:11], off
	v_sub_co_u32 v0, vcc_lo, v0, s13
	v_subrev_co_ci_u32_e32 v1, vcc_lo, 0, v1, vcc_lo
	s_mov_b32 s16, 0
	s_waitcnt vmcnt(0)
	v_mul_f32_e32 v10, v17, v10
	s_branch .LBB161_18
.LBB161_17:                             ;   in Loop: Header=BB161_18 Depth=2
	s_or_b32 exec_lo, exec_lo, s17
	v_add_co_u32 v0, vcc_lo, v0, 1
	v_add_co_ci_u32_e32 v1, vcc_lo, 0, v1, vcc_lo
	s_delay_alu instid0(VALU_DEP_1) | instskip(SKIP_1) | instid1(SALU_CYCLE_1)
	v_cmp_ge_i64_e32 vcc_lo, v[0:1], v[2:3]
	s_or_b32 s16, vcc_lo, s16
	s_and_not1_b32 exec_lo, exec_lo, s16
	s_cbranch_execz .LBB161_14
.LBB161_18:                             ;   Parent Loop BB161_15 Depth=1
                                        ; =>  This Loop Header: Depth=2
                                        ;       Child Loop BB161_20 Depth 3
	v_lshlrev_b64 v[19:20], 2, v[0:1]
	s_mov_b32 s17, 0
	s_delay_alu instid0(VALU_DEP_1) | instskip(NEXT) | instid1(VALU_DEP_2)
	v_add_co_u32 v21, vcc_lo, s28, v19
	v_add_co_ci_u32_e32 v22, vcc_lo, s29, v20, vcc_lo
	v_add_co_u32 v19, vcc_lo, s30, v19
	v_add_co_ci_u32_e32 v20, vcc_lo, s31, v20, vcc_lo
	global_load_b32 v11, v[21:22], off
	global_load_b32 v19, v[19:20], off
	s_waitcnt vmcnt(1)
	v_subrev_nc_u32_e32 v11, s25, v11
	s_delay_alu instid0(VALU_DEP_1) | instskip(SKIP_1) | instid1(VALU_DEP_1)
	v_lshl_add_u32 v20, v11, 3, v11
	s_waitcnt vmcnt(0)
	v_dual_mul_f32 v19, v10, v19 :: v_dual_and_b32 v20, 31, v20
	s_branch .LBB161_20
.LBB161_19:                             ;   in Loop: Header=BB161_20 Depth=3
	s_or_b32 exec_lo, exec_lo, s33
	s_xor_b32 s33, s34, -1
	s_delay_alu instid0(SALU_CYCLE_1) | instskip(NEXT) | instid1(SALU_CYCLE_1)
	s_and_b32 s33, exec_lo, s33
	s_or_b32 s17, s33, s17
	s_delay_alu instid0(SALU_CYCLE_1)
	s_and_not1_b32 exec_lo, exec_lo, s17
	s_cbranch_execz .LBB161_17
.LBB161_20:                             ;   Parent Loop BB161_15 Depth=1
                                        ;     Parent Loop BB161_18 Depth=2
                                        ; =>    This Inner Loop Header: Depth=3
	s_delay_alu instid0(VALU_DEP_1)
	v_lshl_add_u32 v21, v20, 2, v14
	s_mov_b32 s33, exec_lo
                                        ; implicit-def: $sgpr34
	ds_load_b32 v22, v21
	s_waitcnt lgkmcnt(0)
	v_cmpx_ne_u32_e64 v22, v11
	s_xor_b32 s33, exec_lo, s33
	s_cbranch_execz .LBB161_28
; %bb.21:                               ;   in Loop: Header=BB161_20 Depth=3
	s_mov_b32 s35, exec_lo
                                        ; implicit-def: $sgpr34
	v_cmpx_ne_u32_e64 s1, v22
	s_xor_b32 s35, exec_lo, s35
; %bb.22:                               ;   in Loop: Header=BB161_20 Depth=3
	v_add_nc_u32_e32 v20, 1, v20
	s_mov_b32 s34, -1
                                        ; implicit-def: $vgpr21
	s_delay_alu instid0(VALU_DEP_1)
	v_and_b32_e32 v20, 31, v20
; %bb.23:                               ;   in Loop: Header=BB161_20 Depth=3
	s_and_not1_saveexec_b32 s35, s35
	s_cbranch_execz .LBB161_27
; %bb.24:                               ;   in Loop: Header=BB161_20 Depth=3
	v_mov_b32_e32 v22, s1
	s_mov_b32 s36, -1
	s_mov_b32 s37, exec_lo
	ds_cmpstore_rtn_b32 v21, v21, v11, v22
	s_waitcnt lgkmcnt(0)
	v_cmpx_eq_u32_e64 s1, v21
	s_cbranch_execz .LBB161_26
; %bb.25:                               ;   in Loop: Header=BB161_20 Depth=3
	v_lshl_add_u32 v21, v20, 2, v16
	s_xor_b32 s36, exec_lo, -1
	ds_add_f32 v21, v19
.LBB161_26:                             ;   in Loop: Header=BB161_20 Depth=3
	s_or_b32 exec_lo, exec_lo, s37
	s_delay_alu instid0(SALU_CYCLE_1) | instskip(SKIP_1) | instid1(SALU_CYCLE_1)
	s_and_not1_b32 s34, s34, exec_lo
	s_and_b32 s36, s36, exec_lo
	s_or_b32 s34, s34, s36
.LBB161_27:                             ;   in Loop: Header=BB161_20 Depth=3
	s_or_b32 exec_lo, exec_lo, s35
	s_delay_alu instid0(SALU_CYCLE_1)
	s_and_b32 s34, s34, exec_lo
.LBB161_28:                             ;   in Loop: Header=BB161_20 Depth=3
	s_and_not1_saveexec_b32 s33, s33
	s_cbranch_execz .LBB161_19
; %bb.29:                               ;   in Loop: Header=BB161_20 Depth=3
	v_lshl_add_u32 v21, v20, 2, v16
	s_and_not1_b32 s34, s34, exec_lo
	ds_add_f32 v21, v19
	s_branch .LBB161_19
.LBB161_30:
	s_or_b32 exec_lo, exec_lo, s0
.LBB161_31:
	s_delay_alu instid0(SALU_CYCLE_1)
	s_and_not1_b32 vcc_lo, exec_lo, s14
	s_cbranch_vccnz .LBB161_34
; %bb.32:
	s_delay_alu instid0(VALU_DEP_2) | instskip(SKIP_2) | instid1(VALU_DEP_1)
	v_add_co_u32 v0, vcc_lo, s4, v4
	v_add_co_ci_u32_e32 v1, vcc_lo, s5, v5, vcc_lo
	v_sub_co_u32 v2, s0, v18, s27
	v_sub_co_ci_u32_e64 v3, null, 0, 0, s0
	global_load_b128 v[6:9], v[0:1], off
	s_mov_b32 s4, 0
	s_mov_b32 s0, exec_lo
	s_waitcnt vmcnt(0)
	v_sub_co_u32 v0, vcc_lo, v8, s27
	v_subrev_co_ci_u32_e32 v1, vcc_lo, 0, v9, vcc_lo
	v_add_co_u32 v2, vcc_lo, v6, v2
	v_add_co_ci_u32_e32 v3, vcc_lo, v7, v3, vcc_lo
	s_delay_alu instid0(VALU_DEP_1)
	v_cmpx_lt_i64_e64 v[2:3], v[0:1]
	s_cbranch_execnz .LBB161_39
.LBB161_33:
	s_or_b32 exec_lo, exec_lo, s0
.LBB161_34:
	s_delay_alu instid0(VALU_DEP_2)
	v_add_co_u32 v0, vcc_lo, s10, v4
	v_add_co_ci_u32_e32 v1, vcc_lo, s11, v5, vcc_lo
	s_waitcnt lgkmcnt(0)
	buffer_gl0_inv
	s_mov_b32 s0, 0
	global_load_b64 v[0:1], v[0:1], off
	s_waitcnt vmcnt(0)
	v_sub_co_u32 v0, vcc_lo, v0, s26
	v_subrev_co_ci_u32_e32 v1, vcc_lo, 0, v1, vcc_lo
	s_delay_alu instid0(VALU_DEP_1) | instskip(NEXT) | instid1(VALU_DEP_1)
	v_lshlrev_b64 v[0:1], 2, v[0:1]
	v_add_co_u32 v0, vcc_lo, s2, v0
	s_delay_alu instid0(VALU_DEP_2)
	v_add_co_ci_u32_e32 v1, vcc_lo, s3, v1, vcc_lo
	s_branch .LBB161_36
.LBB161_35:                             ;   in Loop: Header=BB161_36 Depth=1
	s_or_b32 exec_lo, exec_lo, s2
	v_add_co_u32 v13, s2, v13, 16
	s_delay_alu instid0(VALU_DEP_1) | instskip(SKIP_2) | instid1(SALU_CYCLE_1)
	s_xor_b32 s2, s2, -1
	v_add_nc_u32_e32 v12, 64, v12
	s_and_b32 s2, exec_lo, s2
	s_or_b32 s0, s2, s0
	s_delay_alu instid0(SALU_CYCLE_1)
	s_and_not1_b32 exec_lo, exec_lo, s0
	s_cbranch_execz .LBB161_51
.LBB161_36:                             ; =>This Inner Loop Header: Depth=1
	ds_load_b32 v2, v12 offset:2048
	s_mov_b32 s2, exec_lo
	s_waitcnt lgkmcnt(0)
	v_cmpx_gt_i32_e64 s1, v2
	s_cbranch_execz .LBB161_35
; %bb.37:                               ;   in Loop: Header=BB161_36 Depth=1
	ds_load_b128 v[3:6], v14
	ds_load_b128 v[7:10], v14 offset:16
	ds_load_b128 v[15:18], v14 offset:32
	;; [unrolled: 1-line block ×7, first 2 shown]
	ds_load_b32 v11, v12
	s_waitcnt lgkmcnt(8)
	v_cmp_gt_i32_e32 vcc_lo, v2, v3
	v_cndmask_b32_e64 v3, 0, 1, vcc_lo
	v_cmp_gt_i32_e32 vcc_lo, v2, v4
	s_delay_alu instid0(VALU_DEP_2) | instskip(SKIP_2) | instid1(VALU_DEP_2)
	v_lshlrev_b32_e32 v3, 2, v3
	v_cndmask_b32_e64 v4, 0, 1, vcc_lo
	v_cmp_gt_i32_e32 vcc_lo, v2, v5
	v_lshlrev_b32_e32 v4, 2, v4
	v_cndmask_b32_e64 v5, 0, 1, vcc_lo
	v_cmp_gt_i32_e32 vcc_lo, v2, v6
	s_delay_alu instid0(VALU_DEP_2) | instskip(SKIP_3) | instid1(VALU_DEP_2)
	v_lshlrev_b32_e32 v5, 2, v5
	v_cndmask_b32_e64 v6, 0, 1, vcc_lo
	s_waitcnt lgkmcnt(7)
	v_cmp_gt_i32_e32 vcc_lo, v2, v7
	v_lshlrev_b32_e32 v6, 2, v6
	v_cndmask_b32_e64 v7, 0, 1, vcc_lo
	v_cmp_gt_i32_e32 vcc_lo, v2, v8
	v_cndmask_b32_e64 v8, 0, 1, vcc_lo
	v_cmp_gt_i32_e32 vcc_lo, v2, v9
	;; [unrolled: 2-line block ×3, first 2 shown]
	v_cndmask_b32_e64 v10, 0, 1, vcc_lo
	v_add_co_u32 v3, vcc_lo, v0, v3
	v_add_co_ci_u32_e32 v39, vcc_lo, 0, v1, vcc_lo
	s_delay_alu instid0(VALU_DEP_2) | instskip(NEXT) | instid1(VALU_DEP_2)
	v_add_co_u32 v3, vcc_lo, v3, v4
	v_add_co_ci_u32_e32 v4, vcc_lo, 0, v39, vcc_lo
	s_delay_alu instid0(VALU_DEP_2) | instskip(NEXT) | instid1(VALU_DEP_2)
	v_add_co_u32 v3, vcc_lo, v3, v5
	v_add_co_ci_u32_e32 v4, vcc_lo, 0, v4, vcc_lo
	v_lshlrev_b32_e32 v5, 2, v7
	s_delay_alu instid0(VALU_DEP_3) | instskip(NEXT) | instid1(VALU_DEP_3)
	v_add_co_u32 v3, vcc_lo, v3, v6
	v_add_co_ci_u32_e32 v4, vcc_lo, 0, v4, vcc_lo
	v_lshlrev_b32_e32 v6, 2, v8
	s_delay_alu instid0(VALU_DEP_3) | instskip(NEXT) | instid1(VALU_DEP_3)
	;; [unrolled: 4-line block ×4, first 2 shown]
	v_add_co_u32 v3, vcc_lo, v3, v5
	v_add_co_ci_u32_e32 v4, vcc_lo, 0, v4, vcc_lo
	s_waitcnt lgkmcnt(6)
	v_cmp_gt_i32_e32 vcc_lo, v2, v15
	v_cndmask_b32_e64 v5, 0, 1, vcc_lo
	v_add_co_u32 v3, vcc_lo, v3, v6
	v_add_co_ci_u32_e32 v4, vcc_lo, 0, v4, vcc_lo
	v_cmp_gt_i32_e32 vcc_lo, v2, v16
	s_delay_alu instid0(VALU_DEP_4) | instskip(SKIP_3) | instid1(VALU_DEP_4)
	v_lshlrev_b32_e32 v5, 2, v5
	v_cndmask_b32_e64 v6, 0, 1, vcc_lo
	v_cmp_gt_i32_e32 vcc_lo, v2, v17
	v_cndmask_b32_e64 v7, 0, 1, vcc_lo
	v_add_co_u32 v3, vcc_lo, v3, v5
	v_add_co_ci_u32_e32 v4, vcc_lo, 0, v4, vcc_lo
	v_lshlrev_b32_e32 v5, 2, v6
	v_cmp_gt_i32_e32 vcc_lo, v2, v18
	v_lshlrev_b32_e32 v6, 2, v7
	v_cndmask_b32_e64 v7, 0, 1, vcc_lo
	s_delay_alu instid0(VALU_DEP_4) | instskip(SKIP_1) | instid1(VALU_DEP_3)
	v_add_co_u32 v3, vcc_lo, v3, v5
	v_add_co_ci_u32_e32 v4, vcc_lo, 0, v4, vcc_lo
	v_lshlrev_b32_e32 v5, 2, v7
	s_delay_alu instid0(VALU_DEP_3) | instskip(NEXT) | instid1(VALU_DEP_3)
	v_add_co_u32 v3, vcc_lo, v3, v6
	v_add_co_ci_u32_e32 v4, vcc_lo, 0, v4, vcc_lo
	s_waitcnt lgkmcnt(5)
	v_cmp_gt_i32_e32 vcc_lo, v2, v19
	v_cndmask_b32_e64 v6, 0, 1, vcc_lo
	v_add_co_u32 v3, vcc_lo, v3, v5
	v_add_co_ci_u32_e32 v4, vcc_lo, 0, v4, vcc_lo
	v_cmp_gt_i32_e32 vcc_lo, v2, v20
	s_delay_alu instid0(VALU_DEP_4) | instskip(SKIP_3) | instid1(VALU_DEP_4)
	v_lshlrev_b32_e32 v5, 2, v6
	v_cndmask_b32_e64 v6, 0, 1, vcc_lo
	v_cmp_gt_i32_e32 vcc_lo, v2, v21
	v_cndmask_b32_e64 v7, 0, 1, vcc_lo
	v_add_co_u32 v3, vcc_lo, v3, v5
	v_add_co_ci_u32_e32 v4, vcc_lo, 0, v4, vcc_lo
	v_lshlrev_b32_e32 v5, 2, v6
	v_cmp_gt_i32_e32 vcc_lo, v2, v22
	v_lshlrev_b32_e32 v6, 2, v7
	v_cndmask_b32_e64 v7, 0, 1, vcc_lo
	s_delay_alu instid0(VALU_DEP_4) | instskip(SKIP_1) | instid1(VALU_DEP_3)
	v_add_co_u32 v3, vcc_lo, v3, v5
	v_add_co_ci_u32_e32 v4, vcc_lo, 0, v4, vcc_lo
	v_lshlrev_b32_e32 v5, 2, v7
	s_delay_alu instid0(VALU_DEP_3) | instskip(NEXT) | instid1(VALU_DEP_3)
	;; [unrolled: 24-line block ×6, first 2 shown]
	v_add_co_u32 v3, vcc_lo, v3, v6
	v_add_co_ci_u32_e32 v4, vcc_lo, 0, v4, vcc_lo
	s_delay_alu instid0(VALU_DEP_2) | instskip(NEXT) | instid1(VALU_DEP_2)
	v_add_co_u32 v2, vcc_lo, v3, v2
	v_add_co_ci_u32_e32 v3, vcc_lo, 0, v4, vcc_lo
	s_waitcnt lgkmcnt(0)
	global_store_b32 v[2:3], v11, off
	s_branch .LBB161_35
.LBB161_38:                             ;   in Loop: Header=BB161_39 Depth=1
	s_or_b32 exec_lo, exec_lo, s5
	v_add_co_u32 v2, vcc_lo, v2, 16
	v_add_co_ci_u32_e32 v3, vcc_lo, 0, v3, vcc_lo
	s_delay_alu instid0(VALU_DEP_1) | instskip(SKIP_1) | instid1(SALU_CYCLE_1)
	v_cmp_ge_i64_e32 vcc_lo, v[2:3], v[0:1]
	s_or_b32 s4, vcc_lo, s4
	s_and_not1_b32 exec_lo, exec_lo, s4
	s_cbranch_execz .LBB161_33
.LBB161_39:                             ; =>This Loop Header: Depth=1
                                        ;     Child Loop BB161_41 Depth 2
	v_lshlrev_b64 v[6:7], 2, v[2:3]
	s_mov_b32 s5, 0
	s_delay_alu instid0(VALU_DEP_1) | instskip(NEXT) | instid1(VALU_DEP_2)
	v_add_co_u32 v8, vcc_lo, s6, v6
	v_add_co_ci_u32_e32 v9, vcc_lo, s7, v7, vcc_lo
	v_add_co_u32 v6, vcc_lo, s8, v6
	v_add_co_ci_u32_e32 v7, vcc_lo, s9, v7, vcc_lo
	global_load_b32 v8, v[8:9], off
	global_load_b32 v7, v[6:7], off
	s_waitcnt vmcnt(1)
	v_subrev_nc_u32_e32 v6, s27, v8
	s_delay_alu instid0(VALU_DEP_1) | instskip(SKIP_1) | instid1(VALU_DEP_1)
	v_lshl_add_u32 v8, v6, 3, v6
	s_waitcnt vmcnt(0)
	v_dual_mul_f32 v7, v15, v7 :: v_dual_and_b32 v8, 31, v8
	s_branch .LBB161_41
.LBB161_40:                             ;   in Loop: Header=BB161_41 Depth=2
	s_or_b32 exec_lo, exec_lo, s12
	s_xor_b32 s12, s13, -1
	s_delay_alu instid0(SALU_CYCLE_1) | instskip(NEXT) | instid1(SALU_CYCLE_1)
	s_and_b32 s12, exec_lo, s12
	s_or_b32 s5, s12, s5
	s_delay_alu instid0(SALU_CYCLE_1)
	s_and_not1_b32 exec_lo, exec_lo, s5
	s_cbranch_execz .LBB161_38
.LBB161_41:                             ;   Parent Loop BB161_39 Depth=1
                                        ; =>  This Inner Loop Header: Depth=2
	s_delay_alu instid0(VALU_DEP_1)
	v_lshl_add_u32 v9, v8, 2, v14
	s_mov_b32 s12, exec_lo
                                        ; implicit-def: $sgpr13
	ds_load_b32 v10, v9
	s_waitcnt lgkmcnt(0)
	v_cmpx_ne_u32_e64 v10, v6
	s_xor_b32 s12, exec_lo, s12
	s_cbranch_execz .LBB161_49
; %bb.42:                               ;   in Loop: Header=BB161_41 Depth=2
	s_mov_b32 s14, exec_lo
                                        ; implicit-def: $sgpr13
	v_cmpx_ne_u32_e64 s1, v10
	s_xor_b32 s14, exec_lo, s14
; %bb.43:                               ;   in Loop: Header=BB161_41 Depth=2
	v_add_nc_u32_e32 v8, 1, v8
	s_mov_b32 s13, -1
                                        ; implicit-def: $vgpr9
	s_delay_alu instid0(VALU_DEP_1)
	v_and_b32_e32 v8, 31, v8
; %bb.44:                               ;   in Loop: Header=BB161_41 Depth=2
	s_and_not1_saveexec_b32 s14, s14
	s_cbranch_execz .LBB161_48
; %bb.45:                               ;   in Loop: Header=BB161_41 Depth=2
	v_mov_b32_e32 v10, s1
	s_mov_b32 s15, -1
	s_mov_b32 s16, exec_lo
	ds_cmpstore_rtn_b32 v9, v9, v6, v10
	s_waitcnt lgkmcnt(0)
	v_cmpx_eq_u32_e64 s1, v9
	s_cbranch_execz .LBB161_47
; %bb.46:                               ;   in Loop: Header=BB161_41 Depth=2
	v_lshl_add_u32 v9, v8, 2, v16
	s_xor_b32 s15, exec_lo, -1
	ds_add_f32 v9, v7
.LBB161_47:                             ;   in Loop: Header=BB161_41 Depth=2
	s_or_b32 exec_lo, exec_lo, s16
	s_delay_alu instid0(SALU_CYCLE_1) | instskip(SKIP_1) | instid1(SALU_CYCLE_1)
	s_and_not1_b32 s13, s13, exec_lo
	s_and_b32 s15, s15, exec_lo
	s_or_b32 s13, s13, s15
.LBB161_48:                             ;   in Loop: Header=BB161_41 Depth=2
	s_or_b32 exec_lo, exec_lo, s14
	s_delay_alu instid0(SALU_CYCLE_1)
	s_and_b32 s13, s13, exec_lo
.LBB161_49:                             ;   in Loop: Header=BB161_41 Depth=2
	s_and_not1_saveexec_b32 s12, s12
	s_cbranch_execz .LBB161_40
; %bb.50:                               ;   in Loop: Header=BB161_41 Depth=2
	v_lshl_add_u32 v9, v8, 2, v16
	s_and_not1_b32 s13, s13, exec_lo
	ds_add_f32 v9, v7
	s_branch .LBB161_40
.LBB161_51:
	s_nop 0
	s_sendmsg sendmsg(MSG_DEALLOC_VGPRS)
	s_endpgm
	.section	.rodata,"a",@progbits
	.p2align	6, 0x0
	.amdhsa_kernel _ZN9rocsparseL38csrgemm_numeric_fill_wf_per_row_kernelILj256ELj16ELj32ELj137ElifEEvT4_S1_PKS1_S3_NS_24const_host_device_scalarIT5_EEPKT3_S3_PKS5_S9_S3_SB_S6_S9_S3_SB_S9_S3_PS5_21rocsparse_index_base_SD_SD_SD_bbb
		.amdhsa_group_segment_fixed_size 4096
		.amdhsa_private_segment_fixed_size 0
		.amdhsa_kernarg_size 156
		.amdhsa_user_sgpr_count 15
		.amdhsa_user_sgpr_dispatch_ptr 0
		.amdhsa_user_sgpr_queue_ptr 0
		.amdhsa_user_sgpr_kernarg_segment_ptr 1
		.amdhsa_user_sgpr_dispatch_id 0
		.amdhsa_user_sgpr_private_segment_size 0
		.amdhsa_wavefront_size32 1
		.amdhsa_uses_dynamic_stack 0
		.amdhsa_enable_private_segment 0
		.amdhsa_system_sgpr_workgroup_id_x 1
		.amdhsa_system_sgpr_workgroup_id_y 0
		.amdhsa_system_sgpr_workgroup_id_z 0
		.amdhsa_system_sgpr_workgroup_info 0
		.amdhsa_system_vgpr_workitem_id 0
		.amdhsa_next_free_vgpr 40
		.amdhsa_next_free_sgpr 40
		.amdhsa_reserve_vcc 1
		.amdhsa_float_round_mode_32 0
		.amdhsa_float_round_mode_16_64 0
		.amdhsa_float_denorm_mode_32 3
		.amdhsa_float_denorm_mode_16_64 3
		.amdhsa_dx10_clamp 1
		.amdhsa_ieee_mode 1
		.amdhsa_fp16_overflow 0
		.amdhsa_workgroup_processor_mode 1
		.amdhsa_memory_ordered 1
		.amdhsa_forward_progress 0
		.amdhsa_shared_vgpr_count 0
		.amdhsa_exception_fp_ieee_invalid_op 0
		.amdhsa_exception_fp_denorm_src 0
		.amdhsa_exception_fp_ieee_div_zero 0
		.amdhsa_exception_fp_ieee_overflow 0
		.amdhsa_exception_fp_ieee_underflow 0
		.amdhsa_exception_fp_ieee_inexact 0
		.amdhsa_exception_int_div_zero 0
	.end_amdhsa_kernel
	.section	.text._ZN9rocsparseL38csrgemm_numeric_fill_wf_per_row_kernelILj256ELj16ELj32ELj137ElifEEvT4_S1_PKS1_S3_NS_24const_host_device_scalarIT5_EEPKT3_S3_PKS5_S9_S3_SB_S6_S9_S3_SB_S9_S3_PS5_21rocsparse_index_base_SD_SD_SD_bbb,"axG",@progbits,_ZN9rocsparseL38csrgemm_numeric_fill_wf_per_row_kernelILj256ELj16ELj32ELj137ElifEEvT4_S1_PKS1_S3_NS_24const_host_device_scalarIT5_EEPKT3_S3_PKS5_S9_S3_SB_S6_S9_S3_SB_S9_S3_PS5_21rocsparse_index_base_SD_SD_SD_bbb,comdat
.Lfunc_end161:
	.size	_ZN9rocsparseL38csrgemm_numeric_fill_wf_per_row_kernelILj256ELj16ELj32ELj137ElifEEvT4_S1_PKS1_S3_NS_24const_host_device_scalarIT5_EEPKT3_S3_PKS5_S9_S3_SB_S6_S9_S3_SB_S9_S3_PS5_21rocsparse_index_base_SD_SD_SD_bbb, .Lfunc_end161-_ZN9rocsparseL38csrgemm_numeric_fill_wf_per_row_kernelILj256ELj16ELj32ELj137ElifEEvT4_S1_PKS1_S3_NS_24const_host_device_scalarIT5_EEPKT3_S3_PKS5_S9_S3_SB_S6_S9_S3_SB_S9_S3_PS5_21rocsparse_index_base_SD_SD_SD_bbb
                                        ; -- End function
	.section	.AMDGPU.csdata,"",@progbits
; Kernel info:
; codeLenInByte = 2908
; NumSgprs: 42
; NumVgprs: 40
; ScratchSize: 0
; MemoryBound: 0
; FloatMode: 240
; IeeeMode: 1
; LDSByteSize: 4096 bytes/workgroup (compile time only)
; SGPRBlocks: 5
; VGPRBlocks: 4
; NumSGPRsForWavesPerEU: 42
; NumVGPRsForWavesPerEU: 40
; Occupancy: 16
; WaveLimiterHint : 1
; COMPUTE_PGM_RSRC2:SCRATCH_EN: 0
; COMPUTE_PGM_RSRC2:USER_SGPR: 15
; COMPUTE_PGM_RSRC2:TRAP_HANDLER: 0
; COMPUTE_PGM_RSRC2:TGID_X_EN: 1
; COMPUTE_PGM_RSRC2:TGID_Y_EN: 0
; COMPUTE_PGM_RSRC2:TGID_Z_EN: 0
; COMPUTE_PGM_RSRC2:TIDIG_COMP_CNT: 0
	.section	.text._ZN9rocsparseL41csrgemm_numeric_fill_block_per_row_kernelILj128ELj16ELj256ELj137ELj32ElifEEvT5_PKS1_S3_NS_24const_host_device_scalarIT6_EEPKT4_S3_PKS5_S9_S3_SB_S6_S9_S3_SB_S9_S3_PS5_21rocsparse_index_base_SD_SD_SD_bbb,"axG",@progbits,_ZN9rocsparseL41csrgemm_numeric_fill_block_per_row_kernelILj128ELj16ELj256ELj137ELj32ElifEEvT5_PKS1_S3_NS_24const_host_device_scalarIT6_EEPKT4_S3_PKS5_S9_S3_SB_S6_S9_S3_SB_S9_S3_PS5_21rocsparse_index_base_SD_SD_SD_bbb,comdat
	.globl	_ZN9rocsparseL41csrgemm_numeric_fill_block_per_row_kernelILj128ELj16ELj256ELj137ELj32ElifEEvT5_PKS1_S3_NS_24const_host_device_scalarIT6_EEPKT4_S3_PKS5_S9_S3_SB_S6_S9_S3_SB_S9_S3_PS5_21rocsparse_index_base_SD_SD_SD_bbb ; -- Begin function _ZN9rocsparseL41csrgemm_numeric_fill_block_per_row_kernelILj128ELj16ELj256ELj137ELj32ElifEEvT5_PKS1_S3_NS_24const_host_device_scalarIT6_EEPKT4_S3_PKS5_S9_S3_SB_S6_S9_S3_SB_S9_S3_PS5_21rocsparse_index_base_SD_SD_SD_bbb
	.p2align	8
	.type	_ZN9rocsparseL41csrgemm_numeric_fill_block_per_row_kernelILj128ELj16ELj256ELj137ELj32ElifEEvT5_PKS1_S3_NS_24const_host_device_scalarIT6_EEPKT4_S3_PKS5_S9_S3_SB_S6_S9_S3_SB_S9_S3_PS5_21rocsparse_index_base_SD_SD_SD_bbb,@function
_ZN9rocsparseL41csrgemm_numeric_fill_block_per_row_kernelILj128ELj16ELj256ELj137ELj32ElifEEvT5_PKS1_S3_NS_24const_host_device_scalarIT6_EEPKT4_S3_PKS5_S9_S3_SB_S6_S9_S3_SB_S9_S3_PS5_21rocsparse_index_base_SD_SD_SD_bbb: ; @_ZN9rocsparseL41csrgemm_numeric_fill_block_per_row_kernelILj128ELj16ELj256ELj137ELj32ElifEEvT5_PKS1_S3_NS_24const_host_device_scalarIT6_EEPKT4_S3_PKS5_S9_S3_SB_S6_S9_S3_SB_S9_S3_PS5_21rocsparse_index_base_SD_SD_SD_bbb
; %bb.0:
	s_clause 0x2
	s_load_b32 s6, s[0:1], 0x98
	s_load_b64 s[4:5], s[0:1], 0x18
	s_load_b64 s[2:3], s[0:1], 0x50
	s_waitcnt lgkmcnt(0)
	s_bitcmp1_b32 s6, 0
	s_cselect_b32 s35, -1, 0
	s_bitcmp1_b32 s6, 16
	s_cselect_b32 s7, -1, 0
	s_xor_b32 s8, s35, -1
	s_delay_alu instid0(SALU_CYCLE_1) | instskip(NEXT) | instid1(SALU_CYCLE_1)
	s_or_b32 s8, s8, s7
	s_and_b32 vcc_lo, exec_lo, s8
	s_cbranch_vccnz .LBB162_2
; %bb.1:
	s_load_b32 s4, s[4:5], 0x0
	s_waitcnt lgkmcnt(0)
	v_mov_b32_e32 v12, s4
	s_branch .LBB162_3
.LBB162_2:
	v_cndmask_b32_e64 v12, 0, s4, s35
.LBB162_3:
	s_load_b128 s[24:27], s[0:1], 0x88
	s_bitcmp1_b32 s6, 8
	s_cselect_b32 s34, -1, 0
	s_delay_alu instid0(SALU_CYCLE_1) | instskip(NEXT) | instid1(SALU_CYCLE_1)
	s_xor_b32 s4, s34, -1
	s_or_b32 s4, s4, s7
	s_delay_alu instid0(SALU_CYCLE_1)
	s_and_b32 vcc_lo, exec_lo, s4
	s_cbranch_vccnz .LBB162_5
; %bb.4:
	s_load_b32 s2, s[2:3], 0x0
	s_waitcnt lgkmcnt(0)
	v_mov_b32_e32 v11, s2
	s_branch .LBB162_6
.LBB162_5:
	v_cndmask_b32_e64 v11, 0, s2, s34
.LBB162_6:
	s_clause 0x5
	s_load_b64 s[12:13], s[0:1], 0x80
	s_load_b256 s[4:11], s[0:1], 0x58
	s_load_b128 s[28:31], s[0:1], 0x40
	s_load_b256 s[16:23], s[0:1], 0x20
	s_load_b128 s[36:39], s[0:1], 0x8
	s_load_b32 s33, s[0:1], 0x0
	v_cmp_gt_u32_e64 s0, 0x100, v0
	v_or_b32_e32 v9, 0xffffff80, v0
	v_lshl_add_u32 v10, v0, 2, 0
	s_delay_alu instid0(VALU_DEP_3)
	s_and_saveexec_b32 s1, s0
	s_cbranch_execz .LBB162_9
; %bb.7:
	v_or_b32_e32 v1, 0xffffff80, v0
	v_lshl_add_u32 v2, v0, 2, 0
	s_waitcnt lgkmcnt(0)
	v_dual_mov_b32 v3, s33 :: v_dual_mov_b32 v4, 0
	s_mov_b32 s2, 0
.LBB162_8:                              ; =>This Inner Loop Header: Depth=1
	v_add_co_u32 v1, s3, 0x80, v1
	s_delay_alu instid0(VALU_DEP_1) | instskip(SKIP_3) | instid1(SALU_CYCLE_1)
	s_xor_b32 s3, s3, -1
	ds_store_2addr_stride64_b32 v2, v3, v4 offset1:4
	v_add_nc_u32_e32 v2, 0x200, v2
	s_and_b32 s3, exec_lo, s3
	s_or_b32 s2, s3, s2
	s_delay_alu instid0(SALU_CYCLE_1)
	s_and_not1_b32 exec_lo, exec_lo, s2
	s_cbranch_execnz .LBB162_8
.LBB162_9:
	s_or_b32 exec_lo, exec_lo, s1
	s_waitcnt lgkmcnt(0)
	s_barrier
	buffer_gl0_inv
	s_load_b32 s1, s[36:37], 0x0
	s_mov_b32 s3, 0
	s_waitcnt lgkmcnt(0)
	s_add_i32 s2, s1, s15
	s_delay_alu instid0(SALU_CYCLE_1) | instskip(NEXT) | instid1(SALU_CYCLE_1)
	s_lshl_b64 s[2:3], s[2:3], 2
	s_add_u32 s2, s38, s2
	s_addc_u32 s3, s39, s3
	s_and_b32 vcc_lo, exec_lo, s35
	s_load_b32 s14, s[2:3], 0x0
	s_cbranch_vccz .LBB162_29
; %bb.10:
	s_waitcnt lgkmcnt(0)
	s_ashr_i32 s15, s14, 31
	v_lshrrev_b32_e32 v1, 4, v0
	s_lshl_b64 s[2:3], s[14:15], 3
	s_delay_alu instid0(SALU_CYCLE_1) | instskip(SKIP_1) | instid1(VALU_DEP_1)
	s_add_u32 s2, s16, s2
	s_addc_u32 s3, s17, s3
	v_sub_co_u32 v1, s1, v1, s24
	s_load_b128 s[36:39], s[2:3], 0x0
	v_sub_co_ci_u32_e64 v2, null, 0, 0, s1
	s_mov_b32 s1, exec_lo
	s_waitcnt lgkmcnt(0)
	v_add_co_u32 v1, vcc_lo, s36, v1
	s_delay_alu instid0(VALU_DEP_2)
	v_add_co_ci_u32_e32 v2, vcc_lo, s37, v2, vcc_lo
	s_sub_u32 s2, s38, s24
	s_subb_u32 s3, s39, 0
	s_delay_alu instid0(VALU_DEP_1) | instid1(SALU_CYCLE_1)
	v_cmpx_gt_i64_e64 s[2:3], v[1:2]
	s_cbranch_execz .LBB162_28
; %bb.11:
	v_and_b32_e32 v3, 15, v0
	s_mov_b32 s16, s25
	s_delay_alu instid0(VALU_DEP_1) | instskip(NEXT) | instid1(VALU_DEP_1)
	v_sub_co_u32 v13, s15, v3, s25
	v_sub_co_ci_u32_e64 v14, null, 0, 0, s15
	s_mov_b32 s15, 0
	s_branch .LBB162_13
.LBB162_12:                             ;   in Loop: Header=BB162_13 Depth=1
	s_or_b32 exec_lo, exec_lo, s17
	v_add_co_u32 v1, vcc_lo, v1, 8
	v_add_co_ci_u32_e32 v2, vcc_lo, 0, v2, vcc_lo
	s_delay_alu instid0(VALU_DEP_1) | instskip(SKIP_1) | instid1(SALU_CYCLE_1)
	v_cmp_le_i64_e32 vcc_lo, s[2:3], v[1:2]
	s_or_b32 s15, vcc_lo, s15
	s_and_not1_b32 exec_lo, exec_lo, s15
	s_cbranch_execz .LBB162_28
.LBB162_13:                             ; =>This Loop Header: Depth=1
                                        ;     Child Loop BB162_16 Depth 2
                                        ;       Child Loop BB162_18 Depth 3
	v_lshlrev_b64 v[7:8], 2, v[1:2]
	s_mov_b32 s17, exec_lo
	s_delay_alu instid0(VALU_DEP_1) | instskip(NEXT) | instid1(VALU_DEP_2)
	v_add_co_u32 v3, vcc_lo, s18, v7
	v_add_co_ci_u32_e32 v4, vcc_lo, s19, v8, vcc_lo
	global_load_b32 v3, v[3:4], off
	s_waitcnt vmcnt(0)
	v_subrev_nc_u32_e32 v3, s24, v3
	s_delay_alu instid0(VALU_DEP_1) | instskip(NEXT) | instid1(VALU_DEP_1)
	v_ashrrev_i32_e32 v4, 31, v3
	v_lshlrev_b64 v[3:4], 3, v[3:4]
	s_delay_alu instid0(VALU_DEP_1) | instskip(NEXT) | instid1(VALU_DEP_2)
	v_add_co_u32 v3, vcc_lo, s22, v3
	v_add_co_ci_u32_e32 v4, vcc_lo, s23, v4, vcc_lo
	global_load_b128 v[15:18], v[3:4], off
	s_waitcnt vmcnt(0)
	v_sub_co_u32 v3, vcc_lo, v17, s16
	v_subrev_co_ci_u32_e32 v4, vcc_lo, 0, v18, vcc_lo
	v_add_co_u32 v5, vcc_lo, v15, v13
	v_add_co_ci_u32_e32 v6, vcc_lo, v16, v14, vcc_lo
	s_delay_alu instid0(VALU_DEP_1)
	v_cmpx_lt_i64_e64 v[5:6], v[3:4]
	s_cbranch_execz .LBB162_12
; %bb.14:                               ;   in Loop: Header=BB162_13 Depth=1
	v_add_co_u32 v7, vcc_lo, s20, v7
	v_add_co_ci_u32_e32 v8, vcc_lo, s21, v8, vcc_lo
	s_mov_b32 s35, 0
	global_load_b32 v7, v[7:8], off
	s_waitcnt vmcnt(0)
	v_mul_f32_e32 v7, v12, v7
	s_branch .LBB162_16
.LBB162_15:                             ;   in Loop: Header=BB162_16 Depth=2
	s_or_b32 exec_lo, exec_lo, s36
	v_add_co_u32 v5, vcc_lo, v5, 16
	v_add_co_ci_u32_e32 v6, vcc_lo, 0, v6, vcc_lo
	s_delay_alu instid0(VALU_DEP_1) | instskip(SKIP_1) | instid1(SALU_CYCLE_1)
	v_cmp_ge_i64_e32 vcc_lo, v[5:6], v[3:4]
	s_or_b32 s35, vcc_lo, s35
	s_and_not1_b32 exec_lo, exec_lo, s35
	s_cbranch_execz .LBB162_12
.LBB162_16:                             ;   Parent Loop BB162_13 Depth=1
                                        ; =>  This Loop Header: Depth=2
                                        ;       Child Loop BB162_18 Depth 3
	v_lshlrev_b64 v[15:16], 2, v[5:6]
	s_mov_b32 s36, 0
	s_delay_alu instid0(VALU_DEP_1) | instskip(NEXT) | instid1(VALU_DEP_2)
	v_add_co_u32 v17, vcc_lo, s28, v15
	v_add_co_ci_u32_e32 v18, vcc_lo, s29, v16, vcc_lo
	v_add_co_u32 v15, vcc_lo, s30, v15
	v_add_co_ci_u32_e32 v16, vcc_lo, s31, v16, vcc_lo
	global_load_b32 v8, v[17:18], off
	global_load_b32 v15, v[15:16], off
	s_waitcnt vmcnt(1)
	v_subrev_nc_u32_e32 v8, s25, v8
	s_delay_alu instid0(VALU_DEP_1) | instskip(SKIP_1) | instid1(VALU_DEP_1)
	v_mul_lo_u32 v16, 0x89, v8
	s_waitcnt vmcnt(0)
	v_dual_mul_f32 v15, v7, v15 :: v_dual_and_b32 v16, 0xff, v16
	s_branch .LBB162_18
.LBB162_17:                             ;   in Loop: Header=BB162_18 Depth=3
	s_or_b32 exec_lo, exec_lo, s37
	s_xor_b32 s37, s38, -1
	s_delay_alu instid0(SALU_CYCLE_1) | instskip(NEXT) | instid1(SALU_CYCLE_1)
	s_and_b32 s37, exec_lo, s37
	s_or_b32 s36, s37, s36
	s_delay_alu instid0(SALU_CYCLE_1)
	s_and_not1_b32 exec_lo, exec_lo, s36
	s_cbranch_execz .LBB162_15
.LBB162_18:                             ;   Parent Loop BB162_13 Depth=1
                                        ;     Parent Loop BB162_16 Depth=2
                                        ; =>    This Inner Loop Header: Depth=3
	s_delay_alu instid0(VALU_DEP_1)
	v_lshl_add_u32 v17, v16, 2, 0
	s_mov_b32 s37, exec_lo
                                        ; implicit-def: $sgpr38
	ds_load_b32 v18, v17
	s_waitcnt lgkmcnt(0)
	v_cmpx_ne_u32_e64 v18, v8
	s_xor_b32 s37, exec_lo, s37
	s_cbranch_execz .LBB162_26
; %bb.19:                               ;   in Loop: Header=BB162_18 Depth=3
	s_mov_b32 s39, exec_lo
                                        ; implicit-def: $sgpr38
	v_cmpx_ne_u32_e64 s33, v18
	s_xor_b32 s39, exec_lo, s39
; %bb.20:                               ;   in Loop: Header=BB162_18 Depth=3
	v_add_nc_u32_e32 v16, 1, v16
	s_mov_b32 s38, -1
                                        ; implicit-def: $vgpr17
	s_delay_alu instid0(VALU_DEP_1)
	v_and_b32_e32 v16, 0xff, v16
; %bb.21:                               ;   in Loop: Header=BB162_18 Depth=3
	s_and_not1_saveexec_b32 s39, s39
	s_cbranch_execz .LBB162_25
; %bb.22:                               ;   in Loop: Header=BB162_18 Depth=3
	v_mov_b32_e32 v18, s33
	s_mov_b32 s40, -1
	s_mov_b32 s41, exec_lo
	ds_cmpstore_rtn_b32 v18, v17, v8, v18
	s_waitcnt lgkmcnt(0)
	v_cmpx_eq_u32_e64 s33, v18
	s_cbranch_execz .LBB162_24
; %bb.23:                               ;   in Loop: Header=BB162_18 Depth=3
	ds_add_f32 v17, v15 offset:1024
	s_xor_b32 s40, exec_lo, -1
.LBB162_24:                             ;   in Loop: Header=BB162_18 Depth=3
	s_or_b32 exec_lo, exec_lo, s41
	s_delay_alu instid0(SALU_CYCLE_1) | instskip(SKIP_1) | instid1(SALU_CYCLE_1)
	s_and_not1_b32 s38, s38, exec_lo
	s_and_b32 s40, s40, exec_lo
	s_or_b32 s38, s38, s40
.LBB162_25:                             ;   in Loop: Header=BB162_18 Depth=3
	s_or_b32 exec_lo, exec_lo, s39
	s_delay_alu instid0(SALU_CYCLE_1)
	s_and_b32 s38, s38, exec_lo
                                        ; implicit-def: $vgpr17
.LBB162_26:                             ;   in Loop: Header=BB162_18 Depth=3
	s_and_not1_saveexec_b32 s37, s37
	s_cbranch_execz .LBB162_17
; %bb.27:                               ;   in Loop: Header=BB162_18 Depth=3
	ds_add_f32 v17, v15 offset:1024
	s_and_not1_b32 s38, s38, exec_lo
	s_branch .LBB162_17
.LBB162_28:
	s_or_b32 exec_lo, exec_lo, s1
.LBB162_29:
	s_delay_alu instid0(SALU_CYCLE_1)
	s_and_not1_b32 vcc_lo, exec_lo, s34
	s_cbranch_vccnz .LBB162_32
; %bb.30:
	s_waitcnt lgkmcnt(0)
	s_ashr_i32 s15, s14, 31
	v_sub_co_u32 v1, s1, v0, s27
	s_lshl_b64 s[2:3], s[14:15], 3
	v_sub_co_ci_u32_e64 v2, null, 0, 0, s1
	s_add_u32 s2, s4, s2
	s_addc_u32 s3, s5, s3
	s_mov_b32 s4, 0
	s_load_b128 s[16:19], s[2:3], 0x0
	s_mov_b32 s1, exec_lo
	s_waitcnt lgkmcnt(0)
	v_add_co_u32 v1, vcc_lo, s16, v1
	v_add_co_ci_u32_e32 v2, vcc_lo, s17, v2, vcc_lo
	s_sub_u32 s2, s18, s27
	s_subb_u32 s3, s19, 0
	s_delay_alu instid0(VALU_DEP_1) | instid1(SALU_CYCLE_1)
	v_cmpx_gt_i64_e64 s[2:3], v[1:2]
	s_cbranch_execnz .LBB162_46
.LBB162_31:
	s_or_b32 exec_lo, exec_lo, s1
.LBB162_32:
	s_waitcnt lgkmcnt(0)
	s_barrier
	buffer_gl0_inv
	s_and_saveexec_b32 s4, s0
	s_cbranch_execz .LBB162_58
; %bb.33:
	v_mbcnt_lo_u32_b32 v1, -1, 0
	v_lshrrev_b32_e32 v2, 3, v0
	v_cmp_eq_u32_e32 vcc_lo, 0x7f, v0
	v_cmp_lt_u32_e64 s0, 31, v0
	v_cmp_lt_u32_e64 s1, 63, v0
	v_xor_b32_e32 v1, 63, v1
	v_dual_mov_b32 v6, 0 :: v_dual_and_b32 v3, 12, v2
	v_cmp_lt_u32_e64 s2, 0x5f, v0
	s_mov_b32 s5, 0
	s_delay_alu instid0(VALU_DEP_3) | instskip(NEXT) | instid1(VALU_DEP_3)
	v_lshrrev_b64 v[1:2], v1, -1
	v_dual_mov_b32 v5, 0 :: v_dual_add_nc_u32 v4, 0, v3
	s_branch .LBB162_35
.LBB162_34:                             ;   in Loop: Header=BB162_35 Depth=1
	s_or_b32 exec_lo, exec_lo, s3
	s_waitcnt lgkmcnt(0)
	s_barrier
	buffer_gl0_inv
	ds_load_b32 v2, v5 offset:2060
	v_add_co_u32 v9, s3, 0x80, v9
	s_delay_alu instid0(VALU_DEP_1) | instskip(SKIP_2) | instid1(SALU_CYCLE_1)
	s_xor_b32 s3, s3, -1
	v_add_nc_u32_e32 v10, 0x200, v10
	s_and_b32 s3, exec_lo, s3
	s_or_b32 s5, s3, s5
	s_waitcnt lgkmcnt(0)
	v_add_nc_u32_e32 v6, v2, v6
	s_and_not1_b32 exec_lo, exec_lo, s5
	s_cbranch_execz .LBB162_58
.LBB162_35:                             ; =>This Inner Loop Header: Depth=1
	ds_load_2addr_stride64_b32 v[2:3], v10 offset1:4
	s_waitcnt lgkmcnt(0)
	s_barrier
	buffer_gl0_inv
	v_cmp_gt_i32_e64 s3, s33, v2
	s_delay_alu instid0(VALU_DEP_1) | instskip(NEXT) | instid1(SALU_CYCLE_1)
	s_bcnt1_i32_b32 s6, s3
	v_dual_mov_b32 v8, s6 :: v_dual_and_b32 v7, s3, v1
	s_delay_alu instid0(VALU_DEP_1)
	v_bcnt_u32_b32 v7, v7, 0
	ds_store_b32 v4, v8 offset:2048
	s_waitcnt lgkmcnt(0)
	s_barrier
	buffer_gl0_inv
	s_and_saveexec_b32 s6, s0
	s_cbranch_execnz .LBB162_40
; %bb.36:                               ;   in Loop: Header=BB162_35 Depth=1
	s_or_b32 exec_lo, exec_lo, s6
	s_and_saveexec_b32 s6, s1
	s_cbranch_execnz .LBB162_41
.LBB162_37:                             ;   in Loop: Header=BB162_35 Depth=1
	s_or_b32 exec_lo, exec_lo, s6
	s_and_saveexec_b32 s6, s2
	s_cbranch_execnz .LBB162_42
.LBB162_38:                             ;   in Loop: Header=BB162_35 Depth=1
	s_or_b32 exec_lo, exec_lo, s6
	s_and_saveexec_b32 s6, s3
	s_cbranch_execnz .LBB162_43
.LBB162_39:                             ;   in Loop: Header=BB162_35 Depth=1
	s_or_b32 exec_lo, exec_lo, s6
	s_and_saveexec_b32 s3, vcc_lo
	s_cbranch_execz .LBB162_34
	s_branch .LBB162_44
.LBB162_40:                             ;   in Loop: Header=BB162_35 Depth=1
	ds_load_b32 v8, v5 offset:2048
	s_waitcnt lgkmcnt(0)
	v_add_nc_u32_e32 v7, v8, v7
	s_or_b32 exec_lo, exec_lo, s6
	s_and_saveexec_b32 s6, s1
	s_cbranch_execz .LBB162_37
.LBB162_41:                             ;   in Loop: Header=BB162_35 Depth=1
	ds_load_b32 v8, v5 offset:2052
	s_waitcnt lgkmcnt(0)
	v_add_nc_u32_e32 v7, v8, v7
	s_or_b32 exec_lo, exec_lo, s6
	s_and_saveexec_b32 s6, s2
	s_cbranch_execz .LBB162_38
.LBB162_42:                             ;   in Loop: Header=BB162_35 Depth=1
	ds_load_b32 v8, v5 offset:2056
	s_waitcnt lgkmcnt(0)
	v_add_nc_u32_e32 v7, v8, v7
	s_or_b32 exec_lo, exec_lo, s6
	s_and_saveexec_b32 s6, s3
	s_cbranch_execz .LBB162_39
.LBB162_43:                             ;   in Loop: Header=BB162_35 Depth=1
	s_delay_alu instid0(VALU_DEP_1) | instskip(NEXT) | instid1(VALU_DEP_1)
	v_add3_u32 v8, v6, -1, v7
	v_lshl_add_u32 v8, v8, 2, 0
	ds_store_2addr_stride64_b32 v8, v2, v3 offset1:4
	s_or_b32 exec_lo, exec_lo, s6
	s_and_saveexec_b32 s3, vcc_lo
	s_cbranch_execz .LBB162_34
.LBB162_44:                             ;   in Loop: Header=BB162_35 Depth=1
	ds_store_b32 v5, v7 offset:2060
	s_branch .LBB162_34
.LBB162_45:                             ;   in Loop: Header=BB162_46 Depth=1
	s_or_b32 exec_lo, exec_lo, s5
	v_add_co_u32 v1, vcc_lo, 0x80, v1
	v_add_co_ci_u32_e32 v2, vcc_lo, 0, v2, vcc_lo
	s_delay_alu instid0(VALU_DEP_1) | instskip(SKIP_1) | instid1(SALU_CYCLE_1)
	v_cmp_le_i64_e32 vcc_lo, s[2:3], v[1:2]
	s_or_b32 s4, vcc_lo, s4
	s_and_not1_b32 exec_lo, exec_lo, s4
	s_cbranch_execz .LBB162_31
.LBB162_46:                             ; =>This Loop Header: Depth=1
                                        ;     Child Loop BB162_48 Depth 2
	v_lshlrev_b64 v[3:4], 2, v[1:2]
	s_mov_b32 s5, 0
	s_delay_alu instid0(VALU_DEP_1) | instskip(NEXT) | instid1(VALU_DEP_2)
	v_add_co_u32 v5, vcc_lo, s6, v3
	v_add_co_ci_u32_e32 v6, vcc_lo, s7, v4, vcc_lo
	v_add_co_u32 v3, vcc_lo, s8, v3
	v_add_co_ci_u32_e32 v4, vcc_lo, s9, v4, vcc_lo
	global_load_b32 v5, v[5:6], off
	global_load_b32 v4, v[3:4], off
	s_waitcnt vmcnt(1)
	v_subrev_nc_u32_e32 v3, s27, v5
	s_delay_alu instid0(VALU_DEP_1) | instskip(SKIP_1) | instid1(VALU_DEP_1)
	v_mul_lo_u32 v5, 0x89, v3
	s_waitcnt vmcnt(0)
	v_dual_mul_f32 v4, v11, v4 :: v_dual_and_b32 v5, 0xff, v5
	s_branch .LBB162_48
.LBB162_47:                             ;   in Loop: Header=BB162_48 Depth=2
	s_or_b32 exec_lo, exec_lo, s15
	s_xor_b32 s15, s16, -1
	s_delay_alu instid0(SALU_CYCLE_1) | instskip(NEXT) | instid1(SALU_CYCLE_1)
	s_and_b32 s15, exec_lo, s15
	s_or_b32 s5, s15, s5
	s_delay_alu instid0(SALU_CYCLE_1)
	s_and_not1_b32 exec_lo, exec_lo, s5
	s_cbranch_execz .LBB162_45
.LBB162_48:                             ;   Parent Loop BB162_46 Depth=1
                                        ; =>  This Inner Loop Header: Depth=2
	s_delay_alu instid0(VALU_DEP_1)
	v_lshl_add_u32 v6, v5, 2, 0
	s_mov_b32 s15, exec_lo
                                        ; implicit-def: $sgpr16
	ds_load_b32 v7, v6
	s_waitcnt lgkmcnt(0)
	v_cmpx_ne_u32_e64 v7, v3
	s_xor_b32 s15, exec_lo, s15
	s_cbranch_execz .LBB162_56
; %bb.49:                               ;   in Loop: Header=BB162_48 Depth=2
	s_mov_b32 s17, exec_lo
                                        ; implicit-def: $sgpr16
	v_cmpx_ne_u32_e64 s33, v7
	s_xor_b32 s17, exec_lo, s17
; %bb.50:                               ;   in Loop: Header=BB162_48 Depth=2
	v_add_nc_u32_e32 v5, 1, v5
	s_mov_b32 s16, -1
                                        ; implicit-def: $vgpr6
	s_delay_alu instid0(VALU_DEP_1)
	v_and_b32_e32 v5, 0xff, v5
; %bb.51:                               ;   in Loop: Header=BB162_48 Depth=2
	s_and_not1_saveexec_b32 s17, s17
	s_cbranch_execz .LBB162_55
; %bb.52:                               ;   in Loop: Header=BB162_48 Depth=2
	v_mov_b32_e32 v7, s33
	s_mov_b32 s18, -1
	s_mov_b32 s19, exec_lo
	ds_cmpstore_rtn_b32 v7, v6, v3, v7
	s_waitcnt lgkmcnt(0)
	v_cmpx_eq_u32_e64 s33, v7
	s_cbranch_execz .LBB162_54
; %bb.53:                               ;   in Loop: Header=BB162_48 Depth=2
	ds_add_f32 v6, v4 offset:1024
	s_xor_b32 s18, exec_lo, -1
.LBB162_54:                             ;   in Loop: Header=BB162_48 Depth=2
	s_or_b32 exec_lo, exec_lo, s19
	s_delay_alu instid0(SALU_CYCLE_1) | instskip(SKIP_1) | instid1(SALU_CYCLE_1)
	s_and_not1_b32 s16, s16, exec_lo
	s_and_b32 s18, s18, exec_lo
	s_or_b32 s16, s16, s18
.LBB162_55:                             ;   in Loop: Header=BB162_48 Depth=2
	s_or_b32 exec_lo, exec_lo, s17
	s_delay_alu instid0(SALU_CYCLE_1)
	s_and_b32 s16, s16, exec_lo
                                        ; implicit-def: $vgpr6
.LBB162_56:                             ;   in Loop: Header=BB162_48 Depth=2
	s_and_not1_saveexec_b32 s15, s15
	s_cbranch_execz .LBB162_47
; %bb.57:                               ;   in Loop: Header=BB162_48 Depth=2
	ds_add_f32 v6, v4 offset:1024
	s_and_not1_b32 s16, s16, exec_lo
	s_branch .LBB162_47
.LBB162_58:
	s_or_b32 exec_lo, exec_lo, s4
	s_ashr_i32 s15, s14, 31
	s_mov_b32 s4, exec_lo
	s_lshl_b64 s[0:1], s[14:15], 3
	s_delay_alu instid0(SALU_CYCLE_1) | instskip(SKIP_4) | instid1(SALU_CYCLE_1)
	s_add_u32 s0, s10, s0
	s_addc_u32 s1, s11, s1
	s_load_b128 s[0:3], s[0:1], 0x0
	s_waitcnt lgkmcnt(0)
	s_sub_i32 s3, s2, s0
	v_cmpx_gt_i32_e64 s3, v0
	s_cbranch_execz .LBB162_68
; %bb.59:
	s_sub_u32 s4, s0, s26
	s_subb_u32 s5, s1, 0
	s_sub_i32 s0, s0, s2
	s_and_b32 s1, s3, 7
	s_cmp_lt_u32 s0, -7
	s_mov_b32 s8, 0
	s_cselect_b32 s2, -1, 0
	s_and_b32 s6, s3, -8
	s_cmp_lg_u32 s1, 0
	s_cselect_b32 s7, -1, 0
	s_branch .LBB162_61
.LBB162_60:                             ;   in Loop: Header=BB162_61 Depth=1
	s_delay_alu instid0(VALU_DEP_1) | instskip(SKIP_1) | instid1(VALU_DEP_1)
	v_lshlrev_b64 v[3:4], 2, v[3:4]
	v_add_nc_u32_e32 v0, 0x80, v0
	v_cmp_le_i32_e32 vcc_lo, s3, v0
	s_delay_alu instid0(VALU_DEP_3) | instskip(NEXT) | instid1(VALU_DEP_1)
	v_add_co_u32 v3, s0, s12, v3
	v_add_co_ci_u32_e64 v4, s0, s13, v4, s0
	s_or_b32 s8, vcc_lo, s8
	s_waitcnt lgkmcnt(0)
	global_store_b32 v[3:4], v2, off
	s_and_not1_b32 exec_lo, exec_lo, s8
	s_cbranch_execz .LBB162_68
.LBB162_61:                             ; =>This Loop Header: Depth=1
                                        ;     Child Loop BB162_63 Depth 2
                                        ;     Child Loop BB162_67 Depth 2
	v_lshl_add_u32 v1, v0, 2, 0
	v_dual_mov_b32 v3, s4 :: v_dual_mov_b32 v4, s5
	s_and_not1_b32 vcc_lo, exec_lo, s2
	s_mov_b32 s0, 0
	ds_load_2addr_stride64_b32 v[1:2], v1 offset1:4
	s_cbranch_vccnz .LBB162_65
; %bb.62:                               ;   in Loop: Header=BB162_61 Depth=1
	v_dual_mov_b32 v3, s4 :: v_dual_mov_b32 v4, s5
	s_mov_b32 s9, 0
	s_mov_b32 s10, 0
.LBB162_63:                             ;   Parent Loop BB162_61 Depth=1
                                        ; =>  This Inner Loop Header: Depth=2
	s_delay_alu instid0(SALU_CYCLE_1)
	v_mov_b32_e32 v11, s10
	s_add_i32 s9, s9, 8
	s_add_i32 s10, s10, 32
	s_cmp_eq_u32 s6, s9
	ds_load_2addr_b32 v[5:6], v11 offset1:1
	ds_load_2addr_b32 v[7:8], v11 offset0:2 offset1:3
	ds_load_2addr_b32 v[9:10], v11 offset0:4 offset1:5
	;; [unrolled: 1-line block ×3, first 2 shown]
	s_waitcnt lgkmcnt(3)
	v_cmp_gt_i32_e32 vcc_lo, v1, v5
	v_cndmask_b32_e64 v5, 0, 1, vcc_lo
	v_cmp_gt_i32_e32 vcc_lo, v1, v6
	v_cndmask_b32_e64 v6, 0, 1, vcc_lo
	s_waitcnt lgkmcnt(2)
	v_cmp_gt_i32_e32 vcc_lo, v1, v7
	v_cndmask_b32_e64 v7, 0, 1, vcc_lo
	v_cmp_gt_i32_e32 vcc_lo, v1, v8
	v_cndmask_b32_e64 v8, 0, 1, vcc_lo
	s_waitcnt lgkmcnt(1)
	v_cmp_gt_i32_e32 vcc_lo, v1, v9
	v_cndmask_b32_e64 v9, 0, 1, vcc_lo
	v_add_co_u32 v3, vcc_lo, v3, v5
	v_add_co_ci_u32_e32 v4, vcc_lo, 0, v4, vcc_lo
	v_cmp_gt_i32_e32 vcc_lo, v1, v10
	s_delay_alu instid0(VALU_DEP_3) | instskip(NEXT) | instid1(VALU_DEP_1)
	v_add_co_u32 v3, s0, v3, v6
	v_add_co_ci_u32_e64 v4, s0, 0, v4, s0
	v_cndmask_b32_e64 v5, 0, 1, vcc_lo
	s_delay_alu instid0(VALU_DEP_3) | instskip(NEXT) | instid1(VALU_DEP_3)
	v_add_co_u32 v3, vcc_lo, v3, v7
	v_add_co_ci_u32_e32 v4, vcc_lo, 0, v4, vcc_lo
	s_waitcnt lgkmcnt(0)
	v_cmp_gt_i32_e32 vcc_lo, v1, v11
	s_delay_alu instid0(VALU_DEP_3) | instskip(NEXT) | instid1(VALU_DEP_1)
	v_add_co_u32 v3, s0, v3, v8
	v_add_co_ci_u32_e64 v4, s0, 0, v4, s0
	v_cndmask_b32_e64 v6, 0, 1, vcc_lo
	s_delay_alu instid0(VALU_DEP_3) | instskip(NEXT) | instid1(VALU_DEP_3)
	v_add_co_u32 v3, vcc_lo, v3, v9
	v_add_co_ci_u32_e32 v4, vcc_lo, 0, v4, vcc_lo
	v_cmp_gt_i32_e32 vcc_lo, v1, v12
	s_delay_alu instid0(VALU_DEP_3) | instskip(NEXT) | instid1(VALU_DEP_1)
	v_add_co_u32 v3, s0, v3, v5
	v_add_co_ci_u32_e64 v4, s0, 0, v4, s0
	v_cndmask_b32_e64 v5, 0, 1, vcc_lo
	s_delay_alu instid0(VALU_DEP_3) | instskip(NEXT) | instid1(VALU_DEP_3)
	v_add_co_u32 v3, vcc_lo, v3, v6
	v_add_co_ci_u32_e32 v4, vcc_lo, 0, v4, vcc_lo
	s_delay_alu instid0(VALU_DEP_2) | instskip(NEXT) | instid1(VALU_DEP_2)
	v_add_co_u32 v3, vcc_lo, v3, v5
	v_add_co_ci_u32_e32 v4, vcc_lo, 0, v4, vcc_lo
	s_cbranch_scc0 .LBB162_63
; %bb.64:                               ;   in Loop: Header=BB162_61 Depth=1
	s_mov_b32 s0, s6
.LBB162_65:                             ;   in Loop: Header=BB162_61 Depth=1
	s_and_not1_b32 vcc_lo, exec_lo, s7
	s_cbranch_vccnz .LBB162_60
; %bb.66:                               ;   in Loop: Header=BB162_61 Depth=1
	s_lshl_b32 s0, s0, 2
	s_mov_b32 s9, s1
	s_add_i32 s0, s0, 0
.LBB162_67:                             ;   Parent Loop BB162_61 Depth=1
                                        ; =>  This Inner Loop Header: Depth=2
	s_delay_alu instid0(SALU_CYCLE_1)
	v_mov_b32_e32 v5, s0
	s_add_i32 s9, s9, -1
	s_add_i32 s0, s0, 4
	s_cmp_lg_u32 s9, 0
	ds_load_b32 v5, v5
	s_waitcnt lgkmcnt(0)
	v_cmp_gt_i32_e32 vcc_lo, v1, v5
	v_cndmask_b32_e64 v5, 0, 1, vcc_lo
	s_delay_alu instid0(VALU_DEP_1)
	v_add_co_u32 v3, vcc_lo, v3, v5
	v_add_co_ci_u32_e32 v4, vcc_lo, 0, v4, vcc_lo
	s_cbranch_scc1 .LBB162_67
	s_branch .LBB162_60
.LBB162_68:
	s_nop 0
	s_sendmsg sendmsg(MSG_DEALLOC_VGPRS)
	s_endpgm
	.section	.rodata,"a",@progbits
	.p2align	6, 0x0
	.amdhsa_kernel _ZN9rocsparseL41csrgemm_numeric_fill_block_per_row_kernelILj128ELj16ELj256ELj137ELj32ElifEEvT5_PKS1_S3_NS_24const_host_device_scalarIT6_EEPKT4_S3_PKS5_S9_S3_SB_S6_S9_S3_SB_S9_S3_PS5_21rocsparse_index_base_SD_SD_SD_bbb
		.amdhsa_group_segment_fixed_size 0
		.amdhsa_private_segment_fixed_size 0
		.amdhsa_kernarg_size 156
		.amdhsa_user_sgpr_count 15
		.amdhsa_user_sgpr_dispatch_ptr 0
		.amdhsa_user_sgpr_queue_ptr 0
		.amdhsa_user_sgpr_kernarg_segment_ptr 1
		.amdhsa_user_sgpr_dispatch_id 0
		.amdhsa_user_sgpr_private_segment_size 0
		.amdhsa_wavefront_size32 1
		.amdhsa_uses_dynamic_stack 0
		.amdhsa_enable_private_segment 0
		.amdhsa_system_sgpr_workgroup_id_x 1
		.amdhsa_system_sgpr_workgroup_id_y 0
		.amdhsa_system_sgpr_workgroup_id_z 0
		.amdhsa_system_sgpr_workgroup_info 0
		.amdhsa_system_vgpr_workitem_id 0
		.amdhsa_next_free_vgpr 19
		.amdhsa_next_free_sgpr 42
		.amdhsa_reserve_vcc 1
		.amdhsa_float_round_mode_32 0
		.amdhsa_float_round_mode_16_64 0
		.amdhsa_float_denorm_mode_32 3
		.amdhsa_float_denorm_mode_16_64 3
		.amdhsa_dx10_clamp 1
		.amdhsa_ieee_mode 1
		.amdhsa_fp16_overflow 0
		.amdhsa_workgroup_processor_mode 1
		.amdhsa_memory_ordered 1
		.amdhsa_forward_progress 0
		.amdhsa_shared_vgpr_count 0
		.amdhsa_exception_fp_ieee_invalid_op 0
		.amdhsa_exception_fp_denorm_src 0
		.amdhsa_exception_fp_ieee_div_zero 0
		.amdhsa_exception_fp_ieee_overflow 0
		.amdhsa_exception_fp_ieee_underflow 0
		.amdhsa_exception_fp_ieee_inexact 0
		.amdhsa_exception_int_div_zero 0
	.end_amdhsa_kernel
	.section	.text._ZN9rocsparseL41csrgemm_numeric_fill_block_per_row_kernelILj128ELj16ELj256ELj137ELj32ElifEEvT5_PKS1_S3_NS_24const_host_device_scalarIT6_EEPKT4_S3_PKS5_S9_S3_SB_S6_S9_S3_SB_S9_S3_PS5_21rocsparse_index_base_SD_SD_SD_bbb,"axG",@progbits,_ZN9rocsparseL41csrgemm_numeric_fill_block_per_row_kernelILj128ELj16ELj256ELj137ELj32ElifEEvT5_PKS1_S3_NS_24const_host_device_scalarIT6_EEPKT4_S3_PKS5_S9_S3_SB_S6_S9_S3_SB_S9_S3_PS5_21rocsparse_index_base_SD_SD_SD_bbb,comdat
.Lfunc_end162:
	.size	_ZN9rocsparseL41csrgemm_numeric_fill_block_per_row_kernelILj128ELj16ELj256ELj137ELj32ElifEEvT5_PKS1_S3_NS_24const_host_device_scalarIT6_EEPKT4_S3_PKS5_S9_S3_SB_S6_S9_S3_SB_S9_S3_PS5_21rocsparse_index_base_SD_SD_SD_bbb, .Lfunc_end162-_ZN9rocsparseL41csrgemm_numeric_fill_block_per_row_kernelILj128ELj16ELj256ELj137ELj32ElifEEvT5_PKS1_S3_NS_24const_host_device_scalarIT6_EEPKT4_S3_PKS5_S9_S3_SB_S6_S9_S3_SB_S9_S3_PS5_21rocsparse_index_base_SD_SD_SD_bbb
                                        ; -- End function
	.section	.AMDGPU.csdata,"",@progbits
; Kernel info:
; codeLenInByte = 2688
; NumSgprs: 44
; NumVgprs: 19
; ScratchSize: 0
; MemoryBound: 0
; FloatMode: 240
; IeeeMode: 1
; LDSByteSize: 0 bytes/workgroup (compile time only)
; SGPRBlocks: 5
; VGPRBlocks: 2
; NumSGPRsForWavesPerEU: 44
; NumVGPRsForWavesPerEU: 19
; Occupancy: 16
; WaveLimiterHint : 1
; COMPUTE_PGM_RSRC2:SCRATCH_EN: 0
; COMPUTE_PGM_RSRC2:USER_SGPR: 15
; COMPUTE_PGM_RSRC2:TRAP_HANDLER: 0
; COMPUTE_PGM_RSRC2:TGID_X_EN: 1
; COMPUTE_PGM_RSRC2:TGID_Y_EN: 0
; COMPUTE_PGM_RSRC2:TGID_Z_EN: 0
; COMPUTE_PGM_RSRC2:TIDIG_COMP_CNT: 0
	.section	.text._ZN9rocsparseL41csrgemm_numeric_fill_block_per_row_kernelILj128ELj16ELj256ELj137ELj64ElifEEvT5_PKS1_S3_NS_24const_host_device_scalarIT6_EEPKT4_S3_PKS5_S9_S3_SB_S6_S9_S3_SB_S9_S3_PS5_21rocsparse_index_base_SD_SD_SD_bbb,"axG",@progbits,_ZN9rocsparseL41csrgemm_numeric_fill_block_per_row_kernelILj128ELj16ELj256ELj137ELj64ElifEEvT5_PKS1_S3_NS_24const_host_device_scalarIT6_EEPKT4_S3_PKS5_S9_S3_SB_S6_S9_S3_SB_S9_S3_PS5_21rocsparse_index_base_SD_SD_SD_bbb,comdat
	.globl	_ZN9rocsparseL41csrgemm_numeric_fill_block_per_row_kernelILj128ELj16ELj256ELj137ELj64ElifEEvT5_PKS1_S3_NS_24const_host_device_scalarIT6_EEPKT4_S3_PKS5_S9_S3_SB_S6_S9_S3_SB_S9_S3_PS5_21rocsparse_index_base_SD_SD_SD_bbb ; -- Begin function _ZN9rocsparseL41csrgemm_numeric_fill_block_per_row_kernelILj128ELj16ELj256ELj137ELj64ElifEEvT5_PKS1_S3_NS_24const_host_device_scalarIT6_EEPKT4_S3_PKS5_S9_S3_SB_S6_S9_S3_SB_S9_S3_PS5_21rocsparse_index_base_SD_SD_SD_bbb
	.p2align	8
	.type	_ZN9rocsparseL41csrgemm_numeric_fill_block_per_row_kernelILj128ELj16ELj256ELj137ELj64ElifEEvT5_PKS1_S3_NS_24const_host_device_scalarIT6_EEPKT4_S3_PKS5_S9_S3_SB_S6_S9_S3_SB_S9_S3_PS5_21rocsparse_index_base_SD_SD_SD_bbb,@function
_ZN9rocsparseL41csrgemm_numeric_fill_block_per_row_kernelILj128ELj16ELj256ELj137ELj64ElifEEvT5_PKS1_S3_NS_24const_host_device_scalarIT6_EEPKT4_S3_PKS5_S9_S3_SB_S6_S9_S3_SB_S9_S3_PS5_21rocsparse_index_base_SD_SD_SD_bbb: ; @_ZN9rocsparseL41csrgemm_numeric_fill_block_per_row_kernelILj128ELj16ELj256ELj137ELj64ElifEEvT5_PKS1_S3_NS_24const_host_device_scalarIT6_EEPKT4_S3_PKS5_S9_S3_SB_S6_S9_S3_SB_S9_S3_PS5_21rocsparse_index_base_SD_SD_SD_bbb
; %bb.0:
	s_clause 0x2
	s_load_b32 s6, s[0:1], 0x98
	s_load_b64 s[4:5], s[0:1], 0x18
	s_load_b64 s[2:3], s[0:1], 0x50
	s_waitcnt lgkmcnt(0)
	s_bitcmp1_b32 s6, 0
	s_cselect_b32 s14, -1, 0
	s_bitcmp1_b32 s6, 16
	s_cselect_b32 s7, -1, 0
	s_xor_b32 s8, s14, -1
	s_delay_alu instid0(SALU_CYCLE_1) | instskip(NEXT) | instid1(SALU_CYCLE_1)
	s_or_b32 s8, s8, s7
	s_and_b32 vcc_lo, exec_lo, s8
	s_cbranch_vccnz .LBB163_2
; %bb.1:
	s_load_b32 s4, s[4:5], 0x0
	s_waitcnt lgkmcnt(0)
	v_mov_b32_e32 v13, s4
	s_branch .LBB163_3
.LBB163_2:
	v_cndmask_b32_e64 v13, 0, s4, s14
.LBB163_3:
	s_load_b128 s[24:27], s[0:1], 0x88
	s_bitcmp1_b32 s6, 8
	s_cselect_b32 s34, -1, 0
	s_delay_alu instid0(SALU_CYCLE_1) | instskip(NEXT) | instid1(SALU_CYCLE_1)
	s_xor_b32 s4, s34, -1
	s_or_b32 s4, s4, s7
	s_delay_alu instid0(SALU_CYCLE_1)
	s_and_b32 vcc_lo, exec_lo, s4
	s_cbranch_vccnz .LBB163_5
; %bb.4:
	s_load_b32 s2, s[2:3], 0x0
	s_waitcnt lgkmcnt(0)
	v_mov_b32_e32 v11, s2
	s_branch .LBB163_6
.LBB163_5:
	v_cndmask_b32_e64 v11, 0, s2, s34
.LBB163_6:
	s_clause 0x5
	s_load_b64 s[12:13], s[0:1], 0x80
	s_load_b256 s[4:11], s[0:1], 0x58
	s_load_b128 s[28:31], s[0:1], 0x40
	s_load_b256 s[16:23], s[0:1], 0x20
	s_load_b128 s[36:39], s[0:1], 0x8
	s_load_b32 s33, s[0:1], 0x0
	v_cmp_gt_u32_e64 s0, 0x100, v0
	v_or_b32_e32 v9, 0xffffff80, v0
	v_lshl_add_u32 v10, v0, 2, 0
	s_delay_alu instid0(VALU_DEP_3)
	s_and_saveexec_b32 s1, s0
	s_cbranch_execz .LBB163_9
; %bb.7:
	v_or_b32_e32 v1, 0xffffff80, v0
	v_lshl_add_u32 v2, v0, 2, 0
	s_waitcnt lgkmcnt(0)
	v_dual_mov_b32 v3, s33 :: v_dual_mov_b32 v4, 0
	s_mov_b32 s2, 0
.LBB163_8:                              ; =>This Inner Loop Header: Depth=1
	v_add_co_u32 v1, s3, 0x80, v1
	s_delay_alu instid0(VALU_DEP_1) | instskip(SKIP_3) | instid1(SALU_CYCLE_1)
	s_xor_b32 s3, s3, -1
	ds_store_2addr_stride64_b32 v2, v3, v4 offset1:4
	v_add_nc_u32_e32 v2, 0x200, v2
	s_and_b32 s3, exec_lo, s3
	s_or_b32 s2, s3, s2
	s_delay_alu instid0(SALU_CYCLE_1)
	s_and_not1_b32 exec_lo, exec_lo, s2
	s_cbranch_execnz .LBB163_8
.LBB163_9:
	s_or_b32 exec_lo, exec_lo, s1
	s_waitcnt lgkmcnt(0)
	s_barrier
	buffer_gl0_inv
	s_load_b32 s1, s[36:37], 0x0
	s_mov_b32 s3, 0
	v_lshrrev_b32_e32 v12, 4, v0
	s_waitcnt lgkmcnt(0)
	s_add_i32 s2, s1, s15
	s_delay_alu instid0(SALU_CYCLE_1) | instskip(NEXT) | instid1(SALU_CYCLE_1)
	s_lshl_b64 s[2:3], s[2:3], 2
	s_add_u32 s2, s38, s2
	s_addc_u32 s3, s39, s3
	s_and_b32 vcc_lo, exec_lo, s14
	s_load_b32 s2, s[2:3], 0x0
	s_cbranch_vccz .LBB163_29
; %bb.10:
	s_waitcnt lgkmcnt(0)
	s_ashr_i32 s3, s2, 31
	v_sub_co_u32 v1, s1, v12, s24
	s_lshl_b64 s[14:15], s[2:3], 3
	v_sub_co_ci_u32_e64 v2, null, 0, 0, s1
	s_add_u32 s14, s16, s14
	s_addc_u32 s15, s17, s15
	s_mov_b32 s1, exec_lo
	s_load_b128 s[36:39], s[14:15], 0x0
	s_waitcnt lgkmcnt(0)
	v_add_co_u32 v1, vcc_lo, s36, v1
	v_add_co_ci_u32_e32 v2, vcc_lo, s37, v2, vcc_lo
	s_sub_u32 s14, s38, s24
	s_subb_u32 s15, s39, 0
	s_delay_alu instid0(VALU_DEP_1) | instid1(SALU_CYCLE_1)
	v_cmpx_gt_i64_e64 s[14:15], v[1:2]
	s_cbranch_execz .LBB163_28
; %bb.11:
	v_and_b32_e32 v3, 15, v0
	s_mov_b32 s16, s25
	s_delay_alu instid0(VALU_DEP_1) | instskip(NEXT) | instid1(VALU_DEP_1)
	v_sub_co_u32 v14, s3, v3, s25
	v_sub_co_ci_u32_e64 v15, null, 0, 0, s3
	s_mov_b32 s3, 0
	s_branch .LBB163_13
.LBB163_12:                             ;   in Loop: Header=BB163_13 Depth=1
	s_or_b32 exec_lo, exec_lo, s17
	v_add_co_u32 v1, vcc_lo, v1, 8
	v_add_co_ci_u32_e32 v2, vcc_lo, 0, v2, vcc_lo
	s_delay_alu instid0(VALU_DEP_1) | instskip(SKIP_1) | instid1(SALU_CYCLE_1)
	v_cmp_le_i64_e32 vcc_lo, s[14:15], v[1:2]
	s_or_b32 s3, vcc_lo, s3
	s_and_not1_b32 exec_lo, exec_lo, s3
	s_cbranch_execz .LBB163_28
.LBB163_13:                             ; =>This Loop Header: Depth=1
                                        ;     Child Loop BB163_16 Depth 2
                                        ;       Child Loop BB163_18 Depth 3
	v_lshlrev_b64 v[7:8], 2, v[1:2]
	s_mov_b32 s17, exec_lo
	s_delay_alu instid0(VALU_DEP_1) | instskip(NEXT) | instid1(VALU_DEP_2)
	v_add_co_u32 v3, vcc_lo, s18, v7
	v_add_co_ci_u32_e32 v4, vcc_lo, s19, v8, vcc_lo
	global_load_b32 v3, v[3:4], off
	s_waitcnt vmcnt(0)
	v_subrev_nc_u32_e32 v3, s24, v3
	s_delay_alu instid0(VALU_DEP_1) | instskip(NEXT) | instid1(VALU_DEP_1)
	v_ashrrev_i32_e32 v4, 31, v3
	v_lshlrev_b64 v[3:4], 3, v[3:4]
	s_delay_alu instid0(VALU_DEP_1) | instskip(NEXT) | instid1(VALU_DEP_2)
	v_add_co_u32 v3, vcc_lo, s22, v3
	v_add_co_ci_u32_e32 v4, vcc_lo, s23, v4, vcc_lo
	global_load_b128 v[16:19], v[3:4], off
	s_waitcnt vmcnt(0)
	v_sub_co_u32 v3, vcc_lo, v18, s16
	v_subrev_co_ci_u32_e32 v4, vcc_lo, 0, v19, vcc_lo
	v_add_co_u32 v5, vcc_lo, v16, v14
	v_add_co_ci_u32_e32 v6, vcc_lo, v17, v15, vcc_lo
	s_delay_alu instid0(VALU_DEP_1)
	v_cmpx_lt_i64_e64 v[5:6], v[3:4]
	s_cbranch_execz .LBB163_12
; %bb.14:                               ;   in Loop: Header=BB163_13 Depth=1
	v_add_co_u32 v7, vcc_lo, s20, v7
	v_add_co_ci_u32_e32 v8, vcc_lo, s21, v8, vcc_lo
	s_mov_b32 s35, 0
	global_load_b32 v7, v[7:8], off
	s_waitcnt vmcnt(0)
	v_mul_f32_e32 v7, v13, v7
	s_branch .LBB163_16
.LBB163_15:                             ;   in Loop: Header=BB163_16 Depth=2
	s_or_b32 exec_lo, exec_lo, s36
	v_add_co_u32 v5, vcc_lo, v5, 16
	v_add_co_ci_u32_e32 v6, vcc_lo, 0, v6, vcc_lo
	s_delay_alu instid0(VALU_DEP_1) | instskip(SKIP_1) | instid1(SALU_CYCLE_1)
	v_cmp_ge_i64_e32 vcc_lo, v[5:6], v[3:4]
	s_or_b32 s35, vcc_lo, s35
	s_and_not1_b32 exec_lo, exec_lo, s35
	s_cbranch_execz .LBB163_12
.LBB163_16:                             ;   Parent Loop BB163_13 Depth=1
                                        ; =>  This Loop Header: Depth=2
                                        ;       Child Loop BB163_18 Depth 3
	v_lshlrev_b64 v[16:17], 2, v[5:6]
	s_mov_b32 s36, 0
	s_delay_alu instid0(VALU_DEP_1) | instskip(NEXT) | instid1(VALU_DEP_2)
	v_add_co_u32 v18, vcc_lo, s28, v16
	v_add_co_ci_u32_e32 v19, vcc_lo, s29, v17, vcc_lo
	v_add_co_u32 v16, vcc_lo, s30, v16
	v_add_co_ci_u32_e32 v17, vcc_lo, s31, v17, vcc_lo
	global_load_b32 v8, v[18:19], off
	global_load_b32 v16, v[16:17], off
	s_waitcnt vmcnt(1)
	v_subrev_nc_u32_e32 v8, s25, v8
	s_delay_alu instid0(VALU_DEP_1) | instskip(SKIP_1) | instid1(VALU_DEP_1)
	v_mul_lo_u32 v17, 0x89, v8
	s_waitcnt vmcnt(0)
	v_dual_mul_f32 v16, v7, v16 :: v_dual_and_b32 v17, 0xff, v17
	s_branch .LBB163_18
.LBB163_17:                             ;   in Loop: Header=BB163_18 Depth=3
	s_or_b32 exec_lo, exec_lo, s37
	s_xor_b32 s37, s38, -1
	s_delay_alu instid0(SALU_CYCLE_1) | instskip(NEXT) | instid1(SALU_CYCLE_1)
	s_and_b32 s37, exec_lo, s37
	s_or_b32 s36, s37, s36
	s_delay_alu instid0(SALU_CYCLE_1)
	s_and_not1_b32 exec_lo, exec_lo, s36
	s_cbranch_execz .LBB163_15
.LBB163_18:                             ;   Parent Loop BB163_13 Depth=1
                                        ;     Parent Loop BB163_16 Depth=2
                                        ; =>    This Inner Loop Header: Depth=3
	s_delay_alu instid0(VALU_DEP_1)
	v_lshl_add_u32 v18, v17, 2, 0
	s_mov_b32 s37, exec_lo
                                        ; implicit-def: $sgpr38
	ds_load_b32 v19, v18
	s_waitcnt lgkmcnt(0)
	v_cmpx_ne_u32_e64 v19, v8
	s_xor_b32 s37, exec_lo, s37
	s_cbranch_execz .LBB163_26
; %bb.19:                               ;   in Loop: Header=BB163_18 Depth=3
	s_mov_b32 s39, exec_lo
                                        ; implicit-def: $sgpr38
	v_cmpx_ne_u32_e64 s33, v19
	s_xor_b32 s39, exec_lo, s39
; %bb.20:                               ;   in Loop: Header=BB163_18 Depth=3
	v_add_nc_u32_e32 v17, 1, v17
	s_mov_b32 s38, -1
                                        ; implicit-def: $vgpr18
	s_delay_alu instid0(VALU_DEP_1)
	v_and_b32_e32 v17, 0xff, v17
; %bb.21:                               ;   in Loop: Header=BB163_18 Depth=3
	s_and_not1_saveexec_b32 s39, s39
	s_cbranch_execz .LBB163_25
; %bb.22:                               ;   in Loop: Header=BB163_18 Depth=3
	v_mov_b32_e32 v19, s33
	s_mov_b32 s40, -1
	s_mov_b32 s41, exec_lo
	ds_cmpstore_rtn_b32 v19, v18, v8, v19
	s_waitcnt lgkmcnt(0)
	v_cmpx_eq_u32_e64 s33, v19
	s_cbranch_execz .LBB163_24
; %bb.23:                               ;   in Loop: Header=BB163_18 Depth=3
	ds_add_f32 v18, v16 offset:1024
	s_xor_b32 s40, exec_lo, -1
.LBB163_24:                             ;   in Loop: Header=BB163_18 Depth=3
	s_or_b32 exec_lo, exec_lo, s41
	s_delay_alu instid0(SALU_CYCLE_1) | instskip(SKIP_1) | instid1(SALU_CYCLE_1)
	s_and_not1_b32 s38, s38, exec_lo
	s_and_b32 s40, s40, exec_lo
	s_or_b32 s38, s38, s40
.LBB163_25:                             ;   in Loop: Header=BB163_18 Depth=3
	s_or_b32 exec_lo, exec_lo, s39
	s_delay_alu instid0(SALU_CYCLE_1)
	s_and_b32 s38, s38, exec_lo
                                        ; implicit-def: $vgpr18
.LBB163_26:                             ;   in Loop: Header=BB163_18 Depth=3
	s_and_not1_saveexec_b32 s37, s37
	s_cbranch_execz .LBB163_17
; %bb.27:                               ;   in Loop: Header=BB163_18 Depth=3
	ds_add_f32 v18, v16 offset:1024
	s_and_not1_b32 s38, s38, exec_lo
	s_branch .LBB163_17
.LBB163_28:
	s_or_b32 exec_lo, exec_lo, s1
.LBB163_29:
	s_delay_alu instid0(SALU_CYCLE_1)
	s_and_not1_b32 vcc_lo, exec_lo, s34
	s_cbranch_vccnz .LBB163_32
; %bb.30:
	s_waitcnt lgkmcnt(0)
	s_ashr_i32 s3, s2, 31
	v_sub_co_u32 v1, s1, v0, s27
	s_lshl_b64 s[14:15], s[2:3], 3
	v_sub_co_ci_u32_e64 v2, null, 0, 0, s1
	s_add_u32 s4, s4, s14
	s_addc_u32 s5, s5, s15
	s_mov_b32 s3, 0
	s_load_b128 s[16:19], s[4:5], 0x0
	s_mov_b32 s1, exec_lo
	s_waitcnt lgkmcnt(0)
	v_add_co_u32 v1, vcc_lo, s16, v1
	v_add_co_ci_u32_e32 v2, vcc_lo, s17, v2, vcc_lo
	s_sub_u32 s4, s18, s27
	s_subb_u32 s5, s19, 0
	s_delay_alu instid0(VALU_DEP_1) | instid1(SALU_CYCLE_1)
	v_cmpx_gt_i64_e64 s[4:5], v[1:2]
	s_cbranch_execnz .LBB163_42
.LBB163_31:
	s_or_b32 exec_lo, exec_lo, s1
.LBB163_32:
	s_waitcnt lgkmcnt(0)
	s_barrier
	buffer_gl0_inv
	s_and_saveexec_b32 s3, s0
	s_cbranch_execz .LBB163_54
; %bb.33:
	v_mbcnt_lo_u32_b32 v1, -1, 0
	v_dual_mov_b32 v5, 0 :: v_dual_and_b32 v2, 4, v12
	v_cmp_lt_u32_e32 vcc_lo, 63, v0
	v_cmp_eq_u32_e64 s0, 0x7f, v0
	s_delay_alu instid0(VALU_DEP_4) | instskip(NEXT) | instid1(VALU_DEP_4)
	v_xor_b32_e32 v1, 63, v1
	v_add_nc_u32_e32 v4, 0, v2
	v_mov_b32_e32 v6, 0
	s_mov_b32 s4, 0
	s_delay_alu instid0(VALU_DEP_3)
	v_lshrrev_b64 v[1:2], v1, -1
	s_branch .LBB163_35
.LBB163_34:                             ;   in Loop: Header=BB163_35 Depth=1
	s_or_b32 exec_lo, exec_lo, s1
	s_waitcnt lgkmcnt(0)
	s_barrier
	buffer_gl0_inv
	ds_load_b32 v2, v5 offset:2052
	v_add_co_u32 v9, s1, 0x80, v9
	s_delay_alu instid0(VALU_DEP_1) | instskip(SKIP_2) | instid1(SALU_CYCLE_1)
	s_xor_b32 s1, s1, -1
	v_add_nc_u32_e32 v10, 0x200, v10
	s_and_b32 s1, exec_lo, s1
	s_or_b32 s4, s1, s4
	s_waitcnt lgkmcnt(0)
	v_add_nc_u32_e32 v6, v2, v6
	s_and_not1_b32 exec_lo, exec_lo, s4
	s_cbranch_execz .LBB163_54
.LBB163_35:                             ; =>This Inner Loop Header: Depth=1
	ds_load_2addr_stride64_b32 v[2:3], v10 offset1:4
	s_waitcnt lgkmcnt(0)
	s_barrier
	buffer_gl0_inv
	v_cmp_gt_i32_e64 s1, s33, v2
	s_delay_alu instid0(VALU_DEP_1) | instskip(NEXT) | instid1(SALU_CYCLE_1)
	s_bcnt1_i32_b32 s5, s1
	v_dual_mov_b32 v8, s5 :: v_dual_and_b32 v7, s1, v1
	s_delay_alu instid0(VALU_DEP_1)
	v_bcnt_u32_b32 v7, v7, 0
	ds_store_b32 v4, v8 offset:2048
	s_waitcnt lgkmcnt(0)
	s_barrier
	buffer_gl0_inv
	s_and_saveexec_b32 s5, vcc_lo
	s_cbranch_execnz .LBB163_38
; %bb.36:                               ;   in Loop: Header=BB163_35 Depth=1
	s_or_b32 exec_lo, exec_lo, s5
	s_and_saveexec_b32 s5, s1
	s_cbranch_execnz .LBB163_39
.LBB163_37:                             ;   in Loop: Header=BB163_35 Depth=1
	s_or_b32 exec_lo, exec_lo, s5
	s_and_saveexec_b32 s1, s0
	s_cbranch_execz .LBB163_34
	s_branch .LBB163_40
.LBB163_38:                             ;   in Loop: Header=BB163_35 Depth=1
	ds_load_b32 v8, v5 offset:2048
	s_waitcnt lgkmcnt(0)
	v_add_nc_u32_e32 v7, v8, v7
	s_or_b32 exec_lo, exec_lo, s5
	s_and_saveexec_b32 s5, s1
	s_cbranch_execz .LBB163_37
.LBB163_39:                             ;   in Loop: Header=BB163_35 Depth=1
	s_delay_alu instid0(VALU_DEP_1) | instskip(NEXT) | instid1(VALU_DEP_1)
	v_add3_u32 v8, v6, -1, v7
	v_lshl_add_u32 v8, v8, 2, 0
	ds_store_2addr_stride64_b32 v8, v2, v3 offset1:4
	s_or_b32 exec_lo, exec_lo, s5
	s_and_saveexec_b32 s1, s0
	s_cbranch_execz .LBB163_34
.LBB163_40:                             ;   in Loop: Header=BB163_35 Depth=1
	ds_store_b32 v5, v7 offset:2052
	s_branch .LBB163_34
.LBB163_41:                             ;   in Loop: Header=BB163_42 Depth=1
	s_or_b32 exec_lo, exec_lo, s14
	v_add_co_u32 v1, vcc_lo, 0x80, v1
	v_add_co_ci_u32_e32 v2, vcc_lo, 0, v2, vcc_lo
	s_delay_alu instid0(VALU_DEP_1) | instskip(SKIP_1) | instid1(SALU_CYCLE_1)
	v_cmp_le_i64_e32 vcc_lo, s[4:5], v[1:2]
	s_or_b32 s3, vcc_lo, s3
	s_and_not1_b32 exec_lo, exec_lo, s3
	s_cbranch_execz .LBB163_31
.LBB163_42:                             ; =>This Loop Header: Depth=1
                                        ;     Child Loop BB163_44 Depth 2
	v_lshlrev_b64 v[3:4], 2, v[1:2]
	s_mov_b32 s14, 0
	s_delay_alu instid0(VALU_DEP_1) | instskip(NEXT) | instid1(VALU_DEP_2)
	v_add_co_u32 v5, vcc_lo, s6, v3
	v_add_co_ci_u32_e32 v6, vcc_lo, s7, v4, vcc_lo
	v_add_co_u32 v3, vcc_lo, s8, v3
	v_add_co_ci_u32_e32 v4, vcc_lo, s9, v4, vcc_lo
	global_load_b32 v5, v[5:6], off
	global_load_b32 v4, v[3:4], off
	s_waitcnt vmcnt(1)
	v_subrev_nc_u32_e32 v3, s27, v5
	s_delay_alu instid0(VALU_DEP_1) | instskip(SKIP_1) | instid1(VALU_DEP_1)
	v_mul_lo_u32 v5, 0x89, v3
	s_waitcnt vmcnt(0)
	v_dual_mul_f32 v4, v11, v4 :: v_dual_and_b32 v5, 0xff, v5
	s_branch .LBB163_44
.LBB163_43:                             ;   in Loop: Header=BB163_44 Depth=2
	s_or_b32 exec_lo, exec_lo, s15
	s_xor_b32 s15, s16, -1
	s_delay_alu instid0(SALU_CYCLE_1) | instskip(NEXT) | instid1(SALU_CYCLE_1)
	s_and_b32 s15, exec_lo, s15
	s_or_b32 s14, s15, s14
	s_delay_alu instid0(SALU_CYCLE_1)
	s_and_not1_b32 exec_lo, exec_lo, s14
	s_cbranch_execz .LBB163_41
.LBB163_44:                             ;   Parent Loop BB163_42 Depth=1
                                        ; =>  This Inner Loop Header: Depth=2
	s_delay_alu instid0(VALU_DEP_1)
	v_lshl_add_u32 v6, v5, 2, 0
	s_mov_b32 s15, exec_lo
                                        ; implicit-def: $sgpr16
	ds_load_b32 v7, v6
	s_waitcnt lgkmcnt(0)
	v_cmpx_ne_u32_e64 v7, v3
	s_xor_b32 s15, exec_lo, s15
	s_cbranch_execz .LBB163_52
; %bb.45:                               ;   in Loop: Header=BB163_44 Depth=2
	s_mov_b32 s17, exec_lo
                                        ; implicit-def: $sgpr16
	v_cmpx_ne_u32_e64 s33, v7
	s_xor_b32 s17, exec_lo, s17
; %bb.46:                               ;   in Loop: Header=BB163_44 Depth=2
	v_add_nc_u32_e32 v5, 1, v5
	s_mov_b32 s16, -1
                                        ; implicit-def: $vgpr6
	s_delay_alu instid0(VALU_DEP_1)
	v_and_b32_e32 v5, 0xff, v5
; %bb.47:                               ;   in Loop: Header=BB163_44 Depth=2
	s_and_not1_saveexec_b32 s17, s17
	s_cbranch_execz .LBB163_51
; %bb.48:                               ;   in Loop: Header=BB163_44 Depth=2
	v_mov_b32_e32 v7, s33
	s_mov_b32 s18, -1
	s_mov_b32 s19, exec_lo
	ds_cmpstore_rtn_b32 v7, v6, v3, v7
	s_waitcnt lgkmcnt(0)
	v_cmpx_eq_u32_e64 s33, v7
	s_cbranch_execz .LBB163_50
; %bb.49:                               ;   in Loop: Header=BB163_44 Depth=2
	ds_add_f32 v6, v4 offset:1024
	s_xor_b32 s18, exec_lo, -1
.LBB163_50:                             ;   in Loop: Header=BB163_44 Depth=2
	s_or_b32 exec_lo, exec_lo, s19
	s_delay_alu instid0(SALU_CYCLE_1) | instskip(SKIP_1) | instid1(SALU_CYCLE_1)
	s_and_not1_b32 s16, s16, exec_lo
	s_and_b32 s18, s18, exec_lo
	s_or_b32 s16, s16, s18
.LBB163_51:                             ;   in Loop: Header=BB163_44 Depth=2
	s_or_b32 exec_lo, exec_lo, s17
	s_delay_alu instid0(SALU_CYCLE_1)
	s_and_b32 s16, s16, exec_lo
                                        ; implicit-def: $vgpr6
.LBB163_52:                             ;   in Loop: Header=BB163_44 Depth=2
	s_and_not1_saveexec_b32 s15, s15
	s_cbranch_execz .LBB163_43
; %bb.53:                               ;   in Loop: Header=BB163_44 Depth=2
	ds_add_f32 v6, v4 offset:1024
	s_and_not1_b32 s16, s16, exec_lo
	s_branch .LBB163_43
.LBB163_54:
	s_or_b32 exec_lo, exec_lo, s3
	s_ashr_i32 s3, s2, 31
	s_mov_b32 s4, exec_lo
	s_lshl_b64 s[0:1], s[2:3], 3
	s_delay_alu instid0(SALU_CYCLE_1) | instskip(SKIP_4) | instid1(SALU_CYCLE_1)
	s_add_u32 s0, s10, s0
	s_addc_u32 s1, s11, s1
	s_load_b128 s[0:3], s[0:1], 0x0
	s_waitcnt lgkmcnt(0)
	s_sub_i32 s3, s2, s0
	v_cmpx_gt_i32_e64 s3, v0
	s_cbranch_execz .LBB163_64
; %bb.55:
	s_sub_u32 s4, s0, s26
	s_subb_u32 s5, s1, 0
	s_sub_i32 s0, s0, s2
	s_and_b32 s1, s3, 7
	s_cmp_lt_u32 s0, -7
	s_mov_b32 s8, 0
	s_cselect_b32 s2, -1, 0
	s_and_b32 s6, s3, -8
	s_cmp_lg_u32 s1, 0
	s_cselect_b32 s7, -1, 0
	s_branch .LBB163_57
.LBB163_56:                             ;   in Loop: Header=BB163_57 Depth=1
	s_delay_alu instid0(VALU_DEP_1) | instskip(SKIP_1) | instid1(VALU_DEP_1)
	v_lshlrev_b64 v[3:4], 2, v[3:4]
	v_add_nc_u32_e32 v0, 0x80, v0
	v_cmp_le_i32_e32 vcc_lo, s3, v0
	s_delay_alu instid0(VALU_DEP_3) | instskip(NEXT) | instid1(VALU_DEP_1)
	v_add_co_u32 v3, s0, s12, v3
	v_add_co_ci_u32_e64 v4, s0, s13, v4, s0
	s_or_b32 s8, vcc_lo, s8
	s_waitcnt lgkmcnt(0)
	global_store_b32 v[3:4], v2, off
	s_and_not1_b32 exec_lo, exec_lo, s8
	s_cbranch_execz .LBB163_64
.LBB163_57:                             ; =>This Loop Header: Depth=1
                                        ;     Child Loop BB163_59 Depth 2
                                        ;     Child Loop BB163_63 Depth 2
	v_lshl_add_u32 v1, v0, 2, 0
	v_dual_mov_b32 v3, s4 :: v_dual_mov_b32 v4, s5
	s_and_not1_b32 vcc_lo, exec_lo, s2
	s_mov_b32 s0, 0
	ds_load_2addr_stride64_b32 v[1:2], v1 offset1:4
	s_cbranch_vccnz .LBB163_61
; %bb.58:                               ;   in Loop: Header=BB163_57 Depth=1
	v_dual_mov_b32 v3, s4 :: v_dual_mov_b32 v4, s5
	s_mov_b32 s9, 0
	s_mov_b32 s10, 0
.LBB163_59:                             ;   Parent Loop BB163_57 Depth=1
                                        ; =>  This Inner Loop Header: Depth=2
	s_delay_alu instid0(SALU_CYCLE_1)
	v_mov_b32_e32 v11, s10
	s_add_i32 s9, s9, 8
	s_add_i32 s10, s10, 32
	s_cmp_eq_u32 s6, s9
	ds_load_2addr_b32 v[5:6], v11 offset1:1
	ds_load_2addr_b32 v[7:8], v11 offset0:2 offset1:3
	ds_load_2addr_b32 v[9:10], v11 offset0:4 offset1:5
	;; [unrolled: 1-line block ×3, first 2 shown]
	s_waitcnt lgkmcnt(3)
	v_cmp_gt_i32_e32 vcc_lo, v1, v5
	v_cndmask_b32_e64 v5, 0, 1, vcc_lo
	v_cmp_gt_i32_e32 vcc_lo, v1, v6
	v_cndmask_b32_e64 v6, 0, 1, vcc_lo
	s_waitcnt lgkmcnt(2)
	v_cmp_gt_i32_e32 vcc_lo, v1, v7
	v_cndmask_b32_e64 v7, 0, 1, vcc_lo
	v_cmp_gt_i32_e32 vcc_lo, v1, v8
	v_cndmask_b32_e64 v8, 0, 1, vcc_lo
	s_waitcnt lgkmcnt(1)
	v_cmp_gt_i32_e32 vcc_lo, v1, v9
	v_cndmask_b32_e64 v9, 0, 1, vcc_lo
	v_add_co_u32 v3, vcc_lo, v3, v5
	v_add_co_ci_u32_e32 v4, vcc_lo, 0, v4, vcc_lo
	v_cmp_gt_i32_e32 vcc_lo, v1, v10
	s_delay_alu instid0(VALU_DEP_3) | instskip(NEXT) | instid1(VALU_DEP_1)
	v_add_co_u32 v3, s0, v3, v6
	v_add_co_ci_u32_e64 v4, s0, 0, v4, s0
	v_cndmask_b32_e64 v5, 0, 1, vcc_lo
	s_delay_alu instid0(VALU_DEP_3) | instskip(NEXT) | instid1(VALU_DEP_3)
	v_add_co_u32 v3, vcc_lo, v3, v7
	v_add_co_ci_u32_e32 v4, vcc_lo, 0, v4, vcc_lo
	s_waitcnt lgkmcnt(0)
	v_cmp_gt_i32_e32 vcc_lo, v1, v11
	s_delay_alu instid0(VALU_DEP_3) | instskip(NEXT) | instid1(VALU_DEP_1)
	v_add_co_u32 v3, s0, v3, v8
	v_add_co_ci_u32_e64 v4, s0, 0, v4, s0
	v_cndmask_b32_e64 v6, 0, 1, vcc_lo
	s_delay_alu instid0(VALU_DEP_3) | instskip(NEXT) | instid1(VALU_DEP_3)
	v_add_co_u32 v3, vcc_lo, v3, v9
	v_add_co_ci_u32_e32 v4, vcc_lo, 0, v4, vcc_lo
	v_cmp_gt_i32_e32 vcc_lo, v1, v12
	s_delay_alu instid0(VALU_DEP_3) | instskip(NEXT) | instid1(VALU_DEP_1)
	v_add_co_u32 v3, s0, v3, v5
	v_add_co_ci_u32_e64 v4, s0, 0, v4, s0
	v_cndmask_b32_e64 v5, 0, 1, vcc_lo
	s_delay_alu instid0(VALU_DEP_3) | instskip(NEXT) | instid1(VALU_DEP_3)
	v_add_co_u32 v3, vcc_lo, v3, v6
	v_add_co_ci_u32_e32 v4, vcc_lo, 0, v4, vcc_lo
	s_delay_alu instid0(VALU_DEP_2) | instskip(NEXT) | instid1(VALU_DEP_2)
	v_add_co_u32 v3, vcc_lo, v3, v5
	v_add_co_ci_u32_e32 v4, vcc_lo, 0, v4, vcc_lo
	s_cbranch_scc0 .LBB163_59
; %bb.60:                               ;   in Loop: Header=BB163_57 Depth=1
	s_mov_b32 s0, s6
.LBB163_61:                             ;   in Loop: Header=BB163_57 Depth=1
	s_and_not1_b32 vcc_lo, exec_lo, s7
	s_cbranch_vccnz .LBB163_56
; %bb.62:                               ;   in Loop: Header=BB163_57 Depth=1
	s_lshl_b32 s0, s0, 2
	s_mov_b32 s9, s1
	s_add_i32 s0, s0, 0
.LBB163_63:                             ;   Parent Loop BB163_57 Depth=1
                                        ; =>  This Inner Loop Header: Depth=2
	s_delay_alu instid0(SALU_CYCLE_1)
	v_mov_b32_e32 v5, s0
	s_add_i32 s9, s9, -1
	s_add_i32 s0, s0, 4
	s_cmp_lg_u32 s9, 0
	ds_load_b32 v5, v5
	s_waitcnt lgkmcnt(0)
	v_cmp_gt_i32_e32 vcc_lo, v1, v5
	v_cndmask_b32_e64 v5, 0, 1, vcc_lo
	s_delay_alu instid0(VALU_DEP_1)
	v_add_co_u32 v3, vcc_lo, v3, v5
	v_add_co_ci_u32_e32 v4, vcc_lo, 0, v4, vcc_lo
	s_cbranch_scc1 .LBB163_63
	s_branch .LBB163_56
.LBB163_64:
	s_nop 0
	s_sendmsg sendmsg(MSG_DEALLOC_VGPRS)
	s_endpgm
	.section	.rodata,"a",@progbits
	.p2align	6, 0x0
	.amdhsa_kernel _ZN9rocsparseL41csrgemm_numeric_fill_block_per_row_kernelILj128ELj16ELj256ELj137ELj64ElifEEvT5_PKS1_S3_NS_24const_host_device_scalarIT6_EEPKT4_S3_PKS5_S9_S3_SB_S6_S9_S3_SB_S9_S3_PS5_21rocsparse_index_base_SD_SD_SD_bbb
		.amdhsa_group_segment_fixed_size 0
		.amdhsa_private_segment_fixed_size 0
		.amdhsa_kernarg_size 156
		.amdhsa_user_sgpr_count 15
		.amdhsa_user_sgpr_dispatch_ptr 0
		.amdhsa_user_sgpr_queue_ptr 0
		.amdhsa_user_sgpr_kernarg_segment_ptr 1
		.amdhsa_user_sgpr_dispatch_id 0
		.amdhsa_user_sgpr_private_segment_size 0
		.amdhsa_wavefront_size32 1
		.amdhsa_uses_dynamic_stack 0
		.amdhsa_enable_private_segment 0
		.amdhsa_system_sgpr_workgroup_id_x 1
		.amdhsa_system_sgpr_workgroup_id_y 0
		.amdhsa_system_sgpr_workgroup_id_z 0
		.amdhsa_system_sgpr_workgroup_info 0
		.amdhsa_system_vgpr_workitem_id 0
		.amdhsa_next_free_vgpr 20
		.amdhsa_next_free_sgpr 42
		.amdhsa_reserve_vcc 1
		.amdhsa_float_round_mode_32 0
		.amdhsa_float_round_mode_16_64 0
		.amdhsa_float_denorm_mode_32 3
		.amdhsa_float_denorm_mode_16_64 3
		.amdhsa_dx10_clamp 1
		.amdhsa_ieee_mode 1
		.amdhsa_fp16_overflow 0
		.amdhsa_workgroup_processor_mode 1
		.amdhsa_memory_ordered 1
		.amdhsa_forward_progress 0
		.amdhsa_shared_vgpr_count 0
		.amdhsa_exception_fp_ieee_invalid_op 0
		.amdhsa_exception_fp_denorm_src 0
		.amdhsa_exception_fp_ieee_div_zero 0
		.amdhsa_exception_fp_ieee_overflow 0
		.amdhsa_exception_fp_ieee_underflow 0
		.amdhsa_exception_fp_ieee_inexact 0
		.amdhsa_exception_int_div_zero 0
	.end_amdhsa_kernel
	.section	.text._ZN9rocsparseL41csrgemm_numeric_fill_block_per_row_kernelILj128ELj16ELj256ELj137ELj64ElifEEvT5_PKS1_S3_NS_24const_host_device_scalarIT6_EEPKT4_S3_PKS5_S9_S3_SB_S6_S9_S3_SB_S9_S3_PS5_21rocsparse_index_base_SD_SD_SD_bbb,"axG",@progbits,_ZN9rocsparseL41csrgemm_numeric_fill_block_per_row_kernelILj128ELj16ELj256ELj137ELj64ElifEEvT5_PKS1_S3_NS_24const_host_device_scalarIT6_EEPKT4_S3_PKS5_S9_S3_SB_S6_S9_S3_SB_S9_S3_PS5_21rocsparse_index_base_SD_SD_SD_bbb,comdat
.Lfunc_end163:
	.size	_ZN9rocsparseL41csrgemm_numeric_fill_block_per_row_kernelILj128ELj16ELj256ELj137ELj64ElifEEvT5_PKS1_S3_NS_24const_host_device_scalarIT6_EEPKT4_S3_PKS5_S9_S3_SB_S6_S9_S3_SB_S9_S3_PS5_21rocsparse_index_base_SD_SD_SD_bbb, .Lfunc_end163-_ZN9rocsparseL41csrgemm_numeric_fill_block_per_row_kernelILj128ELj16ELj256ELj137ELj64ElifEEvT5_PKS1_S3_NS_24const_host_device_scalarIT6_EEPKT4_S3_PKS5_S9_S3_SB_S6_S9_S3_SB_S9_S3_PS5_21rocsparse_index_base_SD_SD_SD_bbb
                                        ; -- End function
	.section	.AMDGPU.csdata,"",@progbits
; Kernel info:
; codeLenInByte = 2580
; NumSgprs: 44
; NumVgprs: 20
; ScratchSize: 0
; MemoryBound: 0
; FloatMode: 240
; IeeeMode: 1
; LDSByteSize: 0 bytes/workgroup (compile time only)
; SGPRBlocks: 5
; VGPRBlocks: 2
; NumSGPRsForWavesPerEU: 44
; NumVGPRsForWavesPerEU: 20
; Occupancy: 16
; WaveLimiterHint : 1
; COMPUTE_PGM_RSRC2:SCRATCH_EN: 0
; COMPUTE_PGM_RSRC2:USER_SGPR: 15
; COMPUTE_PGM_RSRC2:TRAP_HANDLER: 0
; COMPUTE_PGM_RSRC2:TGID_X_EN: 1
; COMPUTE_PGM_RSRC2:TGID_Y_EN: 0
; COMPUTE_PGM_RSRC2:TGID_Z_EN: 0
; COMPUTE_PGM_RSRC2:TIDIG_COMP_CNT: 0
	.section	.text._ZN9rocsparseL41csrgemm_numeric_fill_block_per_row_kernelILj256ELj32ELj512ELj137ELj32ElifEEvT5_PKS1_S3_NS_24const_host_device_scalarIT6_EEPKT4_S3_PKS5_S9_S3_SB_S6_S9_S3_SB_S9_S3_PS5_21rocsparse_index_base_SD_SD_SD_bbb,"axG",@progbits,_ZN9rocsparseL41csrgemm_numeric_fill_block_per_row_kernelILj256ELj32ELj512ELj137ELj32ElifEEvT5_PKS1_S3_NS_24const_host_device_scalarIT6_EEPKT4_S3_PKS5_S9_S3_SB_S6_S9_S3_SB_S9_S3_PS5_21rocsparse_index_base_SD_SD_SD_bbb,comdat
	.globl	_ZN9rocsparseL41csrgemm_numeric_fill_block_per_row_kernelILj256ELj32ELj512ELj137ELj32ElifEEvT5_PKS1_S3_NS_24const_host_device_scalarIT6_EEPKT4_S3_PKS5_S9_S3_SB_S6_S9_S3_SB_S9_S3_PS5_21rocsparse_index_base_SD_SD_SD_bbb ; -- Begin function _ZN9rocsparseL41csrgemm_numeric_fill_block_per_row_kernelILj256ELj32ELj512ELj137ELj32ElifEEvT5_PKS1_S3_NS_24const_host_device_scalarIT6_EEPKT4_S3_PKS5_S9_S3_SB_S6_S9_S3_SB_S9_S3_PS5_21rocsparse_index_base_SD_SD_SD_bbb
	.p2align	8
	.type	_ZN9rocsparseL41csrgemm_numeric_fill_block_per_row_kernelILj256ELj32ELj512ELj137ELj32ElifEEvT5_PKS1_S3_NS_24const_host_device_scalarIT6_EEPKT4_S3_PKS5_S9_S3_SB_S6_S9_S3_SB_S9_S3_PS5_21rocsparse_index_base_SD_SD_SD_bbb,@function
_ZN9rocsparseL41csrgemm_numeric_fill_block_per_row_kernelILj256ELj32ELj512ELj137ELj32ElifEEvT5_PKS1_S3_NS_24const_host_device_scalarIT6_EEPKT4_S3_PKS5_S9_S3_SB_S6_S9_S3_SB_S9_S3_PS5_21rocsparse_index_base_SD_SD_SD_bbb: ; @_ZN9rocsparseL41csrgemm_numeric_fill_block_per_row_kernelILj256ELj32ELj512ELj137ELj32ElifEEvT5_PKS1_S3_NS_24const_host_device_scalarIT6_EEPKT4_S3_PKS5_S9_S3_SB_S6_S9_S3_SB_S9_S3_PS5_21rocsparse_index_base_SD_SD_SD_bbb
; %bb.0:
	s_clause 0x2
	s_load_b32 s6, s[0:1], 0x98
	s_load_b64 s[4:5], s[0:1], 0x18
	s_load_b64 s[2:3], s[0:1], 0x50
	s_waitcnt lgkmcnt(0)
	s_bitcmp1_b32 s6, 0
	s_cselect_b32 s35, -1, 0
	s_bitcmp1_b32 s6, 16
	s_cselect_b32 s7, -1, 0
	s_xor_b32 s8, s35, -1
	s_delay_alu instid0(SALU_CYCLE_1) | instskip(NEXT) | instid1(SALU_CYCLE_1)
	s_or_b32 s8, s8, s7
	s_and_b32 vcc_lo, exec_lo, s8
	s_cbranch_vccnz .LBB164_2
; %bb.1:
	s_load_b32 s4, s[4:5], 0x0
	s_waitcnt lgkmcnt(0)
	v_mov_b32_e32 v13, s4
	s_branch .LBB164_3
.LBB164_2:
	v_cndmask_b32_e64 v13, 0, s4, s35
.LBB164_3:
	s_load_b128 s[24:27], s[0:1], 0x88
	s_bitcmp1_b32 s6, 8
	s_cselect_b32 s34, -1, 0
	s_delay_alu instid0(SALU_CYCLE_1) | instskip(NEXT) | instid1(SALU_CYCLE_1)
	s_xor_b32 s4, s34, -1
	s_or_b32 s4, s4, s7
	s_delay_alu instid0(SALU_CYCLE_1)
	s_and_b32 vcc_lo, exec_lo, s4
	s_cbranch_vccnz .LBB164_5
; %bb.4:
	s_load_b32 s2, s[2:3], 0x0
	s_waitcnt lgkmcnt(0)
	v_mov_b32_e32 v11, s2
	s_branch .LBB164_6
.LBB164_5:
	v_cndmask_b32_e64 v11, 0, s2, s34
.LBB164_6:
	s_clause 0x5
	s_load_b64 s[12:13], s[0:1], 0x80
	s_load_b256 s[4:11], s[0:1], 0x58
	s_load_b128 s[28:31], s[0:1], 0x40
	s_load_b256 s[16:23], s[0:1], 0x20
	s_load_b128 s[36:39], s[0:1], 0x8
	s_load_b32 s33, s[0:1], 0x0
	v_cmp_gt_u32_e64 s0, 0x200, v0
	v_or_b32_e32 v9, 0xffffff00, v0
	v_lshl_add_u32 v10, v0, 2, 0
	s_delay_alu instid0(VALU_DEP_3)
	s_and_saveexec_b32 s1, s0
	s_cbranch_execz .LBB164_9
; %bb.7:
	v_or_b32_e32 v1, 0xffffff00, v0
	v_lshl_add_u32 v2, v0, 2, 0
	s_waitcnt lgkmcnt(0)
	v_dual_mov_b32 v3, s33 :: v_dual_mov_b32 v4, 0
	s_mov_b32 s2, 0
.LBB164_8:                              ; =>This Inner Loop Header: Depth=1
	v_add_co_u32 v1, s3, 0x100, v1
	s_delay_alu instid0(VALU_DEP_1) | instskip(SKIP_3) | instid1(SALU_CYCLE_1)
	s_xor_b32 s3, s3, -1
	ds_store_2addr_stride64_b32 v2, v3, v4 offset1:8
	v_add_nc_u32_e32 v2, 0x400, v2
	s_and_b32 s3, exec_lo, s3
	s_or_b32 s2, s3, s2
	s_delay_alu instid0(SALU_CYCLE_1)
	s_and_not1_b32 exec_lo, exec_lo, s2
	s_cbranch_execnz .LBB164_8
.LBB164_9:
	s_or_b32 exec_lo, exec_lo, s1
	s_waitcnt lgkmcnt(0)
	s_barrier
	buffer_gl0_inv
	s_load_b32 s1, s[36:37], 0x0
	s_mov_b32 s3, 0
	v_lshrrev_b32_e32 v12, 5, v0
	s_waitcnt lgkmcnt(0)
	s_add_i32 s2, s1, s15
	s_delay_alu instid0(SALU_CYCLE_1) | instskip(NEXT) | instid1(SALU_CYCLE_1)
	s_lshl_b64 s[2:3], s[2:3], 2
	s_add_u32 s2, s38, s2
	s_addc_u32 s3, s39, s3
	s_and_b32 vcc_lo, exec_lo, s35
	s_load_b32 s14, s[2:3], 0x0
	s_cbranch_vccz .LBB164_29
; %bb.10:
	s_waitcnt lgkmcnt(0)
	s_ashr_i32 s15, s14, 31
	v_sub_co_u32 v1, s1, v12, s24
	s_lshl_b64 s[2:3], s[14:15], 3
	v_sub_co_ci_u32_e64 v2, null, 0, 0, s1
	s_add_u32 s2, s16, s2
	s_addc_u32 s3, s17, s3
	s_mov_b32 s1, exec_lo
	s_load_b128 s[36:39], s[2:3], 0x0
	s_waitcnt lgkmcnt(0)
	v_add_co_u32 v1, vcc_lo, s36, v1
	v_add_co_ci_u32_e32 v2, vcc_lo, s37, v2, vcc_lo
	s_sub_u32 s2, s38, s24
	s_subb_u32 s3, s39, 0
	s_delay_alu instid0(VALU_DEP_1) | instid1(SALU_CYCLE_1)
	v_cmpx_gt_i64_e64 s[2:3], v[1:2]
	s_cbranch_execz .LBB164_28
; %bb.11:
	v_and_b32_e32 v3, 31, v0
	s_mov_b32 s16, s25
	s_delay_alu instid0(VALU_DEP_1) | instskip(NEXT) | instid1(VALU_DEP_1)
	v_sub_co_u32 v14, s15, v3, s25
	v_sub_co_ci_u32_e64 v15, null, 0, 0, s15
	s_mov_b32 s15, 0
	s_branch .LBB164_13
.LBB164_12:                             ;   in Loop: Header=BB164_13 Depth=1
	s_or_b32 exec_lo, exec_lo, s17
	v_add_co_u32 v1, vcc_lo, v1, 8
	v_add_co_ci_u32_e32 v2, vcc_lo, 0, v2, vcc_lo
	s_delay_alu instid0(VALU_DEP_1) | instskip(SKIP_1) | instid1(SALU_CYCLE_1)
	v_cmp_le_i64_e32 vcc_lo, s[2:3], v[1:2]
	s_or_b32 s15, vcc_lo, s15
	s_and_not1_b32 exec_lo, exec_lo, s15
	s_cbranch_execz .LBB164_28
.LBB164_13:                             ; =>This Loop Header: Depth=1
                                        ;     Child Loop BB164_16 Depth 2
                                        ;       Child Loop BB164_18 Depth 3
	v_lshlrev_b64 v[7:8], 2, v[1:2]
	s_mov_b32 s17, exec_lo
	s_delay_alu instid0(VALU_DEP_1) | instskip(NEXT) | instid1(VALU_DEP_2)
	v_add_co_u32 v3, vcc_lo, s18, v7
	v_add_co_ci_u32_e32 v4, vcc_lo, s19, v8, vcc_lo
	global_load_b32 v3, v[3:4], off
	s_waitcnt vmcnt(0)
	v_subrev_nc_u32_e32 v3, s24, v3
	s_delay_alu instid0(VALU_DEP_1) | instskip(NEXT) | instid1(VALU_DEP_1)
	v_ashrrev_i32_e32 v4, 31, v3
	v_lshlrev_b64 v[3:4], 3, v[3:4]
	s_delay_alu instid0(VALU_DEP_1) | instskip(NEXT) | instid1(VALU_DEP_2)
	v_add_co_u32 v3, vcc_lo, s22, v3
	v_add_co_ci_u32_e32 v4, vcc_lo, s23, v4, vcc_lo
	global_load_b128 v[16:19], v[3:4], off
	s_waitcnt vmcnt(0)
	v_sub_co_u32 v3, vcc_lo, v18, s16
	v_subrev_co_ci_u32_e32 v4, vcc_lo, 0, v19, vcc_lo
	v_add_co_u32 v5, vcc_lo, v16, v14
	v_add_co_ci_u32_e32 v6, vcc_lo, v17, v15, vcc_lo
	s_delay_alu instid0(VALU_DEP_1)
	v_cmpx_lt_i64_e64 v[5:6], v[3:4]
	s_cbranch_execz .LBB164_12
; %bb.14:                               ;   in Loop: Header=BB164_13 Depth=1
	v_add_co_u32 v7, vcc_lo, s20, v7
	v_add_co_ci_u32_e32 v8, vcc_lo, s21, v8, vcc_lo
	s_mov_b32 s35, 0
	global_load_b32 v7, v[7:8], off
	s_waitcnt vmcnt(0)
	v_mul_f32_e32 v7, v13, v7
	s_branch .LBB164_16
.LBB164_15:                             ;   in Loop: Header=BB164_16 Depth=2
	s_or_b32 exec_lo, exec_lo, s36
	v_add_co_u32 v5, vcc_lo, v5, 32
	v_add_co_ci_u32_e32 v6, vcc_lo, 0, v6, vcc_lo
	s_delay_alu instid0(VALU_DEP_1) | instskip(SKIP_1) | instid1(SALU_CYCLE_1)
	v_cmp_ge_i64_e32 vcc_lo, v[5:6], v[3:4]
	s_or_b32 s35, vcc_lo, s35
	s_and_not1_b32 exec_lo, exec_lo, s35
	s_cbranch_execz .LBB164_12
.LBB164_16:                             ;   Parent Loop BB164_13 Depth=1
                                        ; =>  This Loop Header: Depth=2
                                        ;       Child Loop BB164_18 Depth 3
	v_lshlrev_b64 v[16:17], 2, v[5:6]
	s_mov_b32 s36, 0
	s_delay_alu instid0(VALU_DEP_1) | instskip(NEXT) | instid1(VALU_DEP_2)
	v_add_co_u32 v18, vcc_lo, s28, v16
	v_add_co_ci_u32_e32 v19, vcc_lo, s29, v17, vcc_lo
	v_add_co_u32 v16, vcc_lo, s30, v16
	v_add_co_ci_u32_e32 v17, vcc_lo, s31, v17, vcc_lo
	global_load_b32 v8, v[18:19], off
	global_load_b32 v16, v[16:17], off
	s_waitcnt vmcnt(1)
	v_subrev_nc_u32_e32 v8, s25, v8
	s_delay_alu instid0(VALU_DEP_1) | instskip(SKIP_1) | instid1(VALU_DEP_1)
	v_mul_lo_u32 v17, 0x89, v8
	s_waitcnt vmcnt(0)
	v_dual_mul_f32 v16, v7, v16 :: v_dual_and_b32 v17, 0x1ff, v17
	s_branch .LBB164_18
.LBB164_17:                             ;   in Loop: Header=BB164_18 Depth=3
	s_or_b32 exec_lo, exec_lo, s37
	s_xor_b32 s37, s38, -1
	s_delay_alu instid0(SALU_CYCLE_1) | instskip(NEXT) | instid1(SALU_CYCLE_1)
	s_and_b32 s37, exec_lo, s37
	s_or_b32 s36, s37, s36
	s_delay_alu instid0(SALU_CYCLE_1)
	s_and_not1_b32 exec_lo, exec_lo, s36
	s_cbranch_execz .LBB164_15
.LBB164_18:                             ;   Parent Loop BB164_13 Depth=1
                                        ;     Parent Loop BB164_16 Depth=2
                                        ; =>    This Inner Loop Header: Depth=3
	s_delay_alu instid0(VALU_DEP_1)
	v_lshl_add_u32 v18, v17, 2, 0
	s_mov_b32 s37, exec_lo
                                        ; implicit-def: $sgpr38
	ds_load_b32 v19, v18
	s_waitcnt lgkmcnt(0)
	v_cmpx_ne_u32_e64 v19, v8
	s_xor_b32 s37, exec_lo, s37
	s_cbranch_execz .LBB164_26
; %bb.19:                               ;   in Loop: Header=BB164_18 Depth=3
	s_mov_b32 s39, exec_lo
                                        ; implicit-def: $sgpr38
	v_cmpx_ne_u32_e64 s33, v19
	s_xor_b32 s39, exec_lo, s39
; %bb.20:                               ;   in Loop: Header=BB164_18 Depth=3
	v_add_nc_u32_e32 v17, 1, v17
	s_mov_b32 s38, -1
                                        ; implicit-def: $vgpr18
	s_delay_alu instid0(VALU_DEP_1)
	v_and_b32_e32 v17, 0x1ff, v17
; %bb.21:                               ;   in Loop: Header=BB164_18 Depth=3
	s_and_not1_saveexec_b32 s39, s39
	s_cbranch_execz .LBB164_25
; %bb.22:                               ;   in Loop: Header=BB164_18 Depth=3
	v_mov_b32_e32 v19, s33
	s_mov_b32 s40, -1
	s_mov_b32 s41, exec_lo
	ds_cmpstore_rtn_b32 v19, v18, v8, v19
	s_waitcnt lgkmcnt(0)
	v_cmpx_eq_u32_e64 s33, v19
	s_cbranch_execz .LBB164_24
; %bb.23:                               ;   in Loop: Header=BB164_18 Depth=3
	ds_add_f32 v18, v16 offset:2048
	s_xor_b32 s40, exec_lo, -1
.LBB164_24:                             ;   in Loop: Header=BB164_18 Depth=3
	s_or_b32 exec_lo, exec_lo, s41
	s_delay_alu instid0(SALU_CYCLE_1) | instskip(SKIP_1) | instid1(SALU_CYCLE_1)
	s_and_not1_b32 s38, s38, exec_lo
	s_and_b32 s40, s40, exec_lo
	s_or_b32 s38, s38, s40
.LBB164_25:                             ;   in Loop: Header=BB164_18 Depth=3
	s_or_b32 exec_lo, exec_lo, s39
	s_delay_alu instid0(SALU_CYCLE_1)
	s_and_b32 s38, s38, exec_lo
                                        ; implicit-def: $vgpr18
.LBB164_26:                             ;   in Loop: Header=BB164_18 Depth=3
	s_and_not1_saveexec_b32 s37, s37
	s_cbranch_execz .LBB164_17
; %bb.27:                               ;   in Loop: Header=BB164_18 Depth=3
	ds_add_f32 v18, v16 offset:2048
	s_and_not1_b32 s38, s38, exec_lo
	s_branch .LBB164_17
.LBB164_28:
	s_or_b32 exec_lo, exec_lo, s1
.LBB164_29:
	s_delay_alu instid0(SALU_CYCLE_1)
	s_and_not1_b32 vcc_lo, exec_lo, s34
	s_cbranch_vccnz .LBB164_32
; %bb.30:
	s_waitcnt lgkmcnt(0)
	s_ashr_i32 s15, s14, 31
	v_sub_co_u32 v1, s1, v0, s27
	s_lshl_b64 s[2:3], s[14:15], 3
	v_sub_co_ci_u32_e64 v2, null, 0, 0, s1
	s_add_u32 s2, s4, s2
	s_addc_u32 s3, s5, s3
	s_mov_b32 s4, 0
	s_load_b128 s[16:19], s[2:3], 0x0
	s_mov_b32 s1, exec_lo
	s_waitcnt lgkmcnt(0)
	v_add_co_u32 v1, vcc_lo, s16, v1
	v_add_co_ci_u32_e32 v2, vcc_lo, s17, v2, vcc_lo
	s_sub_u32 s2, s18, s27
	s_subb_u32 s3, s19, 0
	s_delay_alu instid0(VALU_DEP_1) | instid1(SALU_CYCLE_1)
	v_cmpx_gt_i64_e64 s[2:3], v[1:2]
	s_cbranch_execnz .LBB164_54
.LBB164_31:
	s_or_b32 exec_lo, exec_lo, s1
.LBB164_32:
	s_waitcnt lgkmcnt(0)
	s_barrier
	buffer_gl0_inv
	s_and_saveexec_b32 s8, s0
	s_cbranch_execz .LBB164_66
; %bb.33:
	v_mbcnt_lo_u32_b32 v1, -1, 0
	v_lshl_add_u32 v4, v12, 2, 0
	v_cmp_eq_u32_e32 vcc_lo, 0xff, v0
	v_cmp_lt_u32_e64 s0, 31, v0
	v_cmp_lt_u32_e64 s1, 63, v0
	v_xor_b32_e32 v1, 63, v1
	v_cmp_lt_u32_e64 s2, 0x5f, v0
	v_cmp_lt_u32_e64 s3, 0x7f, v0
	;; [unrolled: 1-line block ×4, first 2 shown]
	v_lshrrev_b64 v[1:2], v1, -1
	v_cmp_lt_u32_e64 s6, 0xdf, v0
	v_dual_mov_b32 v5, 0 :: v_dual_mov_b32 v6, 0
	s_mov_b32 s9, 0
	s_branch .LBB164_35
.LBB164_34:                             ;   in Loop: Header=BB164_35 Depth=1
	s_or_b32 exec_lo, exec_lo, s7
	s_waitcnt lgkmcnt(0)
	s_barrier
	buffer_gl0_inv
	ds_load_b32 v2, v5 offset:4124
	v_add_co_u32 v9, s7, 0x100, v9
	s_delay_alu instid0(VALU_DEP_1) | instskip(SKIP_2) | instid1(SALU_CYCLE_1)
	s_xor_b32 s7, s7, -1
	v_add_nc_u32_e32 v10, 0x400, v10
	s_and_b32 s7, exec_lo, s7
	s_or_b32 s9, s7, s9
	s_waitcnt lgkmcnt(0)
	v_add_nc_u32_e32 v6, v2, v6
	s_and_not1_b32 exec_lo, exec_lo, s9
	s_cbranch_execz .LBB164_66
.LBB164_35:                             ; =>This Inner Loop Header: Depth=1
	ds_load_2addr_stride64_b32 v[2:3], v10 offset1:8
	s_waitcnt lgkmcnt(0)
	s_barrier
	buffer_gl0_inv
	v_cmp_gt_i32_e64 s7, s33, v2
	s_delay_alu instid0(VALU_DEP_1) | instskip(NEXT) | instid1(SALU_CYCLE_1)
	s_bcnt1_i32_b32 s15, s7
	v_dual_mov_b32 v8, s15 :: v_dual_and_b32 v7, s7, v1
	s_delay_alu instid0(VALU_DEP_1)
	v_bcnt_u32_b32 v7, v7, 0
	ds_store_b32 v4, v8 offset:4096
	s_waitcnt lgkmcnt(0)
	s_barrier
	buffer_gl0_inv
	s_and_saveexec_b32 s15, s0
	s_cbranch_execnz .LBB164_44
; %bb.36:                               ;   in Loop: Header=BB164_35 Depth=1
	s_or_b32 exec_lo, exec_lo, s15
	s_and_saveexec_b32 s15, s1
	s_cbranch_execnz .LBB164_45
.LBB164_37:                             ;   in Loop: Header=BB164_35 Depth=1
	s_or_b32 exec_lo, exec_lo, s15
	s_and_saveexec_b32 s15, s2
	s_cbranch_execnz .LBB164_46
.LBB164_38:                             ;   in Loop: Header=BB164_35 Depth=1
	s_or_b32 exec_lo, exec_lo, s15
	s_and_saveexec_b32 s15, s3
	s_cbranch_execnz .LBB164_47
.LBB164_39:                             ;   in Loop: Header=BB164_35 Depth=1
	s_or_b32 exec_lo, exec_lo, s15
	s_and_saveexec_b32 s15, s4
	s_cbranch_execnz .LBB164_48
.LBB164_40:                             ;   in Loop: Header=BB164_35 Depth=1
	s_or_b32 exec_lo, exec_lo, s15
	s_and_saveexec_b32 s15, s5
	s_cbranch_execnz .LBB164_49
.LBB164_41:                             ;   in Loop: Header=BB164_35 Depth=1
	s_or_b32 exec_lo, exec_lo, s15
	s_and_saveexec_b32 s15, s6
	s_cbranch_execnz .LBB164_50
.LBB164_42:                             ;   in Loop: Header=BB164_35 Depth=1
	s_or_b32 exec_lo, exec_lo, s15
	s_and_saveexec_b32 s15, s7
	s_cbranch_execnz .LBB164_51
.LBB164_43:                             ;   in Loop: Header=BB164_35 Depth=1
	s_or_b32 exec_lo, exec_lo, s15
	s_and_saveexec_b32 s7, vcc_lo
	s_cbranch_execz .LBB164_34
	s_branch .LBB164_52
.LBB164_44:                             ;   in Loop: Header=BB164_35 Depth=1
	ds_load_b32 v8, v5 offset:4096
	s_waitcnt lgkmcnt(0)
	v_add_nc_u32_e32 v7, v8, v7
	s_or_b32 exec_lo, exec_lo, s15
	s_and_saveexec_b32 s15, s1
	s_cbranch_execz .LBB164_37
.LBB164_45:                             ;   in Loop: Header=BB164_35 Depth=1
	ds_load_b32 v8, v5 offset:4100
	s_waitcnt lgkmcnt(0)
	v_add_nc_u32_e32 v7, v8, v7
	s_or_b32 exec_lo, exec_lo, s15
	s_and_saveexec_b32 s15, s2
	s_cbranch_execz .LBB164_38
.LBB164_46:                             ;   in Loop: Header=BB164_35 Depth=1
	ds_load_b32 v8, v5 offset:4104
	s_waitcnt lgkmcnt(0)
	v_add_nc_u32_e32 v7, v8, v7
	s_or_b32 exec_lo, exec_lo, s15
	s_and_saveexec_b32 s15, s3
	s_cbranch_execz .LBB164_39
.LBB164_47:                             ;   in Loop: Header=BB164_35 Depth=1
	ds_load_b32 v8, v5 offset:4108
	s_waitcnt lgkmcnt(0)
	v_add_nc_u32_e32 v7, v8, v7
	s_or_b32 exec_lo, exec_lo, s15
	s_and_saveexec_b32 s15, s4
	s_cbranch_execz .LBB164_40
.LBB164_48:                             ;   in Loop: Header=BB164_35 Depth=1
	ds_load_b32 v8, v5 offset:4112
	s_waitcnt lgkmcnt(0)
	v_add_nc_u32_e32 v7, v8, v7
	s_or_b32 exec_lo, exec_lo, s15
	s_and_saveexec_b32 s15, s5
	s_cbranch_execz .LBB164_41
.LBB164_49:                             ;   in Loop: Header=BB164_35 Depth=1
	ds_load_b32 v8, v5 offset:4116
	s_waitcnt lgkmcnt(0)
	v_add_nc_u32_e32 v7, v8, v7
	s_or_b32 exec_lo, exec_lo, s15
	s_and_saveexec_b32 s15, s6
	s_cbranch_execz .LBB164_42
.LBB164_50:                             ;   in Loop: Header=BB164_35 Depth=1
	ds_load_b32 v8, v5 offset:4120
	s_waitcnt lgkmcnt(0)
	v_add_nc_u32_e32 v7, v8, v7
	s_or_b32 exec_lo, exec_lo, s15
	s_and_saveexec_b32 s15, s7
	s_cbranch_execz .LBB164_43
.LBB164_51:                             ;   in Loop: Header=BB164_35 Depth=1
	s_delay_alu instid0(VALU_DEP_1) | instskip(NEXT) | instid1(VALU_DEP_1)
	v_add3_u32 v8, v6, -1, v7
	v_lshl_add_u32 v8, v8, 2, 0
	ds_store_2addr_stride64_b32 v8, v2, v3 offset1:8
	s_or_b32 exec_lo, exec_lo, s15
	s_and_saveexec_b32 s7, vcc_lo
	s_cbranch_execz .LBB164_34
.LBB164_52:                             ;   in Loop: Header=BB164_35 Depth=1
	ds_store_b32 v5, v7 offset:4124
	s_branch .LBB164_34
.LBB164_53:                             ;   in Loop: Header=BB164_54 Depth=1
	s_or_b32 exec_lo, exec_lo, s5
	v_add_co_u32 v1, vcc_lo, 0x100, v1
	v_add_co_ci_u32_e32 v2, vcc_lo, 0, v2, vcc_lo
	s_delay_alu instid0(VALU_DEP_1) | instskip(SKIP_1) | instid1(SALU_CYCLE_1)
	v_cmp_le_i64_e32 vcc_lo, s[2:3], v[1:2]
	s_or_b32 s4, vcc_lo, s4
	s_and_not1_b32 exec_lo, exec_lo, s4
	s_cbranch_execz .LBB164_31
.LBB164_54:                             ; =>This Loop Header: Depth=1
                                        ;     Child Loop BB164_56 Depth 2
	v_lshlrev_b64 v[3:4], 2, v[1:2]
	s_mov_b32 s5, 0
	s_delay_alu instid0(VALU_DEP_1) | instskip(NEXT) | instid1(VALU_DEP_2)
	v_add_co_u32 v5, vcc_lo, s6, v3
	v_add_co_ci_u32_e32 v6, vcc_lo, s7, v4, vcc_lo
	v_add_co_u32 v3, vcc_lo, s8, v3
	v_add_co_ci_u32_e32 v4, vcc_lo, s9, v4, vcc_lo
	global_load_b32 v5, v[5:6], off
	global_load_b32 v4, v[3:4], off
	s_waitcnt vmcnt(1)
	v_subrev_nc_u32_e32 v3, s27, v5
	s_delay_alu instid0(VALU_DEP_1) | instskip(SKIP_1) | instid1(VALU_DEP_1)
	v_mul_lo_u32 v5, 0x89, v3
	s_waitcnt vmcnt(0)
	v_dual_mul_f32 v4, v11, v4 :: v_dual_and_b32 v5, 0x1ff, v5
	s_branch .LBB164_56
.LBB164_55:                             ;   in Loop: Header=BB164_56 Depth=2
	s_or_b32 exec_lo, exec_lo, s15
	s_xor_b32 s15, s16, -1
	s_delay_alu instid0(SALU_CYCLE_1) | instskip(NEXT) | instid1(SALU_CYCLE_1)
	s_and_b32 s15, exec_lo, s15
	s_or_b32 s5, s15, s5
	s_delay_alu instid0(SALU_CYCLE_1)
	s_and_not1_b32 exec_lo, exec_lo, s5
	s_cbranch_execz .LBB164_53
.LBB164_56:                             ;   Parent Loop BB164_54 Depth=1
                                        ; =>  This Inner Loop Header: Depth=2
	s_delay_alu instid0(VALU_DEP_1)
	v_lshl_add_u32 v6, v5, 2, 0
	s_mov_b32 s15, exec_lo
                                        ; implicit-def: $sgpr16
	ds_load_b32 v7, v6
	s_waitcnt lgkmcnt(0)
	v_cmpx_ne_u32_e64 v7, v3
	s_xor_b32 s15, exec_lo, s15
	s_cbranch_execz .LBB164_64
; %bb.57:                               ;   in Loop: Header=BB164_56 Depth=2
	s_mov_b32 s17, exec_lo
                                        ; implicit-def: $sgpr16
	v_cmpx_ne_u32_e64 s33, v7
	s_xor_b32 s17, exec_lo, s17
; %bb.58:                               ;   in Loop: Header=BB164_56 Depth=2
	v_add_nc_u32_e32 v5, 1, v5
	s_mov_b32 s16, -1
                                        ; implicit-def: $vgpr6
	s_delay_alu instid0(VALU_DEP_1)
	v_and_b32_e32 v5, 0x1ff, v5
; %bb.59:                               ;   in Loop: Header=BB164_56 Depth=2
	s_and_not1_saveexec_b32 s17, s17
	s_cbranch_execz .LBB164_63
; %bb.60:                               ;   in Loop: Header=BB164_56 Depth=2
	v_mov_b32_e32 v7, s33
	s_mov_b32 s18, -1
	s_mov_b32 s19, exec_lo
	ds_cmpstore_rtn_b32 v7, v6, v3, v7
	s_waitcnt lgkmcnt(0)
	v_cmpx_eq_u32_e64 s33, v7
	s_cbranch_execz .LBB164_62
; %bb.61:                               ;   in Loop: Header=BB164_56 Depth=2
	ds_add_f32 v6, v4 offset:2048
	s_xor_b32 s18, exec_lo, -1
.LBB164_62:                             ;   in Loop: Header=BB164_56 Depth=2
	s_or_b32 exec_lo, exec_lo, s19
	s_delay_alu instid0(SALU_CYCLE_1) | instskip(SKIP_1) | instid1(SALU_CYCLE_1)
	s_and_not1_b32 s16, s16, exec_lo
	s_and_b32 s18, s18, exec_lo
	s_or_b32 s16, s16, s18
.LBB164_63:                             ;   in Loop: Header=BB164_56 Depth=2
	s_or_b32 exec_lo, exec_lo, s17
	s_delay_alu instid0(SALU_CYCLE_1)
	s_and_b32 s16, s16, exec_lo
                                        ; implicit-def: $vgpr6
.LBB164_64:                             ;   in Loop: Header=BB164_56 Depth=2
	s_and_not1_saveexec_b32 s15, s15
	s_cbranch_execz .LBB164_55
; %bb.65:                               ;   in Loop: Header=BB164_56 Depth=2
	ds_add_f32 v6, v4 offset:2048
	s_and_not1_b32 s16, s16, exec_lo
	s_branch .LBB164_55
.LBB164_66:
	s_or_b32 exec_lo, exec_lo, s8
	s_ashr_i32 s15, s14, 31
	s_mov_b32 s4, exec_lo
	s_lshl_b64 s[0:1], s[14:15], 3
	s_delay_alu instid0(SALU_CYCLE_1) | instskip(SKIP_4) | instid1(SALU_CYCLE_1)
	s_add_u32 s0, s10, s0
	s_addc_u32 s1, s11, s1
	s_load_b128 s[0:3], s[0:1], 0x0
	s_waitcnt lgkmcnt(0)
	s_sub_i32 s3, s2, s0
	v_cmpx_gt_i32_e64 s3, v0
	s_cbranch_execz .LBB164_76
; %bb.67:
	s_sub_u32 s4, s0, s26
	s_subb_u32 s5, s1, 0
	s_sub_i32 s0, s0, s2
	s_and_b32 s1, s3, 7
	s_cmp_lt_u32 s0, -7
	s_mov_b32 s8, 0
	s_cselect_b32 s2, -1, 0
	s_and_b32 s6, s3, -8
	s_cmp_lg_u32 s1, 0
	s_cselect_b32 s7, -1, 0
	s_branch .LBB164_69
.LBB164_68:                             ;   in Loop: Header=BB164_69 Depth=1
	s_delay_alu instid0(VALU_DEP_1) | instskip(SKIP_1) | instid1(VALU_DEP_1)
	v_lshlrev_b64 v[3:4], 2, v[3:4]
	v_add_nc_u32_e32 v0, 0x100, v0
	v_cmp_le_i32_e32 vcc_lo, s3, v0
	s_delay_alu instid0(VALU_DEP_3) | instskip(NEXT) | instid1(VALU_DEP_1)
	v_add_co_u32 v3, s0, s12, v3
	v_add_co_ci_u32_e64 v4, s0, s13, v4, s0
	s_or_b32 s8, vcc_lo, s8
	s_waitcnt lgkmcnt(0)
	global_store_b32 v[3:4], v2, off
	s_and_not1_b32 exec_lo, exec_lo, s8
	s_cbranch_execz .LBB164_76
.LBB164_69:                             ; =>This Loop Header: Depth=1
                                        ;     Child Loop BB164_71 Depth 2
                                        ;     Child Loop BB164_75 Depth 2
	v_lshl_add_u32 v1, v0, 2, 0
	v_dual_mov_b32 v3, s4 :: v_dual_mov_b32 v4, s5
	s_and_not1_b32 vcc_lo, exec_lo, s2
	s_mov_b32 s0, 0
	ds_load_2addr_stride64_b32 v[1:2], v1 offset1:8
	s_cbranch_vccnz .LBB164_73
; %bb.70:                               ;   in Loop: Header=BB164_69 Depth=1
	v_dual_mov_b32 v3, s4 :: v_dual_mov_b32 v4, s5
	s_mov_b32 s9, 0
	s_mov_b32 s10, 0
.LBB164_71:                             ;   Parent Loop BB164_69 Depth=1
                                        ; =>  This Inner Loop Header: Depth=2
	s_delay_alu instid0(SALU_CYCLE_1)
	v_mov_b32_e32 v11, s10
	s_add_i32 s9, s9, 8
	s_add_i32 s10, s10, 32
	s_cmp_eq_u32 s6, s9
	ds_load_2addr_b32 v[5:6], v11 offset1:1
	ds_load_2addr_b32 v[7:8], v11 offset0:2 offset1:3
	ds_load_2addr_b32 v[9:10], v11 offset0:4 offset1:5
	;; [unrolled: 1-line block ×3, first 2 shown]
	s_waitcnt lgkmcnt(3)
	v_cmp_gt_i32_e32 vcc_lo, v1, v5
	v_cndmask_b32_e64 v5, 0, 1, vcc_lo
	v_cmp_gt_i32_e32 vcc_lo, v1, v6
	v_cndmask_b32_e64 v6, 0, 1, vcc_lo
	s_waitcnt lgkmcnt(2)
	v_cmp_gt_i32_e32 vcc_lo, v1, v7
	v_cndmask_b32_e64 v7, 0, 1, vcc_lo
	v_cmp_gt_i32_e32 vcc_lo, v1, v8
	v_cndmask_b32_e64 v8, 0, 1, vcc_lo
	s_waitcnt lgkmcnt(1)
	v_cmp_gt_i32_e32 vcc_lo, v1, v9
	v_cndmask_b32_e64 v9, 0, 1, vcc_lo
	v_add_co_u32 v3, vcc_lo, v3, v5
	v_add_co_ci_u32_e32 v4, vcc_lo, 0, v4, vcc_lo
	v_cmp_gt_i32_e32 vcc_lo, v1, v10
	s_delay_alu instid0(VALU_DEP_3) | instskip(NEXT) | instid1(VALU_DEP_1)
	v_add_co_u32 v3, s0, v3, v6
	v_add_co_ci_u32_e64 v4, s0, 0, v4, s0
	v_cndmask_b32_e64 v5, 0, 1, vcc_lo
	s_delay_alu instid0(VALU_DEP_3) | instskip(NEXT) | instid1(VALU_DEP_3)
	v_add_co_u32 v3, vcc_lo, v3, v7
	v_add_co_ci_u32_e32 v4, vcc_lo, 0, v4, vcc_lo
	s_waitcnt lgkmcnt(0)
	v_cmp_gt_i32_e32 vcc_lo, v1, v11
	s_delay_alu instid0(VALU_DEP_3) | instskip(NEXT) | instid1(VALU_DEP_1)
	v_add_co_u32 v3, s0, v3, v8
	v_add_co_ci_u32_e64 v4, s0, 0, v4, s0
	v_cndmask_b32_e64 v6, 0, 1, vcc_lo
	s_delay_alu instid0(VALU_DEP_3) | instskip(NEXT) | instid1(VALU_DEP_3)
	v_add_co_u32 v3, vcc_lo, v3, v9
	v_add_co_ci_u32_e32 v4, vcc_lo, 0, v4, vcc_lo
	v_cmp_gt_i32_e32 vcc_lo, v1, v12
	s_delay_alu instid0(VALU_DEP_3) | instskip(NEXT) | instid1(VALU_DEP_1)
	v_add_co_u32 v3, s0, v3, v5
	v_add_co_ci_u32_e64 v4, s0, 0, v4, s0
	v_cndmask_b32_e64 v5, 0, 1, vcc_lo
	s_delay_alu instid0(VALU_DEP_3) | instskip(NEXT) | instid1(VALU_DEP_3)
	v_add_co_u32 v3, vcc_lo, v3, v6
	v_add_co_ci_u32_e32 v4, vcc_lo, 0, v4, vcc_lo
	s_delay_alu instid0(VALU_DEP_2) | instskip(NEXT) | instid1(VALU_DEP_2)
	v_add_co_u32 v3, vcc_lo, v3, v5
	v_add_co_ci_u32_e32 v4, vcc_lo, 0, v4, vcc_lo
	s_cbranch_scc0 .LBB164_71
; %bb.72:                               ;   in Loop: Header=BB164_69 Depth=1
	s_mov_b32 s0, s6
.LBB164_73:                             ;   in Loop: Header=BB164_69 Depth=1
	s_and_not1_b32 vcc_lo, exec_lo, s7
	s_cbranch_vccnz .LBB164_68
; %bb.74:                               ;   in Loop: Header=BB164_69 Depth=1
	s_lshl_b32 s0, s0, 2
	s_mov_b32 s9, s1
	s_add_i32 s0, s0, 0
.LBB164_75:                             ;   Parent Loop BB164_69 Depth=1
                                        ; =>  This Inner Loop Header: Depth=2
	s_delay_alu instid0(SALU_CYCLE_1)
	v_mov_b32_e32 v5, s0
	s_add_i32 s9, s9, -1
	s_add_i32 s0, s0, 4
	s_cmp_lg_u32 s9, 0
	ds_load_b32 v5, v5
	s_waitcnt lgkmcnt(0)
	v_cmp_gt_i32_e32 vcc_lo, v1, v5
	v_cndmask_b32_e64 v5, 0, 1, vcc_lo
	s_delay_alu instid0(VALU_DEP_1)
	v_add_co_u32 v3, vcc_lo, v3, v5
	v_add_co_ci_u32_e32 v4, vcc_lo, 0, v4, vcc_lo
	s_cbranch_scc1 .LBB164_75
	s_branch .LBB164_68
.LBB164_76:
	s_nop 0
	s_sendmsg sendmsg(MSG_DEALLOC_VGPRS)
	s_endpgm
	.section	.rodata,"a",@progbits
	.p2align	6, 0x0
	.amdhsa_kernel _ZN9rocsparseL41csrgemm_numeric_fill_block_per_row_kernelILj256ELj32ELj512ELj137ELj32ElifEEvT5_PKS1_S3_NS_24const_host_device_scalarIT6_EEPKT4_S3_PKS5_S9_S3_SB_S6_S9_S3_SB_S9_S3_PS5_21rocsparse_index_base_SD_SD_SD_bbb
		.amdhsa_group_segment_fixed_size 0
		.amdhsa_private_segment_fixed_size 0
		.amdhsa_kernarg_size 156
		.amdhsa_user_sgpr_count 15
		.amdhsa_user_sgpr_dispatch_ptr 0
		.amdhsa_user_sgpr_queue_ptr 0
		.amdhsa_user_sgpr_kernarg_segment_ptr 1
		.amdhsa_user_sgpr_dispatch_id 0
		.amdhsa_user_sgpr_private_segment_size 0
		.amdhsa_wavefront_size32 1
		.amdhsa_uses_dynamic_stack 0
		.amdhsa_enable_private_segment 0
		.amdhsa_system_sgpr_workgroup_id_x 1
		.amdhsa_system_sgpr_workgroup_id_y 0
		.amdhsa_system_sgpr_workgroup_id_z 0
		.amdhsa_system_sgpr_workgroup_info 0
		.amdhsa_system_vgpr_workitem_id 0
		.amdhsa_next_free_vgpr 20
		.amdhsa_next_free_sgpr 42
		.amdhsa_reserve_vcc 1
		.amdhsa_float_round_mode_32 0
		.amdhsa_float_round_mode_16_64 0
		.amdhsa_float_denorm_mode_32 3
		.amdhsa_float_denorm_mode_16_64 3
		.amdhsa_dx10_clamp 1
		.amdhsa_ieee_mode 1
		.amdhsa_fp16_overflow 0
		.amdhsa_workgroup_processor_mode 1
		.amdhsa_memory_ordered 1
		.amdhsa_forward_progress 0
		.amdhsa_shared_vgpr_count 0
		.amdhsa_exception_fp_ieee_invalid_op 0
		.amdhsa_exception_fp_denorm_src 0
		.amdhsa_exception_fp_ieee_div_zero 0
		.amdhsa_exception_fp_ieee_overflow 0
		.amdhsa_exception_fp_ieee_underflow 0
		.amdhsa_exception_fp_ieee_inexact 0
		.amdhsa_exception_int_div_zero 0
	.end_amdhsa_kernel
	.section	.text._ZN9rocsparseL41csrgemm_numeric_fill_block_per_row_kernelILj256ELj32ELj512ELj137ELj32ElifEEvT5_PKS1_S3_NS_24const_host_device_scalarIT6_EEPKT4_S3_PKS5_S9_S3_SB_S6_S9_S3_SB_S9_S3_PS5_21rocsparse_index_base_SD_SD_SD_bbb,"axG",@progbits,_ZN9rocsparseL41csrgemm_numeric_fill_block_per_row_kernelILj256ELj32ELj512ELj137ELj32ElifEEvT5_PKS1_S3_NS_24const_host_device_scalarIT6_EEPKT4_S3_PKS5_S9_S3_SB_S6_S9_S3_SB_S9_S3_PS5_21rocsparse_index_base_SD_SD_SD_bbb,comdat
.Lfunc_end164:
	.size	_ZN9rocsparseL41csrgemm_numeric_fill_block_per_row_kernelILj256ELj32ELj512ELj137ELj32ElifEEvT5_PKS1_S3_NS_24const_host_device_scalarIT6_EEPKT4_S3_PKS5_S9_S3_SB_S6_S9_S3_SB_S9_S3_PS5_21rocsparse_index_base_SD_SD_SD_bbb, .Lfunc_end164-_ZN9rocsparseL41csrgemm_numeric_fill_block_per_row_kernelILj256ELj32ELj512ELj137ELj32ElifEEvT5_PKS1_S3_NS_24const_host_device_scalarIT6_EEPKT4_S3_PKS5_S9_S3_SB_S6_S9_S3_SB_S9_S3_PS5_21rocsparse_index_base_SD_SD_SD_bbb
                                        ; -- End function
	.section	.AMDGPU.csdata,"",@progbits
; Kernel info:
; codeLenInByte = 2880
; NumSgprs: 44
; NumVgprs: 20
; ScratchSize: 0
; MemoryBound: 0
; FloatMode: 240
; IeeeMode: 1
; LDSByteSize: 0 bytes/workgroup (compile time only)
; SGPRBlocks: 5
; VGPRBlocks: 2
; NumSGPRsForWavesPerEU: 44
; NumVGPRsForWavesPerEU: 20
; Occupancy: 16
; WaveLimiterHint : 1
; COMPUTE_PGM_RSRC2:SCRATCH_EN: 0
; COMPUTE_PGM_RSRC2:USER_SGPR: 15
; COMPUTE_PGM_RSRC2:TRAP_HANDLER: 0
; COMPUTE_PGM_RSRC2:TGID_X_EN: 1
; COMPUTE_PGM_RSRC2:TGID_Y_EN: 0
; COMPUTE_PGM_RSRC2:TGID_Z_EN: 0
; COMPUTE_PGM_RSRC2:TIDIG_COMP_CNT: 0
	.section	.text._ZN9rocsparseL41csrgemm_numeric_fill_block_per_row_kernelILj256ELj32ELj512ELj137ELj64ElifEEvT5_PKS1_S3_NS_24const_host_device_scalarIT6_EEPKT4_S3_PKS5_S9_S3_SB_S6_S9_S3_SB_S9_S3_PS5_21rocsparse_index_base_SD_SD_SD_bbb,"axG",@progbits,_ZN9rocsparseL41csrgemm_numeric_fill_block_per_row_kernelILj256ELj32ELj512ELj137ELj64ElifEEvT5_PKS1_S3_NS_24const_host_device_scalarIT6_EEPKT4_S3_PKS5_S9_S3_SB_S6_S9_S3_SB_S9_S3_PS5_21rocsparse_index_base_SD_SD_SD_bbb,comdat
	.globl	_ZN9rocsparseL41csrgemm_numeric_fill_block_per_row_kernelILj256ELj32ELj512ELj137ELj64ElifEEvT5_PKS1_S3_NS_24const_host_device_scalarIT6_EEPKT4_S3_PKS5_S9_S3_SB_S6_S9_S3_SB_S9_S3_PS5_21rocsparse_index_base_SD_SD_SD_bbb ; -- Begin function _ZN9rocsparseL41csrgemm_numeric_fill_block_per_row_kernelILj256ELj32ELj512ELj137ELj64ElifEEvT5_PKS1_S3_NS_24const_host_device_scalarIT6_EEPKT4_S3_PKS5_S9_S3_SB_S6_S9_S3_SB_S9_S3_PS5_21rocsparse_index_base_SD_SD_SD_bbb
	.p2align	8
	.type	_ZN9rocsparseL41csrgemm_numeric_fill_block_per_row_kernelILj256ELj32ELj512ELj137ELj64ElifEEvT5_PKS1_S3_NS_24const_host_device_scalarIT6_EEPKT4_S3_PKS5_S9_S3_SB_S6_S9_S3_SB_S9_S3_PS5_21rocsparse_index_base_SD_SD_SD_bbb,@function
_ZN9rocsparseL41csrgemm_numeric_fill_block_per_row_kernelILj256ELj32ELj512ELj137ELj64ElifEEvT5_PKS1_S3_NS_24const_host_device_scalarIT6_EEPKT4_S3_PKS5_S9_S3_SB_S6_S9_S3_SB_S9_S3_PS5_21rocsparse_index_base_SD_SD_SD_bbb: ; @_ZN9rocsparseL41csrgemm_numeric_fill_block_per_row_kernelILj256ELj32ELj512ELj137ELj64ElifEEvT5_PKS1_S3_NS_24const_host_device_scalarIT6_EEPKT4_S3_PKS5_S9_S3_SB_S6_S9_S3_SB_S9_S3_PS5_21rocsparse_index_base_SD_SD_SD_bbb
; %bb.0:
	s_clause 0x2
	s_load_b32 s6, s[0:1], 0x98
	s_load_b64 s[4:5], s[0:1], 0x18
	s_load_b64 s[2:3], s[0:1], 0x50
	s_waitcnt lgkmcnt(0)
	s_bitcmp1_b32 s6, 0
	s_cselect_b32 s35, -1, 0
	s_bitcmp1_b32 s6, 16
	s_cselect_b32 s7, -1, 0
	s_xor_b32 s8, s35, -1
	s_delay_alu instid0(SALU_CYCLE_1) | instskip(NEXT) | instid1(SALU_CYCLE_1)
	s_or_b32 s8, s8, s7
	s_and_b32 vcc_lo, exec_lo, s8
	s_cbranch_vccnz .LBB165_2
; %bb.1:
	s_load_b32 s4, s[4:5], 0x0
	s_waitcnt lgkmcnt(0)
	v_mov_b32_e32 v12, s4
	s_branch .LBB165_3
.LBB165_2:
	v_cndmask_b32_e64 v12, 0, s4, s35
.LBB165_3:
	s_load_b128 s[24:27], s[0:1], 0x88
	s_bitcmp1_b32 s6, 8
	s_cselect_b32 s34, -1, 0
	s_delay_alu instid0(SALU_CYCLE_1) | instskip(NEXT) | instid1(SALU_CYCLE_1)
	s_xor_b32 s4, s34, -1
	s_or_b32 s4, s4, s7
	s_delay_alu instid0(SALU_CYCLE_1)
	s_and_b32 vcc_lo, exec_lo, s4
	s_cbranch_vccnz .LBB165_5
; %bb.4:
	s_load_b32 s2, s[2:3], 0x0
	s_waitcnt lgkmcnt(0)
	v_mov_b32_e32 v11, s2
	s_branch .LBB165_6
.LBB165_5:
	v_cndmask_b32_e64 v11, 0, s2, s34
.LBB165_6:
	s_clause 0x5
	s_load_b64 s[12:13], s[0:1], 0x80
	s_load_b256 s[4:11], s[0:1], 0x58
	s_load_b128 s[28:31], s[0:1], 0x40
	s_load_b256 s[16:23], s[0:1], 0x20
	s_load_b128 s[36:39], s[0:1], 0x8
	s_load_b32 s33, s[0:1], 0x0
	v_cmp_gt_u32_e64 s0, 0x200, v0
	v_or_b32_e32 v9, 0xffffff00, v0
	v_lshl_add_u32 v10, v0, 2, 0
	s_delay_alu instid0(VALU_DEP_3)
	s_and_saveexec_b32 s1, s0
	s_cbranch_execz .LBB165_9
; %bb.7:
	v_or_b32_e32 v1, 0xffffff00, v0
	v_lshl_add_u32 v2, v0, 2, 0
	s_waitcnt lgkmcnt(0)
	v_dual_mov_b32 v3, s33 :: v_dual_mov_b32 v4, 0
	s_mov_b32 s2, 0
.LBB165_8:                              ; =>This Inner Loop Header: Depth=1
	v_add_co_u32 v1, s3, 0x100, v1
	s_delay_alu instid0(VALU_DEP_1) | instskip(SKIP_3) | instid1(SALU_CYCLE_1)
	s_xor_b32 s3, s3, -1
	ds_store_2addr_stride64_b32 v2, v3, v4 offset1:8
	v_add_nc_u32_e32 v2, 0x400, v2
	s_and_b32 s3, exec_lo, s3
	s_or_b32 s2, s3, s2
	s_delay_alu instid0(SALU_CYCLE_1)
	s_and_not1_b32 exec_lo, exec_lo, s2
	s_cbranch_execnz .LBB165_8
.LBB165_9:
	s_or_b32 exec_lo, exec_lo, s1
	s_waitcnt lgkmcnt(0)
	s_barrier
	buffer_gl0_inv
	s_load_b32 s1, s[36:37], 0x0
	s_mov_b32 s3, 0
	s_waitcnt lgkmcnt(0)
	s_add_i32 s2, s1, s15
	s_delay_alu instid0(SALU_CYCLE_1) | instskip(NEXT) | instid1(SALU_CYCLE_1)
	s_lshl_b64 s[2:3], s[2:3], 2
	s_add_u32 s2, s38, s2
	s_addc_u32 s3, s39, s3
	s_and_b32 vcc_lo, exec_lo, s35
	s_load_b32 s14, s[2:3], 0x0
	s_cbranch_vccz .LBB165_29
; %bb.10:
	s_waitcnt lgkmcnt(0)
	s_ashr_i32 s15, s14, 31
	v_lshrrev_b32_e32 v1, 5, v0
	s_lshl_b64 s[2:3], s[14:15], 3
	s_delay_alu instid0(SALU_CYCLE_1) | instskip(SKIP_1) | instid1(VALU_DEP_1)
	s_add_u32 s2, s16, s2
	s_addc_u32 s3, s17, s3
	v_sub_co_u32 v1, s1, v1, s24
	s_load_b128 s[36:39], s[2:3], 0x0
	v_sub_co_ci_u32_e64 v2, null, 0, 0, s1
	s_mov_b32 s1, exec_lo
	s_waitcnt lgkmcnt(0)
	v_add_co_u32 v1, vcc_lo, s36, v1
	s_delay_alu instid0(VALU_DEP_2)
	v_add_co_ci_u32_e32 v2, vcc_lo, s37, v2, vcc_lo
	s_sub_u32 s2, s38, s24
	s_subb_u32 s3, s39, 0
	s_delay_alu instid0(VALU_DEP_1) | instid1(SALU_CYCLE_1)
	v_cmpx_gt_i64_e64 s[2:3], v[1:2]
	s_cbranch_execz .LBB165_28
; %bb.11:
	v_and_b32_e32 v3, 31, v0
	s_mov_b32 s16, s25
	s_delay_alu instid0(VALU_DEP_1) | instskip(NEXT) | instid1(VALU_DEP_1)
	v_sub_co_u32 v13, s15, v3, s25
	v_sub_co_ci_u32_e64 v14, null, 0, 0, s15
	s_mov_b32 s15, 0
	s_branch .LBB165_13
.LBB165_12:                             ;   in Loop: Header=BB165_13 Depth=1
	s_or_b32 exec_lo, exec_lo, s17
	v_add_co_u32 v1, vcc_lo, v1, 8
	v_add_co_ci_u32_e32 v2, vcc_lo, 0, v2, vcc_lo
	s_delay_alu instid0(VALU_DEP_1) | instskip(SKIP_1) | instid1(SALU_CYCLE_1)
	v_cmp_le_i64_e32 vcc_lo, s[2:3], v[1:2]
	s_or_b32 s15, vcc_lo, s15
	s_and_not1_b32 exec_lo, exec_lo, s15
	s_cbranch_execz .LBB165_28
.LBB165_13:                             ; =>This Loop Header: Depth=1
                                        ;     Child Loop BB165_16 Depth 2
                                        ;       Child Loop BB165_18 Depth 3
	v_lshlrev_b64 v[7:8], 2, v[1:2]
	s_mov_b32 s17, exec_lo
	s_delay_alu instid0(VALU_DEP_1) | instskip(NEXT) | instid1(VALU_DEP_2)
	v_add_co_u32 v3, vcc_lo, s18, v7
	v_add_co_ci_u32_e32 v4, vcc_lo, s19, v8, vcc_lo
	global_load_b32 v3, v[3:4], off
	s_waitcnt vmcnt(0)
	v_subrev_nc_u32_e32 v3, s24, v3
	s_delay_alu instid0(VALU_DEP_1) | instskip(NEXT) | instid1(VALU_DEP_1)
	v_ashrrev_i32_e32 v4, 31, v3
	v_lshlrev_b64 v[3:4], 3, v[3:4]
	s_delay_alu instid0(VALU_DEP_1) | instskip(NEXT) | instid1(VALU_DEP_2)
	v_add_co_u32 v3, vcc_lo, s22, v3
	v_add_co_ci_u32_e32 v4, vcc_lo, s23, v4, vcc_lo
	global_load_b128 v[15:18], v[3:4], off
	s_waitcnt vmcnt(0)
	v_sub_co_u32 v3, vcc_lo, v17, s16
	v_subrev_co_ci_u32_e32 v4, vcc_lo, 0, v18, vcc_lo
	v_add_co_u32 v5, vcc_lo, v15, v13
	v_add_co_ci_u32_e32 v6, vcc_lo, v16, v14, vcc_lo
	s_delay_alu instid0(VALU_DEP_1)
	v_cmpx_lt_i64_e64 v[5:6], v[3:4]
	s_cbranch_execz .LBB165_12
; %bb.14:                               ;   in Loop: Header=BB165_13 Depth=1
	v_add_co_u32 v7, vcc_lo, s20, v7
	v_add_co_ci_u32_e32 v8, vcc_lo, s21, v8, vcc_lo
	s_mov_b32 s35, 0
	global_load_b32 v7, v[7:8], off
	s_waitcnt vmcnt(0)
	v_mul_f32_e32 v7, v12, v7
	s_branch .LBB165_16
.LBB165_15:                             ;   in Loop: Header=BB165_16 Depth=2
	s_or_b32 exec_lo, exec_lo, s36
	v_add_co_u32 v5, vcc_lo, v5, 32
	v_add_co_ci_u32_e32 v6, vcc_lo, 0, v6, vcc_lo
	s_delay_alu instid0(VALU_DEP_1) | instskip(SKIP_1) | instid1(SALU_CYCLE_1)
	v_cmp_ge_i64_e32 vcc_lo, v[5:6], v[3:4]
	s_or_b32 s35, vcc_lo, s35
	s_and_not1_b32 exec_lo, exec_lo, s35
	s_cbranch_execz .LBB165_12
.LBB165_16:                             ;   Parent Loop BB165_13 Depth=1
                                        ; =>  This Loop Header: Depth=2
                                        ;       Child Loop BB165_18 Depth 3
	v_lshlrev_b64 v[15:16], 2, v[5:6]
	s_mov_b32 s36, 0
	s_delay_alu instid0(VALU_DEP_1) | instskip(NEXT) | instid1(VALU_DEP_2)
	v_add_co_u32 v17, vcc_lo, s28, v15
	v_add_co_ci_u32_e32 v18, vcc_lo, s29, v16, vcc_lo
	v_add_co_u32 v15, vcc_lo, s30, v15
	v_add_co_ci_u32_e32 v16, vcc_lo, s31, v16, vcc_lo
	global_load_b32 v8, v[17:18], off
	global_load_b32 v15, v[15:16], off
	s_waitcnt vmcnt(1)
	v_subrev_nc_u32_e32 v8, s25, v8
	s_delay_alu instid0(VALU_DEP_1) | instskip(SKIP_1) | instid1(VALU_DEP_1)
	v_mul_lo_u32 v16, 0x89, v8
	s_waitcnt vmcnt(0)
	v_dual_mul_f32 v15, v7, v15 :: v_dual_and_b32 v16, 0x1ff, v16
	s_branch .LBB165_18
.LBB165_17:                             ;   in Loop: Header=BB165_18 Depth=3
	s_or_b32 exec_lo, exec_lo, s37
	s_xor_b32 s37, s38, -1
	s_delay_alu instid0(SALU_CYCLE_1) | instskip(NEXT) | instid1(SALU_CYCLE_1)
	s_and_b32 s37, exec_lo, s37
	s_or_b32 s36, s37, s36
	s_delay_alu instid0(SALU_CYCLE_1)
	s_and_not1_b32 exec_lo, exec_lo, s36
	s_cbranch_execz .LBB165_15
.LBB165_18:                             ;   Parent Loop BB165_13 Depth=1
                                        ;     Parent Loop BB165_16 Depth=2
                                        ; =>    This Inner Loop Header: Depth=3
	s_delay_alu instid0(VALU_DEP_1)
	v_lshl_add_u32 v17, v16, 2, 0
	s_mov_b32 s37, exec_lo
                                        ; implicit-def: $sgpr38
	ds_load_b32 v18, v17
	s_waitcnt lgkmcnt(0)
	v_cmpx_ne_u32_e64 v18, v8
	s_xor_b32 s37, exec_lo, s37
	s_cbranch_execz .LBB165_26
; %bb.19:                               ;   in Loop: Header=BB165_18 Depth=3
	s_mov_b32 s39, exec_lo
                                        ; implicit-def: $sgpr38
	v_cmpx_ne_u32_e64 s33, v18
	s_xor_b32 s39, exec_lo, s39
; %bb.20:                               ;   in Loop: Header=BB165_18 Depth=3
	v_add_nc_u32_e32 v16, 1, v16
	s_mov_b32 s38, -1
                                        ; implicit-def: $vgpr17
	s_delay_alu instid0(VALU_DEP_1)
	v_and_b32_e32 v16, 0x1ff, v16
; %bb.21:                               ;   in Loop: Header=BB165_18 Depth=3
	s_and_not1_saveexec_b32 s39, s39
	s_cbranch_execz .LBB165_25
; %bb.22:                               ;   in Loop: Header=BB165_18 Depth=3
	v_mov_b32_e32 v18, s33
	s_mov_b32 s40, -1
	s_mov_b32 s41, exec_lo
	ds_cmpstore_rtn_b32 v18, v17, v8, v18
	s_waitcnt lgkmcnt(0)
	v_cmpx_eq_u32_e64 s33, v18
	s_cbranch_execz .LBB165_24
; %bb.23:                               ;   in Loop: Header=BB165_18 Depth=3
	ds_add_f32 v17, v15 offset:2048
	s_xor_b32 s40, exec_lo, -1
.LBB165_24:                             ;   in Loop: Header=BB165_18 Depth=3
	s_or_b32 exec_lo, exec_lo, s41
	s_delay_alu instid0(SALU_CYCLE_1) | instskip(SKIP_1) | instid1(SALU_CYCLE_1)
	s_and_not1_b32 s38, s38, exec_lo
	s_and_b32 s40, s40, exec_lo
	s_or_b32 s38, s38, s40
.LBB165_25:                             ;   in Loop: Header=BB165_18 Depth=3
	s_or_b32 exec_lo, exec_lo, s39
	s_delay_alu instid0(SALU_CYCLE_1)
	s_and_b32 s38, s38, exec_lo
                                        ; implicit-def: $vgpr17
.LBB165_26:                             ;   in Loop: Header=BB165_18 Depth=3
	s_and_not1_saveexec_b32 s37, s37
	s_cbranch_execz .LBB165_17
; %bb.27:                               ;   in Loop: Header=BB165_18 Depth=3
	ds_add_f32 v17, v15 offset:2048
	s_and_not1_b32 s38, s38, exec_lo
	s_branch .LBB165_17
.LBB165_28:
	s_or_b32 exec_lo, exec_lo, s1
.LBB165_29:
	s_delay_alu instid0(SALU_CYCLE_1)
	s_and_not1_b32 vcc_lo, exec_lo, s34
	s_cbranch_vccnz .LBB165_32
; %bb.30:
	s_waitcnt lgkmcnt(0)
	s_ashr_i32 s15, s14, 31
	v_sub_co_u32 v1, s1, v0, s27
	s_lshl_b64 s[2:3], s[14:15], 3
	v_sub_co_ci_u32_e64 v2, null, 0, 0, s1
	s_add_u32 s2, s4, s2
	s_addc_u32 s3, s5, s3
	s_mov_b32 s4, 0
	s_load_b128 s[16:19], s[2:3], 0x0
	s_mov_b32 s1, exec_lo
	s_waitcnt lgkmcnt(0)
	v_add_co_u32 v1, vcc_lo, s16, v1
	v_add_co_ci_u32_e32 v2, vcc_lo, s17, v2, vcc_lo
	s_sub_u32 s2, s18, s27
	s_subb_u32 s3, s19, 0
	s_delay_alu instid0(VALU_DEP_1) | instid1(SALU_CYCLE_1)
	v_cmpx_gt_i64_e64 s[2:3], v[1:2]
	s_cbranch_execnz .LBB165_46
.LBB165_31:
	s_or_b32 exec_lo, exec_lo, s1
.LBB165_32:
	s_waitcnt lgkmcnt(0)
	s_barrier
	buffer_gl0_inv
	s_and_saveexec_b32 s4, s0
	s_cbranch_execz .LBB165_58
; %bb.33:
	v_mbcnt_lo_u32_b32 v1, -1, 0
	v_lshrrev_b32_e32 v2, 4, v0
	v_cmp_eq_u32_e32 vcc_lo, 0xff, v0
	v_cmp_lt_u32_e64 s0, 63, v0
	v_cmp_lt_u32_e64 s1, 0x7f, v0
	v_xor_b32_e32 v1, 63, v1
	v_dual_mov_b32 v6, 0 :: v_dual_and_b32 v3, 12, v2
	v_cmp_lt_u32_e64 s2, 0xbf, v0
	s_mov_b32 s5, 0
	s_delay_alu instid0(VALU_DEP_3) | instskip(NEXT) | instid1(VALU_DEP_3)
	v_lshrrev_b64 v[1:2], v1, -1
	v_dual_mov_b32 v5, 0 :: v_dual_add_nc_u32 v4, 0, v3
	s_branch .LBB165_35
.LBB165_34:                             ;   in Loop: Header=BB165_35 Depth=1
	s_or_b32 exec_lo, exec_lo, s3
	s_waitcnt lgkmcnt(0)
	s_barrier
	buffer_gl0_inv
	ds_load_b32 v2, v5 offset:4108
	v_add_co_u32 v9, s3, 0x100, v9
	s_delay_alu instid0(VALU_DEP_1) | instskip(SKIP_2) | instid1(SALU_CYCLE_1)
	s_xor_b32 s3, s3, -1
	v_add_nc_u32_e32 v10, 0x400, v10
	s_and_b32 s3, exec_lo, s3
	s_or_b32 s5, s3, s5
	s_waitcnt lgkmcnt(0)
	v_add_nc_u32_e32 v6, v2, v6
	s_and_not1_b32 exec_lo, exec_lo, s5
	s_cbranch_execz .LBB165_58
.LBB165_35:                             ; =>This Inner Loop Header: Depth=1
	ds_load_2addr_stride64_b32 v[2:3], v10 offset1:8
	s_waitcnt lgkmcnt(0)
	s_barrier
	buffer_gl0_inv
	v_cmp_gt_i32_e64 s3, s33, v2
	s_delay_alu instid0(VALU_DEP_1) | instskip(NEXT) | instid1(SALU_CYCLE_1)
	s_bcnt1_i32_b32 s6, s3
	v_dual_mov_b32 v8, s6 :: v_dual_and_b32 v7, s3, v1
	s_delay_alu instid0(VALU_DEP_1)
	v_bcnt_u32_b32 v7, v7, 0
	ds_store_b32 v4, v8 offset:4096
	s_waitcnt lgkmcnt(0)
	s_barrier
	buffer_gl0_inv
	s_and_saveexec_b32 s6, s0
	s_cbranch_execnz .LBB165_40
; %bb.36:                               ;   in Loop: Header=BB165_35 Depth=1
	s_or_b32 exec_lo, exec_lo, s6
	s_and_saveexec_b32 s6, s1
	s_cbranch_execnz .LBB165_41
.LBB165_37:                             ;   in Loop: Header=BB165_35 Depth=1
	s_or_b32 exec_lo, exec_lo, s6
	s_and_saveexec_b32 s6, s2
	s_cbranch_execnz .LBB165_42
.LBB165_38:                             ;   in Loop: Header=BB165_35 Depth=1
	s_or_b32 exec_lo, exec_lo, s6
	s_and_saveexec_b32 s6, s3
	s_cbranch_execnz .LBB165_43
.LBB165_39:                             ;   in Loop: Header=BB165_35 Depth=1
	s_or_b32 exec_lo, exec_lo, s6
	s_and_saveexec_b32 s3, vcc_lo
	s_cbranch_execz .LBB165_34
	s_branch .LBB165_44
.LBB165_40:                             ;   in Loop: Header=BB165_35 Depth=1
	ds_load_b32 v8, v5 offset:4096
	s_waitcnt lgkmcnt(0)
	v_add_nc_u32_e32 v7, v8, v7
	s_or_b32 exec_lo, exec_lo, s6
	s_and_saveexec_b32 s6, s1
	s_cbranch_execz .LBB165_37
.LBB165_41:                             ;   in Loop: Header=BB165_35 Depth=1
	ds_load_b32 v8, v5 offset:4100
	s_waitcnt lgkmcnt(0)
	v_add_nc_u32_e32 v7, v8, v7
	s_or_b32 exec_lo, exec_lo, s6
	s_and_saveexec_b32 s6, s2
	s_cbranch_execz .LBB165_38
.LBB165_42:                             ;   in Loop: Header=BB165_35 Depth=1
	ds_load_b32 v8, v5 offset:4104
	s_waitcnt lgkmcnt(0)
	v_add_nc_u32_e32 v7, v8, v7
	s_or_b32 exec_lo, exec_lo, s6
	s_and_saveexec_b32 s6, s3
	s_cbranch_execz .LBB165_39
.LBB165_43:                             ;   in Loop: Header=BB165_35 Depth=1
	s_delay_alu instid0(VALU_DEP_1) | instskip(NEXT) | instid1(VALU_DEP_1)
	v_add3_u32 v8, v6, -1, v7
	v_lshl_add_u32 v8, v8, 2, 0
	ds_store_2addr_stride64_b32 v8, v2, v3 offset1:8
	s_or_b32 exec_lo, exec_lo, s6
	s_and_saveexec_b32 s3, vcc_lo
	s_cbranch_execz .LBB165_34
.LBB165_44:                             ;   in Loop: Header=BB165_35 Depth=1
	ds_store_b32 v5, v7 offset:4108
	s_branch .LBB165_34
.LBB165_45:                             ;   in Loop: Header=BB165_46 Depth=1
	s_or_b32 exec_lo, exec_lo, s5
	v_add_co_u32 v1, vcc_lo, 0x100, v1
	v_add_co_ci_u32_e32 v2, vcc_lo, 0, v2, vcc_lo
	s_delay_alu instid0(VALU_DEP_1) | instskip(SKIP_1) | instid1(SALU_CYCLE_1)
	v_cmp_le_i64_e32 vcc_lo, s[2:3], v[1:2]
	s_or_b32 s4, vcc_lo, s4
	s_and_not1_b32 exec_lo, exec_lo, s4
	s_cbranch_execz .LBB165_31
.LBB165_46:                             ; =>This Loop Header: Depth=1
                                        ;     Child Loop BB165_48 Depth 2
	v_lshlrev_b64 v[3:4], 2, v[1:2]
	s_mov_b32 s5, 0
	s_delay_alu instid0(VALU_DEP_1) | instskip(NEXT) | instid1(VALU_DEP_2)
	v_add_co_u32 v5, vcc_lo, s6, v3
	v_add_co_ci_u32_e32 v6, vcc_lo, s7, v4, vcc_lo
	v_add_co_u32 v3, vcc_lo, s8, v3
	v_add_co_ci_u32_e32 v4, vcc_lo, s9, v4, vcc_lo
	global_load_b32 v5, v[5:6], off
	global_load_b32 v4, v[3:4], off
	s_waitcnt vmcnt(1)
	v_subrev_nc_u32_e32 v3, s27, v5
	s_delay_alu instid0(VALU_DEP_1) | instskip(SKIP_1) | instid1(VALU_DEP_1)
	v_mul_lo_u32 v5, 0x89, v3
	s_waitcnt vmcnt(0)
	v_dual_mul_f32 v4, v11, v4 :: v_dual_and_b32 v5, 0x1ff, v5
	s_branch .LBB165_48
.LBB165_47:                             ;   in Loop: Header=BB165_48 Depth=2
	s_or_b32 exec_lo, exec_lo, s15
	s_xor_b32 s15, s16, -1
	s_delay_alu instid0(SALU_CYCLE_1) | instskip(NEXT) | instid1(SALU_CYCLE_1)
	s_and_b32 s15, exec_lo, s15
	s_or_b32 s5, s15, s5
	s_delay_alu instid0(SALU_CYCLE_1)
	s_and_not1_b32 exec_lo, exec_lo, s5
	s_cbranch_execz .LBB165_45
.LBB165_48:                             ;   Parent Loop BB165_46 Depth=1
                                        ; =>  This Inner Loop Header: Depth=2
	s_delay_alu instid0(VALU_DEP_1)
	v_lshl_add_u32 v6, v5, 2, 0
	s_mov_b32 s15, exec_lo
                                        ; implicit-def: $sgpr16
	ds_load_b32 v7, v6
	s_waitcnt lgkmcnt(0)
	v_cmpx_ne_u32_e64 v7, v3
	s_xor_b32 s15, exec_lo, s15
	s_cbranch_execz .LBB165_56
; %bb.49:                               ;   in Loop: Header=BB165_48 Depth=2
	s_mov_b32 s17, exec_lo
                                        ; implicit-def: $sgpr16
	v_cmpx_ne_u32_e64 s33, v7
	s_xor_b32 s17, exec_lo, s17
; %bb.50:                               ;   in Loop: Header=BB165_48 Depth=2
	v_add_nc_u32_e32 v5, 1, v5
	s_mov_b32 s16, -1
                                        ; implicit-def: $vgpr6
	s_delay_alu instid0(VALU_DEP_1)
	v_and_b32_e32 v5, 0x1ff, v5
; %bb.51:                               ;   in Loop: Header=BB165_48 Depth=2
	s_and_not1_saveexec_b32 s17, s17
	s_cbranch_execz .LBB165_55
; %bb.52:                               ;   in Loop: Header=BB165_48 Depth=2
	v_mov_b32_e32 v7, s33
	s_mov_b32 s18, -1
	s_mov_b32 s19, exec_lo
	ds_cmpstore_rtn_b32 v7, v6, v3, v7
	s_waitcnt lgkmcnt(0)
	v_cmpx_eq_u32_e64 s33, v7
	s_cbranch_execz .LBB165_54
; %bb.53:                               ;   in Loop: Header=BB165_48 Depth=2
	ds_add_f32 v6, v4 offset:2048
	s_xor_b32 s18, exec_lo, -1
.LBB165_54:                             ;   in Loop: Header=BB165_48 Depth=2
	s_or_b32 exec_lo, exec_lo, s19
	s_delay_alu instid0(SALU_CYCLE_1) | instskip(SKIP_1) | instid1(SALU_CYCLE_1)
	s_and_not1_b32 s16, s16, exec_lo
	s_and_b32 s18, s18, exec_lo
	s_or_b32 s16, s16, s18
.LBB165_55:                             ;   in Loop: Header=BB165_48 Depth=2
	s_or_b32 exec_lo, exec_lo, s17
	s_delay_alu instid0(SALU_CYCLE_1)
	s_and_b32 s16, s16, exec_lo
                                        ; implicit-def: $vgpr6
.LBB165_56:                             ;   in Loop: Header=BB165_48 Depth=2
	s_and_not1_saveexec_b32 s15, s15
	s_cbranch_execz .LBB165_47
; %bb.57:                               ;   in Loop: Header=BB165_48 Depth=2
	ds_add_f32 v6, v4 offset:2048
	s_and_not1_b32 s16, s16, exec_lo
	s_branch .LBB165_47
.LBB165_58:
	s_or_b32 exec_lo, exec_lo, s4
	s_ashr_i32 s15, s14, 31
	s_mov_b32 s4, exec_lo
	s_lshl_b64 s[0:1], s[14:15], 3
	s_delay_alu instid0(SALU_CYCLE_1) | instskip(SKIP_4) | instid1(SALU_CYCLE_1)
	s_add_u32 s0, s10, s0
	s_addc_u32 s1, s11, s1
	s_load_b128 s[0:3], s[0:1], 0x0
	s_waitcnt lgkmcnt(0)
	s_sub_i32 s3, s2, s0
	v_cmpx_gt_i32_e64 s3, v0
	s_cbranch_execz .LBB165_68
; %bb.59:
	s_sub_u32 s4, s0, s26
	s_subb_u32 s5, s1, 0
	s_sub_i32 s0, s0, s2
	s_and_b32 s1, s3, 7
	s_cmp_lt_u32 s0, -7
	s_mov_b32 s8, 0
	s_cselect_b32 s2, -1, 0
	s_and_b32 s6, s3, -8
	s_cmp_lg_u32 s1, 0
	s_cselect_b32 s7, -1, 0
	s_branch .LBB165_61
.LBB165_60:                             ;   in Loop: Header=BB165_61 Depth=1
	s_delay_alu instid0(VALU_DEP_1) | instskip(SKIP_1) | instid1(VALU_DEP_1)
	v_lshlrev_b64 v[3:4], 2, v[3:4]
	v_add_nc_u32_e32 v0, 0x100, v0
	v_cmp_le_i32_e32 vcc_lo, s3, v0
	s_delay_alu instid0(VALU_DEP_3) | instskip(NEXT) | instid1(VALU_DEP_1)
	v_add_co_u32 v3, s0, s12, v3
	v_add_co_ci_u32_e64 v4, s0, s13, v4, s0
	s_or_b32 s8, vcc_lo, s8
	s_waitcnt lgkmcnt(0)
	global_store_b32 v[3:4], v2, off
	s_and_not1_b32 exec_lo, exec_lo, s8
	s_cbranch_execz .LBB165_68
.LBB165_61:                             ; =>This Loop Header: Depth=1
                                        ;     Child Loop BB165_63 Depth 2
                                        ;     Child Loop BB165_67 Depth 2
	v_lshl_add_u32 v1, v0, 2, 0
	v_dual_mov_b32 v3, s4 :: v_dual_mov_b32 v4, s5
	s_and_not1_b32 vcc_lo, exec_lo, s2
	s_mov_b32 s0, 0
	ds_load_2addr_stride64_b32 v[1:2], v1 offset1:8
	s_cbranch_vccnz .LBB165_65
; %bb.62:                               ;   in Loop: Header=BB165_61 Depth=1
	v_dual_mov_b32 v3, s4 :: v_dual_mov_b32 v4, s5
	s_mov_b32 s9, 0
	s_mov_b32 s10, 0
.LBB165_63:                             ;   Parent Loop BB165_61 Depth=1
                                        ; =>  This Inner Loop Header: Depth=2
	s_delay_alu instid0(SALU_CYCLE_1)
	v_mov_b32_e32 v11, s10
	s_add_i32 s9, s9, 8
	s_add_i32 s10, s10, 32
	s_cmp_eq_u32 s6, s9
	ds_load_2addr_b32 v[5:6], v11 offset1:1
	ds_load_2addr_b32 v[7:8], v11 offset0:2 offset1:3
	ds_load_2addr_b32 v[9:10], v11 offset0:4 offset1:5
	;; [unrolled: 1-line block ×3, first 2 shown]
	s_waitcnt lgkmcnt(3)
	v_cmp_gt_i32_e32 vcc_lo, v1, v5
	v_cndmask_b32_e64 v5, 0, 1, vcc_lo
	v_cmp_gt_i32_e32 vcc_lo, v1, v6
	v_cndmask_b32_e64 v6, 0, 1, vcc_lo
	s_waitcnt lgkmcnt(2)
	v_cmp_gt_i32_e32 vcc_lo, v1, v7
	v_cndmask_b32_e64 v7, 0, 1, vcc_lo
	v_cmp_gt_i32_e32 vcc_lo, v1, v8
	v_cndmask_b32_e64 v8, 0, 1, vcc_lo
	s_waitcnt lgkmcnt(1)
	v_cmp_gt_i32_e32 vcc_lo, v1, v9
	v_cndmask_b32_e64 v9, 0, 1, vcc_lo
	v_add_co_u32 v3, vcc_lo, v3, v5
	v_add_co_ci_u32_e32 v4, vcc_lo, 0, v4, vcc_lo
	v_cmp_gt_i32_e32 vcc_lo, v1, v10
	s_delay_alu instid0(VALU_DEP_3) | instskip(NEXT) | instid1(VALU_DEP_1)
	v_add_co_u32 v3, s0, v3, v6
	v_add_co_ci_u32_e64 v4, s0, 0, v4, s0
	v_cndmask_b32_e64 v5, 0, 1, vcc_lo
	s_delay_alu instid0(VALU_DEP_3) | instskip(NEXT) | instid1(VALU_DEP_3)
	v_add_co_u32 v3, vcc_lo, v3, v7
	v_add_co_ci_u32_e32 v4, vcc_lo, 0, v4, vcc_lo
	s_waitcnt lgkmcnt(0)
	v_cmp_gt_i32_e32 vcc_lo, v1, v11
	s_delay_alu instid0(VALU_DEP_3) | instskip(NEXT) | instid1(VALU_DEP_1)
	v_add_co_u32 v3, s0, v3, v8
	v_add_co_ci_u32_e64 v4, s0, 0, v4, s0
	v_cndmask_b32_e64 v6, 0, 1, vcc_lo
	s_delay_alu instid0(VALU_DEP_3) | instskip(NEXT) | instid1(VALU_DEP_3)
	v_add_co_u32 v3, vcc_lo, v3, v9
	v_add_co_ci_u32_e32 v4, vcc_lo, 0, v4, vcc_lo
	v_cmp_gt_i32_e32 vcc_lo, v1, v12
	s_delay_alu instid0(VALU_DEP_3) | instskip(NEXT) | instid1(VALU_DEP_1)
	v_add_co_u32 v3, s0, v3, v5
	v_add_co_ci_u32_e64 v4, s0, 0, v4, s0
	v_cndmask_b32_e64 v5, 0, 1, vcc_lo
	s_delay_alu instid0(VALU_DEP_3) | instskip(NEXT) | instid1(VALU_DEP_3)
	v_add_co_u32 v3, vcc_lo, v3, v6
	v_add_co_ci_u32_e32 v4, vcc_lo, 0, v4, vcc_lo
	s_delay_alu instid0(VALU_DEP_2) | instskip(NEXT) | instid1(VALU_DEP_2)
	v_add_co_u32 v3, vcc_lo, v3, v5
	v_add_co_ci_u32_e32 v4, vcc_lo, 0, v4, vcc_lo
	s_cbranch_scc0 .LBB165_63
; %bb.64:                               ;   in Loop: Header=BB165_61 Depth=1
	s_mov_b32 s0, s6
.LBB165_65:                             ;   in Loop: Header=BB165_61 Depth=1
	s_and_not1_b32 vcc_lo, exec_lo, s7
	s_cbranch_vccnz .LBB165_60
; %bb.66:                               ;   in Loop: Header=BB165_61 Depth=1
	s_lshl_b32 s0, s0, 2
	s_mov_b32 s9, s1
	s_add_i32 s0, s0, 0
.LBB165_67:                             ;   Parent Loop BB165_61 Depth=1
                                        ; =>  This Inner Loop Header: Depth=2
	s_delay_alu instid0(SALU_CYCLE_1)
	v_mov_b32_e32 v5, s0
	s_add_i32 s9, s9, -1
	s_add_i32 s0, s0, 4
	s_cmp_lg_u32 s9, 0
	ds_load_b32 v5, v5
	s_waitcnt lgkmcnt(0)
	v_cmp_gt_i32_e32 vcc_lo, v1, v5
	v_cndmask_b32_e64 v5, 0, 1, vcc_lo
	s_delay_alu instid0(VALU_DEP_1)
	v_add_co_u32 v3, vcc_lo, v3, v5
	v_add_co_ci_u32_e32 v4, vcc_lo, 0, v4, vcc_lo
	s_cbranch_scc1 .LBB165_67
	s_branch .LBB165_60
.LBB165_68:
	s_nop 0
	s_sendmsg sendmsg(MSG_DEALLOC_VGPRS)
	s_endpgm
	.section	.rodata,"a",@progbits
	.p2align	6, 0x0
	.amdhsa_kernel _ZN9rocsparseL41csrgemm_numeric_fill_block_per_row_kernelILj256ELj32ELj512ELj137ELj64ElifEEvT5_PKS1_S3_NS_24const_host_device_scalarIT6_EEPKT4_S3_PKS5_S9_S3_SB_S6_S9_S3_SB_S9_S3_PS5_21rocsparse_index_base_SD_SD_SD_bbb
		.amdhsa_group_segment_fixed_size 0
		.amdhsa_private_segment_fixed_size 0
		.amdhsa_kernarg_size 156
		.amdhsa_user_sgpr_count 15
		.amdhsa_user_sgpr_dispatch_ptr 0
		.amdhsa_user_sgpr_queue_ptr 0
		.amdhsa_user_sgpr_kernarg_segment_ptr 1
		.amdhsa_user_sgpr_dispatch_id 0
		.amdhsa_user_sgpr_private_segment_size 0
		.amdhsa_wavefront_size32 1
		.amdhsa_uses_dynamic_stack 0
		.amdhsa_enable_private_segment 0
		.amdhsa_system_sgpr_workgroup_id_x 1
		.amdhsa_system_sgpr_workgroup_id_y 0
		.amdhsa_system_sgpr_workgroup_id_z 0
		.amdhsa_system_sgpr_workgroup_info 0
		.amdhsa_system_vgpr_workitem_id 0
		.amdhsa_next_free_vgpr 19
		.amdhsa_next_free_sgpr 42
		.amdhsa_reserve_vcc 1
		.amdhsa_float_round_mode_32 0
		.amdhsa_float_round_mode_16_64 0
		.amdhsa_float_denorm_mode_32 3
		.amdhsa_float_denorm_mode_16_64 3
		.amdhsa_dx10_clamp 1
		.amdhsa_ieee_mode 1
		.amdhsa_fp16_overflow 0
		.amdhsa_workgroup_processor_mode 1
		.amdhsa_memory_ordered 1
		.amdhsa_forward_progress 0
		.amdhsa_shared_vgpr_count 0
		.amdhsa_exception_fp_ieee_invalid_op 0
		.amdhsa_exception_fp_denorm_src 0
		.amdhsa_exception_fp_ieee_div_zero 0
		.amdhsa_exception_fp_ieee_overflow 0
		.amdhsa_exception_fp_ieee_underflow 0
		.amdhsa_exception_fp_ieee_inexact 0
		.amdhsa_exception_int_div_zero 0
	.end_amdhsa_kernel
	.section	.text._ZN9rocsparseL41csrgemm_numeric_fill_block_per_row_kernelILj256ELj32ELj512ELj137ELj64ElifEEvT5_PKS1_S3_NS_24const_host_device_scalarIT6_EEPKT4_S3_PKS5_S9_S3_SB_S6_S9_S3_SB_S9_S3_PS5_21rocsparse_index_base_SD_SD_SD_bbb,"axG",@progbits,_ZN9rocsparseL41csrgemm_numeric_fill_block_per_row_kernelILj256ELj32ELj512ELj137ELj64ElifEEvT5_PKS1_S3_NS_24const_host_device_scalarIT6_EEPKT4_S3_PKS5_S9_S3_SB_S6_S9_S3_SB_S9_S3_PS5_21rocsparse_index_base_SD_SD_SD_bbb,comdat
.Lfunc_end165:
	.size	_ZN9rocsparseL41csrgemm_numeric_fill_block_per_row_kernelILj256ELj32ELj512ELj137ELj64ElifEEvT5_PKS1_S3_NS_24const_host_device_scalarIT6_EEPKT4_S3_PKS5_S9_S3_SB_S6_S9_S3_SB_S9_S3_PS5_21rocsparse_index_base_SD_SD_SD_bbb, .Lfunc_end165-_ZN9rocsparseL41csrgemm_numeric_fill_block_per_row_kernelILj256ELj32ELj512ELj137ELj64ElifEEvT5_PKS1_S3_NS_24const_host_device_scalarIT6_EEPKT4_S3_PKS5_S9_S3_SB_S6_S9_S3_SB_S9_S3_PS5_21rocsparse_index_base_SD_SD_SD_bbb
                                        ; -- End function
	.section	.AMDGPU.csdata,"",@progbits
; Kernel info:
; codeLenInByte = 2692
; NumSgprs: 44
; NumVgprs: 19
; ScratchSize: 0
; MemoryBound: 0
; FloatMode: 240
; IeeeMode: 1
; LDSByteSize: 0 bytes/workgroup (compile time only)
; SGPRBlocks: 5
; VGPRBlocks: 2
; NumSGPRsForWavesPerEU: 44
; NumVGPRsForWavesPerEU: 19
; Occupancy: 16
; WaveLimiterHint : 1
; COMPUTE_PGM_RSRC2:SCRATCH_EN: 0
; COMPUTE_PGM_RSRC2:USER_SGPR: 15
; COMPUTE_PGM_RSRC2:TRAP_HANDLER: 0
; COMPUTE_PGM_RSRC2:TGID_X_EN: 1
; COMPUTE_PGM_RSRC2:TGID_Y_EN: 0
; COMPUTE_PGM_RSRC2:TGID_Z_EN: 0
; COMPUTE_PGM_RSRC2:TIDIG_COMP_CNT: 0
	.section	.text._ZN9rocsparseL41csrgemm_numeric_fill_block_per_row_kernelILj512ELj32ELj1024ELj137ELj32ElifEEvT5_PKS1_S3_NS_24const_host_device_scalarIT6_EEPKT4_S3_PKS5_S9_S3_SB_S6_S9_S3_SB_S9_S3_PS5_21rocsparse_index_base_SD_SD_SD_bbb,"axG",@progbits,_ZN9rocsparseL41csrgemm_numeric_fill_block_per_row_kernelILj512ELj32ELj1024ELj137ELj32ElifEEvT5_PKS1_S3_NS_24const_host_device_scalarIT6_EEPKT4_S3_PKS5_S9_S3_SB_S6_S9_S3_SB_S9_S3_PS5_21rocsparse_index_base_SD_SD_SD_bbb,comdat
	.globl	_ZN9rocsparseL41csrgemm_numeric_fill_block_per_row_kernelILj512ELj32ELj1024ELj137ELj32ElifEEvT5_PKS1_S3_NS_24const_host_device_scalarIT6_EEPKT4_S3_PKS5_S9_S3_SB_S6_S9_S3_SB_S9_S3_PS5_21rocsparse_index_base_SD_SD_SD_bbb ; -- Begin function _ZN9rocsparseL41csrgemm_numeric_fill_block_per_row_kernelILj512ELj32ELj1024ELj137ELj32ElifEEvT5_PKS1_S3_NS_24const_host_device_scalarIT6_EEPKT4_S3_PKS5_S9_S3_SB_S6_S9_S3_SB_S9_S3_PS5_21rocsparse_index_base_SD_SD_SD_bbb
	.p2align	8
	.type	_ZN9rocsparseL41csrgemm_numeric_fill_block_per_row_kernelILj512ELj32ELj1024ELj137ELj32ElifEEvT5_PKS1_S3_NS_24const_host_device_scalarIT6_EEPKT4_S3_PKS5_S9_S3_SB_S6_S9_S3_SB_S9_S3_PS5_21rocsparse_index_base_SD_SD_SD_bbb,@function
_ZN9rocsparseL41csrgemm_numeric_fill_block_per_row_kernelILj512ELj32ELj1024ELj137ELj32ElifEEvT5_PKS1_S3_NS_24const_host_device_scalarIT6_EEPKT4_S3_PKS5_S9_S3_SB_S6_S9_S3_SB_S9_S3_PS5_21rocsparse_index_base_SD_SD_SD_bbb: ; @_ZN9rocsparseL41csrgemm_numeric_fill_block_per_row_kernelILj512ELj32ELj1024ELj137ELj32ElifEEvT5_PKS1_S3_NS_24const_host_device_scalarIT6_EEPKT4_S3_PKS5_S9_S3_SB_S6_S9_S3_SB_S9_S3_PS5_21rocsparse_index_base_SD_SD_SD_bbb
; %bb.0:
	s_clause 0x3
	s_load_b32 s12, s[0:1], 0x98
	s_load_b128 s[24:27], s[0:1], 0x88
	s_load_b64 s[4:5], s[0:1], 0x18
	s_load_b64 s[2:3], s[0:1], 0x50
	s_waitcnt lgkmcnt(0)
	s_bitcmp1_b32 s12, 0
	s_cselect_b32 s13, -1, 0
	s_bitcmp1_b32 s12, 16
	s_cselect_b32 s14, -1, 0
	s_xor_b32 s6, s13, -1
	s_delay_alu instid0(SALU_CYCLE_1) | instskip(NEXT) | instid1(SALU_CYCLE_1)
	s_or_b32 s6, s6, s14
	s_and_b32 vcc_lo, exec_lo, s6
	s_cbranch_vccnz .LBB166_2
; %bb.1:
	s_load_b32 s4, s[4:5], 0x0
	s_waitcnt lgkmcnt(0)
	v_mov_b32_e32 v13, s4
	s_branch .LBB166_3
.LBB166_2:
	v_cndmask_b32_e64 v13, 0, s4, s13
.LBB166_3:
	s_clause 0x4
	s_load_b64 s[34:35], s[0:1], 0x80
	s_load_b256 s[16:23], s[0:1], 0x58
	s_load_b128 s[28:31], s[0:1], 0x40
	s_load_b128 s[36:39], s[0:1], 0x8
	s_load_b256 s[4:11], s[0:1], 0x20
	s_bitcmp1_b32 s12, 8
	s_cselect_b32 s12, -1, 0
	s_delay_alu instid0(SALU_CYCLE_1) | instskip(NEXT) | instid1(SALU_CYCLE_1)
	s_xor_b32 s33, s12, -1
	s_or_b32 s14, s33, s14
	s_delay_alu instid0(SALU_CYCLE_1)
	s_and_b32 vcc_lo, exec_lo, s14
	s_cbranch_vccnz .LBB166_5
; %bb.4:
	s_load_b32 s2, s[2:3], 0x0
	s_waitcnt lgkmcnt(0)
	v_mov_b32_e32 v11, s2
	s_branch .LBB166_6
.LBB166_5:
	v_cndmask_b32_e64 v11, 0, s2, s12
.LBB166_6:
	s_load_b32 s33, s[0:1], 0x0
	v_lshl_add_u32 v9, v0, 2, 0
	v_or_b32_e32 v10, 0xfffffe00, v0
	v_mov_b32_e32 v1, 0
	s_mov_b32 s0, 0
	s_delay_alu instid0(VALU_DEP_3)
	v_mov_b32_e32 v2, v9
	s_waitcnt lgkmcnt(0)
	v_dual_mov_b32 v4, v10 :: v_dual_mov_b32 v3, s33
.LBB166_7:                              ; =>This Inner Loop Header: Depth=1
	s_delay_alu instid0(VALU_DEP_1) | instskip(NEXT) | instid1(VALU_DEP_1)
	v_add_co_u32 v4, s1, 0x200, v4
	s_xor_b32 s1, s1, -1
	ds_store_2addr_stride64_b32 v2, v3, v1 offset1:16
	v_add_nc_u32_e32 v2, 0x800, v2
	s_and_b32 s1, exec_lo, s1
	s_delay_alu instid0(SALU_CYCLE_1) | instskip(NEXT) | instid1(SALU_CYCLE_1)
	s_or_b32 s0, s1, s0
	s_and_not1_b32 exec_lo, exec_lo, s0
	s_cbranch_execnz .LBB166_7
; %bb.8:
	s_or_b32 exec_lo, exec_lo, s0
	s_waitcnt lgkmcnt(0)
	s_barrier
	buffer_gl0_inv
	s_load_b32 s0, s[36:37], 0x0
	s_mov_b32 s1, 0
	v_lshrrev_b32_e32 v12, 5, v0
	s_waitcnt lgkmcnt(0)
	s_add_i32 s0, s0, s15
	s_delay_alu instid0(SALU_CYCLE_1) | instskip(NEXT) | instid1(SALU_CYCLE_1)
	s_lshl_b64 s[0:1], s[0:1], 2
	s_add_u32 s0, s38, s0
	s_addc_u32 s1, s39, s1
	s_and_b32 vcc_lo, exec_lo, s13
	s_load_b32 s36, s[0:1], 0x0
	s_cbranch_vccz .LBB166_28
; %bb.9:
	s_waitcnt lgkmcnt(0)
	s_ashr_i32 s37, s36, 31
	s_delay_alu instid0(SALU_CYCLE_1) | instskip(NEXT) | instid1(SALU_CYCLE_1)
	s_lshl_b64 s[0:1], s[36:37], 3
	s_add_u32 s0, s4, s0
	s_addc_u32 s1, s5, s1
	v_sub_co_u32 v1, s4, v12, s24
	s_load_b128 s[0:3], s[0:1], 0x0
	v_sub_co_ci_u32_e64 v2, null, 0, 0, s4
	s_waitcnt lgkmcnt(0)
	s_delay_alu instid0(VALU_DEP_2) | instskip(NEXT) | instid1(VALU_DEP_2)
	v_add_co_u32 v1, vcc_lo, s0, v1
	v_add_co_ci_u32_e32 v2, vcc_lo, s1, v2, vcc_lo
	s_sub_u32 s0, s2, s24
	s_subb_u32 s1, s3, 0
	s_mov_b32 s2, exec_lo
	s_delay_alu instid0(VALU_DEP_1)
	v_cmpx_gt_i64_e64 s[0:1], v[1:2]
	s_cbranch_execz .LBB166_27
; %bb.10:
	v_and_b32_e32 v3, 31, v0
	s_mov_b32 s4, s25
	s_delay_alu instid0(VALU_DEP_1) | instskip(NEXT) | instid1(VALU_DEP_1)
	v_sub_co_u32 v14, s3, v3, s25
	v_sub_co_ci_u32_e64 v15, null, 0, 0, s3
	s_mov_b32 s3, 0
	s_branch .LBB166_12
.LBB166_11:                             ;   in Loop: Header=BB166_12 Depth=1
	s_or_b32 exec_lo, exec_lo, s5
	v_add_co_u32 v1, vcc_lo, v1, 16
	v_add_co_ci_u32_e32 v2, vcc_lo, 0, v2, vcc_lo
	s_delay_alu instid0(VALU_DEP_1) | instskip(SKIP_1) | instid1(SALU_CYCLE_1)
	v_cmp_le_i64_e32 vcc_lo, s[0:1], v[1:2]
	s_or_b32 s3, vcc_lo, s3
	s_and_not1_b32 exec_lo, exec_lo, s3
	s_cbranch_execz .LBB166_27
.LBB166_12:                             ; =>This Loop Header: Depth=1
                                        ;     Child Loop BB166_15 Depth 2
                                        ;       Child Loop BB166_17 Depth 3
	v_lshlrev_b64 v[7:8], 2, v[1:2]
	s_mov_b32 s5, exec_lo
	s_delay_alu instid0(VALU_DEP_1) | instskip(NEXT) | instid1(VALU_DEP_2)
	v_add_co_u32 v3, vcc_lo, s6, v7
	v_add_co_ci_u32_e32 v4, vcc_lo, s7, v8, vcc_lo
	global_load_b32 v3, v[3:4], off
	s_waitcnt vmcnt(0)
	v_subrev_nc_u32_e32 v3, s24, v3
	s_delay_alu instid0(VALU_DEP_1) | instskip(NEXT) | instid1(VALU_DEP_1)
	v_ashrrev_i32_e32 v4, 31, v3
	v_lshlrev_b64 v[3:4], 3, v[3:4]
	s_delay_alu instid0(VALU_DEP_1) | instskip(NEXT) | instid1(VALU_DEP_2)
	v_add_co_u32 v3, vcc_lo, s10, v3
	v_add_co_ci_u32_e32 v4, vcc_lo, s11, v4, vcc_lo
	global_load_b128 v[16:19], v[3:4], off
	s_waitcnt vmcnt(0)
	v_sub_co_u32 v3, vcc_lo, v18, s4
	v_subrev_co_ci_u32_e32 v4, vcc_lo, 0, v19, vcc_lo
	v_add_co_u32 v5, vcc_lo, v16, v14
	v_add_co_ci_u32_e32 v6, vcc_lo, v17, v15, vcc_lo
	s_delay_alu instid0(VALU_DEP_1)
	v_cmpx_lt_i64_e64 v[5:6], v[3:4]
	s_cbranch_execz .LBB166_11
; %bb.13:                               ;   in Loop: Header=BB166_12 Depth=1
	v_add_co_u32 v7, vcc_lo, s8, v7
	v_add_co_ci_u32_e32 v8, vcc_lo, s9, v8, vcc_lo
	s_mov_b32 s13, 0
	global_load_b32 v7, v[7:8], off
	s_waitcnt vmcnt(0)
	v_mul_f32_e32 v7, v13, v7
	s_branch .LBB166_15
.LBB166_14:                             ;   in Loop: Header=BB166_15 Depth=2
	s_or_b32 exec_lo, exec_lo, s14
	v_add_co_u32 v5, vcc_lo, v5, 32
	v_add_co_ci_u32_e32 v6, vcc_lo, 0, v6, vcc_lo
	s_delay_alu instid0(VALU_DEP_1) | instskip(SKIP_1) | instid1(SALU_CYCLE_1)
	v_cmp_ge_i64_e32 vcc_lo, v[5:6], v[3:4]
	s_or_b32 s13, vcc_lo, s13
	s_and_not1_b32 exec_lo, exec_lo, s13
	s_cbranch_execz .LBB166_11
.LBB166_15:                             ;   Parent Loop BB166_12 Depth=1
                                        ; =>  This Loop Header: Depth=2
                                        ;       Child Loop BB166_17 Depth 3
	v_lshlrev_b64 v[16:17], 2, v[5:6]
	s_mov_b32 s14, 0
	s_delay_alu instid0(VALU_DEP_1) | instskip(NEXT) | instid1(VALU_DEP_2)
	v_add_co_u32 v18, vcc_lo, s28, v16
	v_add_co_ci_u32_e32 v19, vcc_lo, s29, v17, vcc_lo
	v_add_co_u32 v16, vcc_lo, s30, v16
	v_add_co_ci_u32_e32 v17, vcc_lo, s31, v17, vcc_lo
	global_load_b32 v8, v[18:19], off
	global_load_b32 v16, v[16:17], off
	s_waitcnt vmcnt(1)
	v_subrev_nc_u32_e32 v8, s25, v8
	s_delay_alu instid0(VALU_DEP_1) | instskip(SKIP_1) | instid1(VALU_DEP_1)
	v_mul_lo_u32 v17, 0x89, v8
	s_waitcnt vmcnt(0)
	v_dual_mul_f32 v16, v7, v16 :: v_dual_and_b32 v17, 0x3ff, v17
	s_branch .LBB166_17
.LBB166_16:                             ;   in Loop: Header=BB166_17 Depth=3
	s_or_b32 exec_lo, exec_lo, s15
	s_xor_b32 s15, s37, -1
	s_delay_alu instid0(SALU_CYCLE_1) | instskip(NEXT) | instid1(SALU_CYCLE_1)
	s_and_b32 s15, exec_lo, s15
	s_or_b32 s14, s15, s14
	s_delay_alu instid0(SALU_CYCLE_1)
	s_and_not1_b32 exec_lo, exec_lo, s14
	s_cbranch_execz .LBB166_14
.LBB166_17:                             ;   Parent Loop BB166_12 Depth=1
                                        ;     Parent Loop BB166_15 Depth=2
                                        ; =>    This Inner Loop Header: Depth=3
	s_delay_alu instid0(VALU_DEP_1)
	v_lshl_add_u32 v18, v17, 2, 0
	s_mov_b32 s15, exec_lo
                                        ; implicit-def: $sgpr37
	ds_load_b32 v19, v18
	s_waitcnt lgkmcnt(0)
	v_cmpx_ne_u32_e64 v19, v8
	s_xor_b32 s15, exec_lo, s15
	s_cbranch_execz .LBB166_25
; %bb.18:                               ;   in Loop: Header=BB166_17 Depth=3
	s_mov_b32 s38, exec_lo
                                        ; implicit-def: $sgpr37
	v_cmpx_ne_u32_e64 s33, v19
	s_xor_b32 s38, exec_lo, s38
; %bb.19:                               ;   in Loop: Header=BB166_17 Depth=3
	v_add_nc_u32_e32 v17, 1, v17
	s_mov_b32 s37, -1
                                        ; implicit-def: $vgpr18
	s_delay_alu instid0(VALU_DEP_1)
	v_and_b32_e32 v17, 0x3ff, v17
; %bb.20:                               ;   in Loop: Header=BB166_17 Depth=3
	s_and_not1_saveexec_b32 s38, s38
	s_cbranch_execz .LBB166_24
; %bb.21:                               ;   in Loop: Header=BB166_17 Depth=3
	v_mov_b32_e32 v19, s33
	s_mov_b32 s39, -1
	s_mov_b32 s40, exec_lo
	ds_cmpstore_rtn_b32 v19, v18, v8, v19
	s_waitcnt lgkmcnt(0)
	v_cmpx_eq_u32_e64 s33, v19
	s_cbranch_execz .LBB166_23
; %bb.22:                               ;   in Loop: Header=BB166_17 Depth=3
	ds_add_f32 v18, v16 offset:4096
	s_xor_b32 s39, exec_lo, -1
.LBB166_23:                             ;   in Loop: Header=BB166_17 Depth=3
	s_or_b32 exec_lo, exec_lo, s40
	s_delay_alu instid0(SALU_CYCLE_1) | instskip(SKIP_1) | instid1(SALU_CYCLE_1)
	s_and_not1_b32 s37, s37, exec_lo
	s_and_b32 s39, s39, exec_lo
	s_or_b32 s37, s37, s39
.LBB166_24:                             ;   in Loop: Header=BB166_17 Depth=3
	s_or_b32 exec_lo, exec_lo, s38
	s_delay_alu instid0(SALU_CYCLE_1)
	s_and_b32 s37, s37, exec_lo
                                        ; implicit-def: $vgpr18
.LBB166_25:                             ;   in Loop: Header=BB166_17 Depth=3
	s_and_not1_saveexec_b32 s15, s15
	s_cbranch_execz .LBB166_16
; %bb.26:                               ;   in Loop: Header=BB166_17 Depth=3
	ds_add_f32 v18, v16 offset:4096
	s_and_not1_b32 s37, s37, exec_lo
	s_branch .LBB166_16
.LBB166_27:
	s_or_b32 exec_lo, exec_lo, s2
.LBB166_28:
	s_delay_alu instid0(SALU_CYCLE_1)
	s_and_not1_b32 vcc_lo, exec_lo, s12
	s_cbranch_vccnz .LBB166_31
; %bb.29:
	s_waitcnt lgkmcnt(0)
	s_ashr_i32 s37, s36, 31
	v_sub_co_u32 v1, s4, v0, s27
	s_lshl_b64 s[0:1], s[36:37], 3
	v_sub_co_ci_u32_e64 v2, null, 0, 0, s4
	s_add_u32 s0, s16, s0
	s_addc_u32 s1, s17, s1
	s_load_b128 s[0:3], s[0:1], 0x0
	s_waitcnt lgkmcnt(0)
	v_add_co_u32 v1, vcc_lo, s0, v1
	v_add_co_ci_u32_e32 v2, vcc_lo, s1, v2, vcc_lo
	s_sub_u32 s0, s2, s27
	s_subb_u32 s1, s3, 0
	s_mov_b32 s3, 0
	s_mov_b32 s2, exec_lo
	v_cmpx_gt_i64_e64 s[0:1], v[1:2]
	s_cbranch_execnz .LBB166_68
.LBB166_30:
	s_or_b32 exec_lo, exec_lo, s2
.LBB166_31:
	v_mbcnt_lo_u32_b32 v1, -1, 0
	v_lshl_add_u32 v4, v12, 2, 0
	v_cmp_eq_u32_e32 vcc_lo, 0x1ff, v0
	v_cmp_lt_u32_e64 s0, 31, v0
	v_cmp_lt_u32_e64 s1, 63, v0
	v_xor_b32_e32 v1, 63, v1
	v_cmp_lt_u32_e64 s2, 0x5f, v0
	v_cmp_lt_u32_e64 s3, 0x7f, v0
	;; [unrolled: 1-line block ×4, first 2 shown]
	v_lshrrev_b64 v[1:2], v1, -1
	v_cmp_lt_u32_e64 s6, 0xdf, v0
	v_cmp_lt_u32_e64 s7, 0xff, v0
	;; [unrolled: 1-line block ×9, first 2 shown]
	v_dual_mov_b32 v5, 0 :: v_dual_mov_b32 v6, 0
	s_mov_b32 s16, 0
	s_waitcnt lgkmcnt(0)
	s_barrier
	buffer_gl0_inv
	s_branch .LBB166_33
.LBB166_32:                             ;   in Loop: Header=BB166_33 Depth=1
	s_or_b32 exec_lo, exec_lo, s15
	s_waitcnt lgkmcnt(0)
	s_barrier
	buffer_gl0_inv
	ds_load_b32 v2, v5 offset:8252
	v_add_co_u32 v10, s15, 0x200, v10
	s_delay_alu instid0(VALU_DEP_1) | instskip(SKIP_2) | instid1(SALU_CYCLE_1)
	s_xor_b32 s15, s15, -1
	v_add_nc_u32_e32 v9, 0x800, v9
	s_and_b32 s15, exec_lo, s15
	s_or_b32 s16, s15, s16
	s_waitcnt lgkmcnt(0)
	v_add_nc_u32_e32 v6, v2, v6
	s_and_not1_b32 exec_lo, exec_lo, s16
	s_cbranch_execz .LBB166_80
.LBB166_33:                             ; =>This Inner Loop Header: Depth=1
	ds_load_2addr_stride64_b32 v[2:3], v9 offset1:16
	s_waitcnt lgkmcnt(0)
	s_barrier
	buffer_gl0_inv
	v_cmp_gt_i32_e64 s15, s33, v2
	s_delay_alu instid0(VALU_DEP_1) | instskip(NEXT) | instid1(SALU_CYCLE_1)
	s_bcnt1_i32_b32 s17, s15
	v_dual_mov_b32 v8, s17 :: v_dual_and_b32 v7, s15, v1
	s_delay_alu instid0(VALU_DEP_1)
	v_bcnt_u32_b32 v7, v7, 0
	ds_store_b32 v4, v8 offset:8192
	s_waitcnt lgkmcnt(0)
	s_barrier
	buffer_gl0_inv
	s_and_saveexec_b32 s17, s0
	s_cbranch_execnz .LBB166_50
; %bb.34:                               ;   in Loop: Header=BB166_33 Depth=1
	s_or_b32 exec_lo, exec_lo, s17
	s_and_saveexec_b32 s17, s1
	s_cbranch_execnz .LBB166_51
.LBB166_35:                             ;   in Loop: Header=BB166_33 Depth=1
	s_or_b32 exec_lo, exec_lo, s17
	s_and_saveexec_b32 s17, s2
	s_cbranch_execnz .LBB166_52
.LBB166_36:                             ;   in Loop: Header=BB166_33 Depth=1
	s_or_b32 exec_lo, exec_lo, s17
	s_and_saveexec_b32 s17, s3
	s_cbranch_execnz .LBB166_53
.LBB166_37:                             ;   in Loop: Header=BB166_33 Depth=1
	s_or_b32 exec_lo, exec_lo, s17
	s_and_saveexec_b32 s17, s4
	s_cbranch_execnz .LBB166_54
.LBB166_38:                             ;   in Loop: Header=BB166_33 Depth=1
	s_or_b32 exec_lo, exec_lo, s17
	s_and_saveexec_b32 s17, s5
	s_cbranch_execnz .LBB166_55
.LBB166_39:                             ;   in Loop: Header=BB166_33 Depth=1
	s_or_b32 exec_lo, exec_lo, s17
	s_and_saveexec_b32 s17, s6
	s_cbranch_execnz .LBB166_56
.LBB166_40:                             ;   in Loop: Header=BB166_33 Depth=1
	s_or_b32 exec_lo, exec_lo, s17
	s_and_saveexec_b32 s17, s7
	s_cbranch_execnz .LBB166_57
.LBB166_41:                             ;   in Loop: Header=BB166_33 Depth=1
	s_or_b32 exec_lo, exec_lo, s17
	s_and_saveexec_b32 s17, s8
	s_cbranch_execnz .LBB166_58
.LBB166_42:                             ;   in Loop: Header=BB166_33 Depth=1
	s_or_b32 exec_lo, exec_lo, s17
	s_and_saveexec_b32 s17, s9
	s_cbranch_execnz .LBB166_59
.LBB166_43:                             ;   in Loop: Header=BB166_33 Depth=1
	s_or_b32 exec_lo, exec_lo, s17
	s_and_saveexec_b32 s17, s10
	s_cbranch_execnz .LBB166_60
.LBB166_44:                             ;   in Loop: Header=BB166_33 Depth=1
	s_or_b32 exec_lo, exec_lo, s17
	s_and_saveexec_b32 s17, s11
	s_cbranch_execnz .LBB166_61
.LBB166_45:                             ;   in Loop: Header=BB166_33 Depth=1
	s_or_b32 exec_lo, exec_lo, s17
	s_and_saveexec_b32 s17, s12
	s_cbranch_execnz .LBB166_62
.LBB166_46:                             ;   in Loop: Header=BB166_33 Depth=1
	s_or_b32 exec_lo, exec_lo, s17
	s_and_saveexec_b32 s17, s13
	s_cbranch_execnz .LBB166_63
.LBB166_47:                             ;   in Loop: Header=BB166_33 Depth=1
	s_or_b32 exec_lo, exec_lo, s17
	s_and_saveexec_b32 s17, s14
	s_cbranch_execnz .LBB166_64
.LBB166_48:                             ;   in Loop: Header=BB166_33 Depth=1
	s_or_b32 exec_lo, exec_lo, s17
	s_and_saveexec_b32 s17, s15
	s_cbranch_execnz .LBB166_65
.LBB166_49:                             ;   in Loop: Header=BB166_33 Depth=1
	s_or_b32 exec_lo, exec_lo, s17
	s_and_saveexec_b32 s15, vcc_lo
	s_cbranch_execz .LBB166_32
	s_branch .LBB166_66
.LBB166_50:                             ;   in Loop: Header=BB166_33 Depth=1
	ds_load_b32 v8, v5 offset:8192
	s_waitcnt lgkmcnt(0)
	v_add_nc_u32_e32 v7, v8, v7
	s_or_b32 exec_lo, exec_lo, s17
	s_and_saveexec_b32 s17, s1
	s_cbranch_execz .LBB166_35
.LBB166_51:                             ;   in Loop: Header=BB166_33 Depth=1
	ds_load_b32 v8, v5 offset:8196
	s_waitcnt lgkmcnt(0)
	v_add_nc_u32_e32 v7, v8, v7
	s_or_b32 exec_lo, exec_lo, s17
	s_and_saveexec_b32 s17, s2
	s_cbranch_execz .LBB166_36
.LBB166_52:                             ;   in Loop: Header=BB166_33 Depth=1
	ds_load_b32 v8, v5 offset:8200
	s_waitcnt lgkmcnt(0)
	v_add_nc_u32_e32 v7, v8, v7
	s_or_b32 exec_lo, exec_lo, s17
	s_and_saveexec_b32 s17, s3
	s_cbranch_execz .LBB166_37
.LBB166_53:                             ;   in Loop: Header=BB166_33 Depth=1
	ds_load_b32 v8, v5 offset:8204
	s_waitcnt lgkmcnt(0)
	v_add_nc_u32_e32 v7, v8, v7
	s_or_b32 exec_lo, exec_lo, s17
	s_and_saveexec_b32 s17, s4
	s_cbranch_execz .LBB166_38
.LBB166_54:                             ;   in Loop: Header=BB166_33 Depth=1
	ds_load_b32 v8, v5 offset:8208
	s_waitcnt lgkmcnt(0)
	v_add_nc_u32_e32 v7, v8, v7
	s_or_b32 exec_lo, exec_lo, s17
	s_and_saveexec_b32 s17, s5
	s_cbranch_execz .LBB166_39
.LBB166_55:                             ;   in Loop: Header=BB166_33 Depth=1
	ds_load_b32 v8, v5 offset:8212
	s_waitcnt lgkmcnt(0)
	v_add_nc_u32_e32 v7, v8, v7
	s_or_b32 exec_lo, exec_lo, s17
	s_and_saveexec_b32 s17, s6
	s_cbranch_execz .LBB166_40
.LBB166_56:                             ;   in Loop: Header=BB166_33 Depth=1
	ds_load_b32 v8, v5 offset:8216
	s_waitcnt lgkmcnt(0)
	v_add_nc_u32_e32 v7, v8, v7
	s_or_b32 exec_lo, exec_lo, s17
	s_and_saveexec_b32 s17, s7
	s_cbranch_execz .LBB166_41
.LBB166_57:                             ;   in Loop: Header=BB166_33 Depth=1
	ds_load_b32 v8, v5 offset:8220
	s_waitcnt lgkmcnt(0)
	v_add_nc_u32_e32 v7, v8, v7
	s_or_b32 exec_lo, exec_lo, s17
	s_and_saveexec_b32 s17, s8
	s_cbranch_execz .LBB166_42
.LBB166_58:                             ;   in Loop: Header=BB166_33 Depth=1
	ds_load_b32 v8, v5 offset:8224
	s_waitcnt lgkmcnt(0)
	v_add_nc_u32_e32 v7, v8, v7
	s_or_b32 exec_lo, exec_lo, s17
	s_and_saveexec_b32 s17, s9
	s_cbranch_execz .LBB166_43
.LBB166_59:                             ;   in Loop: Header=BB166_33 Depth=1
	ds_load_b32 v8, v5 offset:8228
	s_waitcnt lgkmcnt(0)
	v_add_nc_u32_e32 v7, v8, v7
	s_or_b32 exec_lo, exec_lo, s17
	s_and_saveexec_b32 s17, s10
	s_cbranch_execz .LBB166_44
.LBB166_60:                             ;   in Loop: Header=BB166_33 Depth=1
	ds_load_b32 v8, v5 offset:8232
	s_waitcnt lgkmcnt(0)
	v_add_nc_u32_e32 v7, v8, v7
	s_or_b32 exec_lo, exec_lo, s17
	s_and_saveexec_b32 s17, s11
	s_cbranch_execz .LBB166_45
.LBB166_61:                             ;   in Loop: Header=BB166_33 Depth=1
	ds_load_b32 v8, v5 offset:8236
	s_waitcnt lgkmcnt(0)
	v_add_nc_u32_e32 v7, v8, v7
	s_or_b32 exec_lo, exec_lo, s17
	s_and_saveexec_b32 s17, s12
	s_cbranch_execz .LBB166_46
.LBB166_62:                             ;   in Loop: Header=BB166_33 Depth=1
	ds_load_b32 v8, v5 offset:8240
	s_waitcnt lgkmcnt(0)
	v_add_nc_u32_e32 v7, v8, v7
	s_or_b32 exec_lo, exec_lo, s17
	s_and_saveexec_b32 s17, s13
	s_cbranch_execz .LBB166_47
.LBB166_63:                             ;   in Loop: Header=BB166_33 Depth=1
	ds_load_b32 v8, v5 offset:8244
	s_waitcnt lgkmcnt(0)
	v_add_nc_u32_e32 v7, v8, v7
	s_or_b32 exec_lo, exec_lo, s17
	s_and_saveexec_b32 s17, s14
	s_cbranch_execz .LBB166_48
.LBB166_64:                             ;   in Loop: Header=BB166_33 Depth=1
	ds_load_b32 v8, v5 offset:8248
	s_waitcnt lgkmcnt(0)
	v_add_nc_u32_e32 v7, v8, v7
	s_or_b32 exec_lo, exec_lo, s17
	s_and_saveexec_b32 s17, s15
	s_cbranch_execz .LBB166_49
.LBB166_65:                             ;   in Loop: Header=BB166_33 Depth=1
	s_delay_alu instid0(VALU_DEP_1) | instskip(NEXT) | instid1(VALU_DEP_1)
	v_add3_u32 v8, v6, -1, v7
	v_lshl_add_u32 v8, v8, 2, 0
	ds_store_2addr_stride64_b32 v8, v2, v3 offset1:16
	s_or_b32 exec_lo, exec_lo, s17
	s_and_saveexec_b32 s15, vcc_lo
	s_cbranch_execz .LBB166_32
.LBB166_66:                             ;   in Loop: Header=BB166_33 Depth=1
	ds_store_b32 v5, v7 offset:8252
	s_branch .LBB166_32
.LBB166_67:                             ;   in Loop: Header=BB166_68 Depth=1
	s_or_b32 exec_lo, exec_lo, s4
	v_add_co_u32 v1, vcc_lo, 0x200, v1
	v_add_co_ci_u32_e32 v2, vcc_lo, 0, v2, vcc_lo
	s_delay_alu instid0(VALU_DEP_1) | instskip(SKIP_1) | instid1(SALU_CYCLE_1)
	v_cmp_le_i64_e32 vcc_lo, s[0:1], v[1:2]
	s_or_b32 s3, vcc_lo, s3
	s_and_not1_b32 exec_lo, exec_lo, s3
	s_cbranch_execz .LBB166_30
.LBB166_68:                             ; =>This Loop Header: Depth=1
                                        ;     Child Loop BB166_70 Depth 2
	v_lshlrev_b64 v[3:4], 2, v[1:2]
	s_mov_b32 s4, 0
	s_delay_alu instid0(VALU_DEP_1) | instskip(NEXT) | instid1(VALU_DEP_2)
	v_add_co_u32 v5, vcc_lo, s18, v3
	v_add_co_ci_u32_e32 v6, vcc_lo, s19, v4, vcc_lo
	v_add_co_u32 v3, vcc_lo, s20, v3
	v_add_co_ci_u32_e32 v4, vcc_lo, s21, v4, vcc_lo
	global_load_b32 v5, v[5:6], off
	global_load_b32 v4, v[3:4], off
	s_waitcnt vmcnt(1)
	v_subrev_nc_u32_e32 v3, s27, v5
	s_delay_alu instid0(VALU_DEP_1) | instskip(SKIP_1) | instid1(VALU_DEP_1)
	v_mul_lo_u32 v5, 0x89, v3
	s_waitcnt vmcnt(0)
	v_dual_mul_f32 v4, v11, v4 :: v_dual_and_b32 v5, 0x3ff, v5
	s_branch .LBB166_70
.LBB166_69:                             ;   in Loop: Header=BB166_70 Depth=2
	s_or_b32 exec_lo, exec_lo, s5
	s_xor_b32 s5, s6, -1
	s_delay_alu instid0(SALU_CYCLE_1) | instskip(NEXT) | instid1(SALU_CYCLE_1)
	s_and_b32 s5, exec_lo, s5
	s_or_b32 s4, s5, s4
	s_delay_alu instid0(SALU_CYCLE_1)
	s_and_not1_b32 exec_lo, exec_lo, s4
	s_cbranch_execz .LBB166_67
.LBB166_70:                             ;   Parent Loop BB166_68 Depth=1
                                        ; =>  This Inner Loop Header: Depth=2
	s_delay_alu instid0(VALU_DEP_1)
	v_lshl_add_u32 v6, v5, 2, 0
	s_mov_b32 s5, exec_lo
                                        ; implicit-def: $sgpr6
	ds_load_b32 v7, v6
	s_waitcnt lgkmcnt(0)
	v_cmpx_ne_u32_e64 v7, v3
	s_xor_b32 s5, exec_lo, s5
	s_cbranch_execz .LBB166_78
; %bb.71:                               ;   in Loop: Header=BB166_70 Depth=2
	s_mov_b32 s7, exec_lo
                                        ; implicit-def: $sgpr6
	v_cmpx_ne_u32_e64 s33, v7
	s_xor_b32 s7, exec_lo, s7
; %bb.72:                               ;   in Loop: Header=BB166_70 Depth=2
	v_add_nc_u32_e32 v5, 1, v5
	s_mov_b32 s6, -1
                                        ; implicit-def: $vgpr6
	s_delay_alu instid0(VALU_DEP_1)
	v_and_b32_e32 v5, 0x3ff, v5
; %bb.73:                               ;   in Loop: Header=BB166_70 Depth=2
	s_and_not1_saveexec_b32 s7, s7
	s_cbranch_execz .LBB166_77
; %bb.74:                               ;   in Loop: Header=BB166_70 Depth=2
	v_mov_b32_e32 v7, s33
	s_mov_b32 s8, -1
	s_mov_b32 s9, exec_lo
	ds_cmpstore_rtn_b32 v7, v6, v3, v7
	s_waitcnt lgkmcnt(0)
	v_cmpx_eq_u32_e64 s33, v7
	s_cbranch_execz .LBB166_76
; %bb.75:                               ;   in Loop: Header=BB166_70 Depth=2
	ds_add_f32 v6, v4 offset:4096
	s_xor_b32 s8, exec_lo, -1
.LBB166_76:                             ;   in Loop: Header=BB166_70 Depth=2
	s_or_b32 exec_lo, exec_lo, s9
	s_delay_alu instid0(SALU_CYCLE_1) | instskip(SKIP_1) | instid1(SALU_CYCLE_1)
	s_and_not1_b32 s6, s6, exec_lo
	s_and_b32 s8, s8, exec_lo
	s_or_b32 s6, s6, s8
.LBB166_77:                             ;   in Loop: Header=BB166_70 Depth=2
	s_or_b32 exec_lo, exec_lo, s7
	s_delay_alu instid0(SALU_CYCLE_1)
	s_and_b32 s6, s6, exec_lo
                                        ; implicit-def: $vgpr6
.LBB166_78:                             ;   in Loop: Header=BB166_70 Depth=2
	s_and_not1_saveexec_b32 s5, s5
	s_cbranch_execz .LBB166_69
; %bb.79:                               ;   in Loop: Header=BB166_70 Depth=2
	ds_add_f32 v6, v4 offset:4096
	s_and_not1_b32 s6, s6, exec_lo
	s_branch .LBB166_69
.LBB166_80:
	s_or_b32 exec_lo, exec_lo, s16
	s_ashr_i32 s37, s36, 31
	s_mov_b32 s4, exec_lo
	s_lshl_b64 s[0:1], s[36:37], 3
	s_delay_alu instid0(SALU_CYCLE_1) | instskip(SKIP_4) | instid1(SALU_CYCLE_1)
	s_add_u32 s0, s22, s0
	s_addc_u32 s1, s23, s1
	s_load_b128 s[0:3], s[0:1], 0x0
	s_waitcnt lgkmcnt(0)
	s_sub_i32 s3, s2, s0
	v_cmpx_gt_i32_e64 s3, v0
	s_cbranch_execz .LBB166_90
; %bb.81:
	s_sub_u32 s4, s0, s26
	s_subb_u32 s5, s1, 0
	s_sub_i32 s0, s0, s2
	s_and_b32 s1, s3, 7
	s_cmp_lt_u32 s0, -7
	s_mov_b32 s8, 0
	s_cselect_b32 s2, -1, 0
	s_and_b32 s6, s3, -8
	s_cmp_lg_u32 s1, 0
	s_cselect_b32 s7, -1, 0
	s_branch .LBB166_83
.LBB166_82:                             ;   in Loop: Header=BB166_83 Depth=1
	s_delay_alu instid0(VALU_DEP_1) | instskip(SKIP_1) | instid1(VALU_DEP_1)
	v_lshlrev_b64 v[3:4], 2, v[3:4]
	v_add_nc_u32_e32 v0, 0x200, v0
	v_cmp_le_i32_e32 vcc_lo, s3, v0
	s_delay_alu instid0(VALU_DEP_3) | instskip(NEXT) | instid1(VALU_DEP_1)
	v_add_co_u32 v3, s0, s34, v3
	v_add_co_ci_u32_e64 v4, s0, s35, v4, s0
	s_or_b32 s8, vcc_lo, s8
	s_waitcnt lgkmcnt(0)
	global_store_b32 v[3:4], v2, off
	s_and_not1_b32 exec_lo, exec_lo, s8
	s_cbranch_execz .LBB166_90
.LBB166_83:                             ; =>This Loop Header: Depth=1
                                        ;     Child Loop BB166_85 Depth 2
                                        ;     Child Loop BB166_89 Depth 2
	v_lshl_add_u32 v1, v0, 2, 0
	v_dual_mov_b32 v3, s4 :: v_dual_mov_b32 v4, s5
	s_and_not1_b32 vcc_lo, exec_lo, s2
	s_mov_b32 s0, 0
	ds_load_2addr_stride64_b32 v[1:2], v1 offset1:16
	s_cbranch_vccnz .LBB166_87
; %bb.84:                               ;   in Loop: Header=BB166_83 Depth=1
	v_dual_mov_b32 v3, s4 :: v_dual_mov_b32 v4, s5
	s_mov_b32 s9, 0
	s_mov_b32 s10, 0
.LBB166_85:                             ;   Parent Loop BB166_83 Depth=1
                                        ; =>  This Inner Loop Header: Depth=2
	s_delay_alu instid0(SALU_CYCLE_1)
	v_mov_b32_e32 v11, s10
	s_add_i32 s9, s9, 8
	s_add_i32 s10, s10, 32
	s_cmp_eq_u32 s6, s9
	ds_load_2addr_b32 v[5:6], v11 offset1:1
	ds_load_2addr_b32 v[7:8], v11 offset0:2 offset1:3
	ds_load_2addr_b32 v[9:10], v11 offset0:4 offset1:5
	;; [unrolled: 1-line block ×3, first 2 shown]
	s_waitcnt lgkmcnt(3)
	v_cmp_gt_i32_e32 vcc_lo, v1, v5
	v_cndmask_b32_e64 v5, 0, 1, vcc_lo
	v_cmp_gt_i32_e32 vcc_lo, v1, v6
	v_cndmask_b32_e64 v6, 0, 1, vcc_lo
	s_waitcnt lgkmcnt(2)
	v_cmp_gt_i32_e32 vcc_lo, v1, v7
	v_cndmask_b32_e64 v7, 0, 1, vcc_lo
	v_cmp_gt_i32_e32 vcc_lo, v1, v8
	v_cndmask_b32_e64 v8, 0, 1, vcc_lo
	s_waitcnt lgkmcnt(1)
	v_cmp_gt_i32_e32 vcc_lo, v1, v9
	v_cndmask_b32_e64 v9, 0, 1, vcc_lo
	v_add_co_u32 v3, vcc_lo, v3, v5
	v_add_co_ci_u32_e32 v4, vcc_lo, 0, v4, vcc_lo
	v_cmp_gt_i32_e32 vcc_lo, v1, v10
	s_delay_alu instid0(VALU_DEP_3) | instskip(NEXT) | instid1(VALU_DEP_1)
	v_add_co_u32 v3, s0, v3, v6
	v_add_co_ci_u32_e64 v4, s0, 0, v4, s0
	v_cndmask_b32_e64 v5, 0, 1, vcc_lo
	s_delay_alu instid0(VALU_DEP_3) | instskip(NEXT) | instid1(VALU_DEP_3)
	v_add_co_u32 v3, vcc_lo, v3, v7
	v_add_co_ci_u32_e32 v4, vcc_lo, 0, v4, vcc_lo
	s_waitcnt lgkmcnt(0)
	v_cmp_gt_i32_e32 vcc_lo, v1, v11
	s_delay_alu instid0(VALU_DEP_3) | instskip(NEXT) | instid1(VALU_DEP_1)
	v_add_co_u32 v3, s0, v3, v8
	v_add_co_ci_u32_e64 v4, s0, 0, v4, s0
	v_cndmask_b32_e64 v6, 0, 1, vcc_lo
	s_delay_alu instid0(VALU_DEP_3) | instskip(NEXT) | instid1(VALU_DEP_3)
	v_add_co_u32 v3, vcc_lo, v3, v9
	v_add_co_ci_u32_e32 v4, vcc_lo, 0, v4, vcc_lo
	v_cmp_gt_i32_e32 vcc_lo, v1, v12
	s_delay_alu instid0(VALU_DEP_3) | instskip(NEXT) | instid1(VALU_DEP_1)
	v_add_co_u32 v3, s0, v3, v5
	v_add_co_ci_u32_e64 v4, s0, 0, v4, s0
	v_cndmask_b32_e64 v5, 0, 1, vcc_lo
	s_delay_alu instid0(VALU_DEP_3) | instskip(NEXT) | instid1(VALU_DEP_3)
	v_add_co_u32 v3, vcc_lo, v3, v6
	v_add_co_ci_u32_e32 v4, vcc_lo, 0, v4, vcc_lo
	s_delay_alu instid0(VALU_DEP_2) | instskip(NEXT) | instid1(VALU_DEP_2)
	v_add_co_u32 v3, vcc_lo, v3, v5
	v_add_co_ci_u32_e32 v4, vcc_lo, 0, v4, vcc_lo
	s_cbranch_scc0 .LBB166_85
; %bb.86:                               ;   in Loop: Header=BB166_83 Depth=1
	s_mov_b32 s0, s6
.LBB166_87:                             ;   in Loop: Header=BB166_83 Depth=1
	s_and_not1_b32 vcc_lo, exec_lo, s7
	s_cbranch_vccnz .LBB166_82
; %bb.88:                               ;   in Loop: Header=BB166_83 Depth=1
	s_lshl_b32 s0, s0, 2
	s_mov_b32 s9, s1
	s_add_i32 s0, s0, 0
.LBB166_89:                             ;   Parent Loop BB166_83 Depth=1
                                        ; =>  This Inner Loop Header: Depth=2
	s_delay_alu instid0(SALU_CYCLE_1)
	v_mov_b32_e32 v5, s0
	s_add_i32 s9, s9, -1
	s_add_i32 s0, s0, 4
	s_cmp_lg_u32 s9, 0
	ds_load_b32 v5, v5
	s_waitcnt lgkmcnt(0)
	v_cmp_gt_i32_e32 vcc_lo, v1, v5
	v_cndmask_b32_e64 v5, 0, 1, vcc_lo
	s_delay_alu instid0(VALU_DEP_1)
	v_add_co_u32 v3, vcc_lo, v3, v5
	v_add_co_ci_u32_e32 v4, vcc_lo, 0, v4, vcc_lo
	s_cbranch_scc1 .LBB166_89
	s_branch .LBB166_82
.LBB166_90:
	s_nop 0
	s_sendmsg sendmsg(MSG_DEALLOC_VGPRS)
	s_endpgm
	.section	.rodata,"a",@progbits
	.p2align	6, 0x0
	.amdhsa_kernel _ZN9rocsparseL41csrgemm_numeric_fill_block_per_row_kernelILj512ELj32ELj1024ELj137ELj32ElifEEvT5_PKS1_S3_NS_24const_host_device_scalarIT6_EEPKT4_S3_PKS5_S9_S3_SB_S6_S9_S3_SB_S9_S3_PS5_21rocsparse_index_base_SD_SD_SD_bbb
		.amdhsa_group_segment_fixed_size 0
		.amdhsa_private_segment_fixed_size 0
		.amdhsa_kernarg_size 156
		.amdhsa_user_sgpr_count 15
		.amdhsa_user_sgpr_dispatch_ptr 0
		.amdhsa_user_sgpr_queue_ptr 0
		.amdhsa_user_sgpr_kernarg_segment_ptr 1
		.amdhsa_user_sgpr_dispatch_id 0
		.amdhsa_user_sgpr_private_segment_size 0
		.amdhsa_wavefront_size32 1
		.amdhsa_uses_dynamic_stack 0
		.amdhsa_enable_private_segment 0
		.amdhsa_system_sgpr_workgroup_id_x 1
		.amdhsa_system_sgpr_workgroup_id_y 0
		.amdhsa_system_sgpr_workgroup_id_z 0
		.amdhsa_system_sgpr_workgroup_info 0
		.amdhsa_system_vgpr_workitem_id 0
		.amdhsa_next_free_vgpr 20
		.amdhsa_next_free_sgpr 41
		.amdhsa_reserve_vcc 1
		.amdhsa_float_round_mode_32 0
		.amdhsa_float_round_mode_16_64 0
		.amdhsa_float_denorm_mode_32 3
		.amdhsa_float_denorm_mode_16_64 3
		.amdhsa_dx10_clamp 1
		.amdhsa_ieee_mode 1
		.amdhsa_fp16_overflow 0
		.amdhsa_workgroup_processor_mode 1
		.amdhsa_memory_ordered 1
		.amdhsa_forward_progress 0
		.amdhsa_shared_vgpr_count 0
		.amdhsa_exception_fp_ieee_invalid_op 0
		.amdhsa_exception_fp_denorm_src 0
		.amdhsa_exception_fp_ieee_div_zero 0
		.amdhsa_exception_fp_ieee_overflow 0
		.amdhsa_exception_fp_ieee_underflow 0
		.amdhsa_exception_fp_ieee_inexact 0
		.amdhsa_exception_int_div_zero 0
	.end_amdhsa_kernel
	.section	.text._ZN9rocsparseL41csrgemm_numeric_fill_block_per_row_kernelILj512ELj32ELj1024ELj137ELj32ElifEEvT5_PKS1_S3_NS_24const_host_device_scalarIT6_EEPKT4_S3_PKS5_S9_S3_SB_S6_S9_S3_SB_S9_S3_PS5_21rocsparse_index_base_SD_SD_SD_bbb,"axG",@progbits,_ZN9rocsparseL41csrgemm_numeric_fill_block_per_row_kernelILj512ELj32ELj1024ELj137ELj32ElifEEvT5_PKS1_S3_NS_24const_host_device_scalarIT6_EEPKT4_S3_PKS5_S9_S3_SB_S6_S9_S3_SB_S9_S3_PS5_21rocsparse_index_base_SD_SD_SD_bbb,comdat
.Lfunc_end166:
	.size	_ZN9rocsparseL41csrgemm_numeric_fill_block_per_row_kernelILj512ELj32ELj1024ELj137ELj32ElifEEvT5_PKS1_S3_NS_24const_host_device_scalarIT6_EEPKT4_S3_PKS5_S9_S3_SB_S6_S9_S3_SB_S9_S3_PS5_21rocsparse_index_base_SD_SD_SD_bbb, .Lfunc_end166-_ZN9rocsparseL41csrgemm_numeric_fill_block_per_row_kernelILj512ELj32ELj1024ELj137ELj32ElifEEvT5_PKS1_S3_NS_24const_host_device_scalarIT6_EEPKT4_S3_PKS5_S9_S3_SB_S6_S9_S3_SB_S9_S3_PS5_21rocsparse_index_base_SD_SD_SD_bbb
                                        ; -- End function
	.section	.AMDGPU.csdata,"",@progbits
; Kernel info:
; codeLenInByte = 3264
; NumSgprs: 43
; NumVgprs: 20
; ScratchSize: 0
; MemoryBound: 0
; FloatMode: 240
; IeeeMode: 1
; LDSByteSize: 0 bytes/workgroup (compile time only)
; SGPRBlocks: 5
; VGPRBlocks: 2
; NumSGPRsForWavesPerEU: 43
; NumVGPRsForWavesPerEU: 20
; Occupancy: 16
; WaveLimiterHint : 1
; COMPUTE_PGM_RSRC2:SCRATCH_EN: 0
; COMPUTE_PGM_RSRC2:USER_SGPR: 15
; COMPUTE_PGM_RSRC2:TRAP_HANDLER: 0
; COMPUTE_PGM_RSRC2:TGID_X_EN: 1
; COMPUTE_PGM_RSRC2:TGID_Y_EN: 0
; COMPUTE_PGM_RSRC2:TGID_Z_EN: 0
; COMPUTE_PGM_RSRC2:TIDIG_COMP_CNT: 0
	.section	.text._ZN9rocsparseL41csrgemm_numeric_fill_block_per_row_kernelILj512ELj32ELj1024ELj137ELj64ElifEEvT5_PKS1_S3_NS_24const_host_device_scalarIT6_EEPKT4_S3_PKS5_S9_S3_SB_S6_S9_S3_SB_S9_S3_PS5_21rocsparse_index_base_SD_SD_SD_bbb,"axG",@progbits,_ZN9rocsparseL41csrgemm_numeric_fill_block_per_row_kernelILj512ELj32ELj1024ELj137ELj64ElifEEvT5_PKS1_S3_NS_24const_host_device_scalarIT6_EEPKT4_S3_PKS5_S9_S3_SB_S6_S9_S3_SB_S9_S3_PS5_21rocsparse_index_base_SD_SD_SD_bbb,comdat
	.globl	_ZN9rocsparseL41csrgemm_numeric_fill_block_per_row_kernelILj512ELj32ELj1024ELj137ELj64ElifEEvT5_PKS1_S3_NS_24const_host_device_scalarIT6_EEPKT4_S3_PKS5_S9_S3_SB_S6_S9_S3_SB_S9_S3_PS5_21rocsparse_index_base_SD_SD_SD_bbb ; -- Begin function _ZN9rocsparseL41csrgemm_numeric_fill_block_per_row_kernelILj512ELj32ELj1024ELj137ELj64ElifEEvT5_PKS1_S3_NS_24const_host_device_scalarIT6_EEPKT4_S3_PKS5_S9_S3_SB_S6_S9_S3_SB_S9_S3_PS5_21rocsparse_index_base_SD_SD_SD_bbb
	.p2align	8
	.type	_ZN9rocsparseL41csrgemm_numeric_fill_block_per_row_kernelILj512ELj32ELj1024ELj137ELj64ElifEEvT5_PKS1_S3_NS_24const_host_device_scalarIT6_EEPKT4_S3_PKS5_S9_S3_SB_S6_S9_S3_SB_S9_S3_PS5_21rocsparse_index_base_SD_SD_SD_bbb,@function
_ZN9rocsparseL41csrgemm_numeric_fill_block_per_row_kernelILj512ELj32ELj1024ELj137ELj64ElifEEvT5_PKS1_S3_NS_24const_host_device_scalarIT6_EEPKT4_S3_PKS5_S9_S3_SB_S6_S9_S3_SB_S9_S3_PS5_21rocsparse_index_base_SD_SD_SD_bbb: ; @_ZN9rocsparseL41csrgemm_numeric_fill_block_per_row_kernelILj512ELj32ELj1024ELj137ELj64ElifEEvT5_PKS1_S3_NS_24const_host_device_scalarIT6_EEPKT4_S3_PKS5_S9_S3_SB_S6_S9_S3_SB_S9_S3_PS5_21rocsparse_index_base_SD_SD_SD_bbb
; %bb.0:
	s_clause 0x3
	s_load_b32 s14, s[0:1], 0x98
	s_load_b128 s[24:27], s[0:1], 0x88
	s_load_b64 s[4:5], s[0:1], 0x18
	s_load_b64 s[2:3], s[0:1], 0x50
	s_waitcnt lgkmcnt(0)
	s_bitcmp1_b32 s14, 0
	s_cselect_b32 s35, -1, 0
	s_bitcmp1_b32 s14, 16
	s_cselect_b32 s33, -1, 0
	s_xor_b32 s6, s35, -1
	s_delay_alu instid0(SALU_CYCLE_1) | instskip(NEXT) | instid1(SALU_CYCLE_1)
	s_or_b32 s6, s6, s33
	s_and_b32 vcc_lo, exec_lo, s6
	s_cbranch_vccnz .LBB167_2
; %bb.1:
	s_load_b32 s4, s[4:5], 0x0
	s_waitcnt lgkmcnt(0)
	v_mov_b32_e32 v12, s4
	s_branch .LBB167_3
.LBB167_2:
	v_cndmask_b32_e64 v12, 0, s4, s35
.LBB167_3:
	s_clause 0x4
	s_load_b64 s[12:13], s[0:1], 0x80
	s_load_b256 s[4:11], s[0:1], 0x58
	s_load_b128 s[28:31], s[0:1], 0x40
	s_load_b128 s[36:39], s[0:1], 0x8
	s_load_b256 s[16:23], s[0:1], 0x20
	s_bitcmp1_b32 s14, 8
	s_cselect_b32 s34, -1, 0
	s_delay_alu instid0(SALU_CYCLE_1) | instskip(NEXT) | instid1(SALU_CYCLE_1)
	s_xor_b32 s14, s34, -1
	s_or_b32 s14, s14, s33
	s_delay_alu instid0(SALU_CYCLE_1)
	s_and_b32 vcc_lo, exec_lo, s14
	s_cbranch_vccnz .LBB167_5
; %bb.4:
	s_load_b32 s2, s[2:3], 0x0
	s_waitcnt lgkmcnt(0)
	v_mov_b32_e32 v11, s2
	s_branch .LBB167_6
.LBB167_5:
	v_cndmask_b32_e64 v11, 0, s2, s34
.LBB167_6:
	s_load_b32 s33, s[0:1], 0x0
	v_lshl_add_u32 v9, v0, 2, 0
	v_or_b32_e32 v10, 0xfffffe00, v0
	v_mov_b32_e32 v1, 0
	s_mov_b32 s0, 0
	s_delay_alu instid0(VALU_DEP_3)
	v_mov_b32_e32 v2, v9
	s_waitcnt lgkmcnt(0)
	v_dual_mov_b32 v4, v10 :: v_dual_mov_b32 v3, s33
.LBB167_7:                              ; =>This Inner Loop Header: Depth=1
	s_delay_alu instid0(VALU_DEP_1) | instskip(NEXT) | instid1(VALU_DEP_1)
	v_add_co_u32 v4, s1, 0x200, v4
	s_xor_b32 s1, s1, -1
	ds_store_2addr_stride64_b32 v2, v3, v1 offset1:16
	v_add_nc_u32_e32 v2, 0x800, v2
	s_and_b32 s1, exec_lo, s1
	s_delay_alu instid0(SALU_CYCLE_1) | instskip(NEXT) | instid1(SALU_CYCLE_1)
	s_or_b32 s0, s1, s0
	s_and_not1_b32 exec_lo, exec_lo, s0
	s_cbranch_execnz .LBB167_7
; %bb.8:
	s_or_b32 exec_lo, exec_lo, s0
	s_waitcnt lgkmcnt(0)
	s_barrier
	buffer_gl0_inv
	s_load_b32 s0, s[36:37], 0x0
	s_mov_b32 s1, 0
	s_waitcnt lgkmcnt(0)
	s_add_i32 s0, s0, s15
	s_delay_alu instid0(SALU_CYCLE_1) | instskip(NEXT) | instid1(SALU_CYCLE_1)
	s_lshl_b64 s[0:1], s[0:1], 2
	s_add_u32 s0, s38, s0
	s_addc_u32 s1, s39, s1
	s_and_b32 vcc_lo, exec_lo, s35
	s_load_b32 s14, s[0:1], 0x0
	s_cbranch_vccz .LBB167_28
; %bb.9:
	s_waitcnt lgkmcnt(0)
	s_ashr_i32 s15, s14, 31
	v_lshrrev_b32_e32 v1, 5, v0
	s_lshl_b64 s[0:1], s[14:15], 3
	s_delay_alu instid0(SALU_CYCLE_1) | instskip(SKIP_1) | instid1(VALU_DEP_1)
	s_add_u32 s0, s16, s0
	s_addc_u32 s1, s17, s1
	v_sub_co_u32 v1, s15, v1, s24
	s_load_b128 s[0:3], s[0:1], 0x0
	v_sub_co_ci_u32_e64 v2, null, 0, 0, s15
	s_waitcnt lgkmcnt(0)
	s_delay_alu instid0(VALU_DEP_2) | instskip(NEXT) | instid1(VALU_DEP_2)
	v_add_co_u32 v1, vcc_lo, s0, v1
	v_add_co_ci_u32_e32 v2, vcc_lo, s1, v2, vcc_lo
	s_sub_u32 s0, s2, s24
	s_subb_u32 s1, s3, 0
	s_mov_b32 s2, exec_lo
	s_delay_alu instid0(VALU_DEP_1)
	v_cmpx_gt_i64_e64 s[0:1], v[1:2]
	s_cbranch_execz .LBB167_27
; %bb.10:
	v_and_b32_e32 v3, 31, v0
	s_mov_b32 s15, s25
	s_delay_alu instid0(VALU_DEP_1) | instskip(NEXT) | instid1(VALU_DEP_1)
	v_sub_co_u32 v13, s3, v3, s25
	v_sub_co_ci_u32_e64 v14, null, 0, 0, s3
	s_mov_b32 s3, 0
	s_branch .LBB167_12
.LBB167_11:                             ;   in Loop: Header=BB167_12 Depth=1
	s_or_b32 exec_lo, exec_lo, s16
	v_add_co_u32 v1, vcc_lo, v1, 16
	v_add_co_ci_u32_e32 v2, vcc_lo, 0, v2, vcc_lo
	s_delay_alu instid0(VALU_DEP_1) | instskip(SKIP_1) | instid1(SALU_CYCLE_1)
	v_cmp_le_i64_e32 vcc_lo, s[0:1], v[1:2]
	s_or_b32 s3, vcc_lo, s3
	s_and_not1_b32 exec_lo, exec_lo, s3
	s_cbranch_execz .LBB167_27
.LBB167_12:                             ; =>This Loop Header: Depth=1
                                        ;     Child Loop BB167_15 Depth 2
                                        ;       Child Loop BB167_17 Depth 3
	v_lshlrev_b64 v[7:8], 2, v[1:2]
	s_mov_b32 s16, exec_lo
	s_delay_alu instid0(VALU_DEP_1) | instskip(NEXT) | instid1(VALU_DEP_2)
	v_add_co_u32 v3, vcc_lo, s18, v7
	v_add_co_ci_u32_e32 v4, vcc_lo, s19, v8, vcc_lo
	global_load_b32 v3, v[3:4], off
	s_waitcnt vmcnt(0)
	v_subrev_nc_u32_e32 v3, s24, v3
	s_delay_alu instid0(VALU_DEP_1) | instskip(NEXT) | instid1(VALU_DEP_1)
	v_ashrrev_i32_e32 v4, 31, v3
	v_lshlrev_b64 v[3:4], 3, v[3:4]
	s_delay_alu instid0(VALU_DEP_1) | instskip(NEXT) | instid1(VALU_DEP_2)
	v_add_co_u32 v3, vcc_lo, s22, v3
	v_add_co_ci_u32_e32 v4, vcc_lo, s23, v4, vcc_lo
	global_load_b128 v[15:18], v[3:4], off
	s_waitcnt vmcnt(0)
	v_sub_co_u32 v3, vcc_lo, v17, s15
	v_subrev_co_ci_u32_e32 v4, vcc_lo, 0, v18, vcc_lo
	v_add_co_u32 v5, vcc_lo, v15, v13
	v_add_co_ci_u32_e32 v6, vcc_lo, v16, v14, vcc_lo
	s_delay_alu instid0(VALU_DEP_1)
	v_cmpx_lt_i64_e64 v[5:6], v[3:4]
	s_cbranch_execz .LBB167_11
; %bb.13:                               ;   in Loop: Header=BB167_12 Depth=1
	v_add_co_u32 v7, vcc_lo, s20, v7
	v_add_co_ci_u32_e32 v8, vcc_lo, s21, v8, vcc_lo
	s_mov_b32 s17, 0
	global_load_b32 v7, v[7:8], off
	s_waitcnt vmcnt(0)
	v_mul_f32_e32 v7, v12, v7
	s_branch .LBB167_15
.LBB167_14:                             ;   in Loop: Header=BB167_15 Depth=2
	s_or_b32 exec_lo, exec_lo, s35
	v_add_co_u32 v5, vcc_lo, v5, 32
	v_add_co_ci_u32_e32 v6, vcc_lo, 0, v6, vcc_lo
	s_delay_alu instid0(VALU_DEP_1) | instskip(SKIP_1) | instid1(SALU_CYCLE_1)
	v_cmp_ge_i64_e32 vcc_lo, v[5:6], v[3:4]
	s_or_b32 s17, vcc_lo, s17
	s_and_not1_b32 exec_lo, exec_lo, s17
	s_cbranch_execz .LBB167_11
.LBB167_15:                             ;   Parent Loop BB167_12 Depth=1
                                        ; =>  This Loop Header: Depth=2
                                        ;       Child Loop BB167_17 Depth 3
	v_lshlrev_b64 v[15:16], 2, v[5:6]
	s_mov_b32 s35, 0
	s_delay_alu instid0(VALU_DEP_1) | instskip(NEXT) | instid1(VALU_DEP_2)
	v_add_co_u32 v17, vcc_lo, s28, v15
	v_add_co_ci_u32_e32 v18, vcc_lo, s29, v16, vcc_lo
	v_add_co_u32 v15, vcc_lo, s30, v15
	v_add_co_ci_u32_e32 v16, vcc_lo, s31, v16, vcc_lo
	global_load_b32 v8, v[17:18], off
	global_load_b32 v15, v[15:16], off
	s_waitcnt vmcnt(1)
	v_subrev_nc_u32_e32 v8, s25, v8
	s_delay_alu instid0(VALU_DEP_1) | instskip(SKIP_1) | instid1(VALU_DEP_1)
	v_mul_lo_u32 v16, 0x89, v8
	s_waitcnt vmcnt(0)
	v_dual_mul_f32 v15, v7, v15 :: v_dual_and_b32 v16, 0x3ff, v16
	s_branch .LBB167_17
.LBB167_16:                             ;   in Loop: Header=BB167_17 Depth=3
	s_or_b32 exec_lo, exec_lo, s36
	s_xor_b32 s36, s37, -1
	s_delay_alu instid0(SALU_CYCLE_1) | instskip(NEXT) | instid1(SALU_CYCLE_1)
	s_and_b32 s36, exec_lo, s36
	s_or_b32 s35, s36, s35
	s_delay_alu instid0(SALU_CYCLE_1)
	s_and_not1_b32 exec_lo, exec_lo, s35
	s_cbranch_execz .LBB167_14
.LBB167_17:                             ;   Parent Loop BB167_12 Depth=1
                                        ;     Parent Loop BB167_15 Depth=2
                                        ; =>    This Inner Loop Header: Depth=3
	s_delay_alu instid0(VALU_DEP_1)
	v_lshl_add_u32 v17, v16, 2, 0
	s_mov_b32 s36, exec_lo
                                        ; implicit-def: $sgpr37
	ds_load_b32 v18, v17
	s_waitcnt lgkmcnt(0)
	v_cmpx_ne_u32_e64 v18, v8
	s_xor_b32 s36, exec_lo, s36
	s_cbranch_execz .LBB167_25
; %bb.18:                               ;   in Loop: Header=BB167_17 Depth=3
	s_mov_b32 s38, exec_lo
                                        ; implicit-def: $sgpr37
	v_cmpx_ne_u32_e64 s33, v18
	s_xor_b32 s38, exec_lo, s38
; %bb.19:                               ;   in Loop: Header=BB167_17 Depth=3
	v_add_nc_u32_e32 v16, 1, v16
	s_mov_b32 s37, -1
                                        ; implicit-def: $vgpr17
	s_delay_alu instid0(VALU_DEP_1)
	v_and_b32_e32 v16, 0x3ff, v16
; %bb.20:                               ;   in Loop: Header=BB167_17 Depth=3
	s_and_not1_saveexec_b32 s38, s38
	s_cbranch_execz .LBB167_24
; %bb.21:                               ;   in Loop: Header=BB167_17 Depth=3
	v_mov_b32_e32 v18, s33
	s_mov_b32 s39, -1
	s_mov_b32 s40, exec_lo
	ds_cmpstore_rtn_b32 v18, v17, v8, v18
	s_waitcnt lgkmcnt(0)
	v_cmpx_eq_u32_e64 s33, v18
	s_cbranch_execz .LBB167_23
; %bb.22:                               ;   in Loop: Header=BB167_17 Depth=3
	ds_add_f32 v17, v15 offset:4096
	s_xor_b32 s39, exec_lo, -1
.LBB167_23:                             ;   in Loop: Header=BB167_17 Depth=3
	s_or_b32 exec_lo, exec_lo, s40
	s_delay_alu instid0(SALU_CYCLE_1) | instskip(SKIP_1) | instid1(SALU_CYCLE_1)
	s_and_not1_b32 s37, s37, exec_lo
	s_and_b32 s39, s39, exec_lo
	s_or_b32 s37, s37, s39
.LBB167_24:                             ;   in Loop: Header=BB167_17 Depth=3
	s_or_b32 exec_lo, exec_lo, s38
	s_delay_alu instid0(SALU_CYCLE_1)
	s_and_b32 s37, s37, exec_lo
                                        ; implicit-def: $vgpr17
.LBB167_25:                             ;   in Loop: Header=BB167_17 Depth=3
	s_and_not1_saveexec_b32 s36, s36
	s_cbranch_execz .LBB167_16
; %bb.26:                               ;   in Loop: Header=BB167_17 Depth=3
	ds_add_f32 v17, v15 offset:4096
	s_and_not1_b32 s37, s37, exec_lo
	s_branch .LBB167_16
.LBB167_27:
	s_or_b32 exec_lo, exec_lo, s2
.LBB167_28:
	s_delay_alu instid0(SALU_CYCLE_1)
	s_and_not1_b32 vcc_lo, exec_lo, s34
	s_cbranch_vccnz .LBB167_31
; %bb.29:
	s_waitcnt lgkmcnt(0)
	s_ashr_i32 s15, s14, 31
	s_delay_alu instid0(SALU_CYCLE_1) | instskip(NEXT) | instid1(SALU_CYCLE_1)
	s_lshl_b64 s[0:1], s[14:15], 3
	s_add_u32 s0, s4, s0
	s_addc_u32 s1, s5, s1
	v_sub_co_u32 v1, s4, v0, s27
	s_load_b128 s[0:3], s[0:1], 0x0
	v_sub_co_ci_u32_e64 v2, null, 0, 0, s4
	s_waitcnt lgkmcnt(0)
	s_delay_alu instid0(VALU_DEP_2) | instskip(NEXT) | instid1(VALU_DEP_2)
	v_add_co_u32 v1, vcc_lo, s0, v1
	v_add_co_ci_u32_e32 v2, vcc_lo, s1, v2, vcc_lo
	s_sub_u32 s0, s2, s27
	s_subb_u32 s1, s3, 0
	s_mov_b32 s3, 0
	s_mov_b32 s2, exec_lo
	v_cmpx_gt_i64_e64 s[0:1], v[1:2]
	s_cbranch_execnz .LBB167_52
.LBB167_30:
	s_or_b32 exec_lo, exec_lo, s2
.LBB167_31:
	v_mbcnt_lo_u32_b32 v1, -1, 0
	v_lshrrev_b32_e32 v2, 4, v0
	v_cmp_eq_u32_e32 vcc_lo, 0x1ff, v0
	v_cmp_lt_u32_e64 s0, 63, v0
	v_cmp_lt_u32_e64 s1, 0x7f, v0
	v_xor_b32_e32 v1, 63, v1
	v_dual_mov_b32 v6, 0 :: v_dual_and_b32 v3, 28, v2
	v_cmp_lt_u32_e64 s2, 0xbf, v0
	v_cmp_lt_u32_e64 s3, 0xff, v0
	s_delay_alu instid0(VALU_DEP_4) | instskip(NEXT) | instid1(VALU_DEP_4)
	v_lshrrev_b64 v[1:2], v1, -1
	v_dual_mov_b32 v5, 0 :: v_dual_add_nc_u32 v4, 0, v3
	v_cmp_lt_u32_e64 s4, 0x13f, v0
	v_cmp_lt_u32_e64 s5, 0x17f, v0
	;; [unrolled: 1-line block ×3, first 2 shown]
	s_mov_b32 s8, 0
	s_waitcnt lgkmcnt(0)
	s_barrier
	buffer_gl0_inv
	s_branch .LBB167_33
.LBB167_32:                             ;   in Loop: Header=BB167_33 Depth=1
	s_or_b32 exec_lo, exec_lo, s7
	s_waitcnt lgkmcnt(0)
	s_barrier
	buffer_gl0_inv
	ds_load_b32 v2, v5 offset:8220
	v_add_co_u32 v10, s7, 0x200, v10
	s_delay_alu instid0(VALU_DEP_1) | instskip(SKIP_2) | instid1(SALU_CYCLE_1)
	s_xor_b32 s7, s7, -1
	v_add_nc_u32_e32 v9, 0x800, v9
	s_and_b32 s7, exec_lo, s7
	s_or_b32 s8, s7, s8
	s_waitcnt lgkmcnt(0)
	v_add_nc_u32_e32 v6, v2, v6
	s_and_not1_b32 exec_lo, exec_lo, s8
	s_cbranch_execz .LBB167_64
.LBB167_33:                             ; =>This Inner Loop Header: Depth=1
	ds_load_2addr_stride64_b32 v[2:3], v9 offset1:16
	s_waitcnt lgkmcnt(0)
	s_barrier
	buffer_gl0_inv
	v_cmp_gt_i32_e64 s7, s33, v2
	s_delay_alu instid0(VALU_DEP_1) | instskip(NEXT) | instid1(SALU_CYCLE_1)
	s_bcnt1_i32_b32 s9, s7
	v_dual_mov_b32 v8, s9 :: v_dual_and_b32 v7, s7, v1
	s_delay_alu instid0(VALU_DEP_1)
	v_bcnt_u32_b32 v7, v7, 0
	ds_store_b32 v4, v8 offset:8192
	s_waitcnt lgkmcnt(0)
	s_barrier
	buffer_gl0_inv
	s_and_saveexec_b32 s9, s0
	s_cbranch_execnz .LBB167_42
; %bb.34:                               ;   in Loop: Header=BB167_33 Depth=1
	s_or_b32 exec_lo, exec_lo, s9
	s_and_saveexec_b32 s9, s1
	s_cbranch_execnz .LBB167_43
.LBB167_35:                             ;   in Loop: Header=BB167_33 Depth=1
	s_or_b32 exec_lo, exec_lo, s9
	s_and_saveexec_b32 s9, s2
	s_cbranch_execnz .LBB167_44
.LBB167_36:                             ;   in Loop: Header=BB167_33 Depth=1
	s_or_b32 exec_lo, exec_lo, s9
	s_and_saveexec_b32 s9, s3
	s_cbranch_execnz .LBB167_45
.LBB167_37:                             ;   in Loop: Header=BB167_33 Depth=1
	s_or_b32 exec_lo, exec_lo, s9
	s_and_saveexec_b32 s9, s4
	s_cbranch_execnz .LBB167_46
.LBB167_38:                             ;   in Loop: Header=BB167_33 Depth=1
	s_or_b32 exec_lo, exec_lo, s9
	s_and_saveexec_b32 s9, s5
	s_cbranch_execnz .LBB167_47
.LBB167_39:                             ;   in Loop: Header=BB167_33 Depth=1
	s_or_b32 exec_lo, exec_lo, s9
	s_and_saveexec_b32 s9, s6
	s_cbranch_execnz .LBB167_48
.LBB167_40:                             ;   in Loop: Header=BB167_33 Depth=1
	s_or_b32 exec_lo, exec_lo, s9
	s_and_saveexec_b32 s9, s7
	s_cbranch_execnz .LBB167_49
.LBB167_41:                             ;   in Loop: Header=BB167_33 Depth=1
	s_or_b32 exec_lo, exec_lo, s9
	s_and_saveexec_b32 s7, vcc_lo
	s_cbranch_execz .LBB167_32
	s_branch .LBB167_50
.LBB167_42:                             ;   in Loop: Header=BB167_33 Depth=1
	ds_load_b32 v8, v5 offset:8192
	s_waitcnt lgkmcnt(0)
	v_add_nc_u32_e32 v7, v8, v7
	s_or_b32 exec_lo, exec_lo, s9
	s_and_saveexec_b32 s9, s1
	s_cbranch_execz .LBB167_35
.LBB167_43:                             ;   in Loop: Header=BB167_33 Depth=1
	ds_load_b32 v8, v5 offset:8196
	s_waitcnt lgkmcnt(0)
	v_add_nc_u32_e32 v7, v8, v7
	s_or_b32 exec_lo, exec_lo, s9
	s_and_saveexec_b32 s9, s2
	s_cbranch_execz .LBB167_36
.LBB167_44:                             ;   in Loop: Header=BB167_33 Depth=1
	ds_load_b32 v8, v5 offset:8200
	s_waitcnt lgkmcnt(0)
	v_add_nc_u32_e32 v7, v8, v7
	s_or_b32 exec_lo, exec_lo, s9
	s_and_saveexec_b32 s9, s3
	s_cbranch_execz .LBB167_37
.LBB167_45:                             ;   in Loop: Header=BB167_33 Depth=1
	ds_load_b32 v8, v5 offset:8204
	s_waitcnt lgkmcnt(0)
	v_add_nc_u32_e32 v7, v8, v7
	s_or_b32 exec_lo, exec_lo, s9
	s_and_saveexec_b32 s9, s4
	s_cbranch_execz .LBB167_38
.LBB167_46:                             ;   in Loop: Header=BB167_33 Depth=1
	ds_load_b32 v8, v5 offset:8208
	s_waitcnt lgkmcnt(0)
	v_add_nc_u32_e32 v7, v8, v7
	s_or_b32 exec_lo, exec_lo, s9
	s_and_saveexec_b32 s9, s5
	s_cbranch_execz .LBB167_39
.LBB167_47:                             ;   in Loop: Header=BB167_33 Depth=1
	ds_load_b32 v8, v5 offset:8212
	s_waitcnt lgkmcnt(0)
	v_add_nc_u32_e32 v7, v8, v7
	s_or_b32 exec_lo, exec_lo, s9
	s_and_saveexec_b32 s9, s6
	s_cbranch_execz .LBB167_40
.LBB167_48:                             ;   in Loop: Header=BB167_33 Depth=1
	ds_load_b32 v8, v5 offset:8216
	s_waitcnt lgkmcnt(0)
	v_add_nc_u32_e32 v7, v8, v7
	s_or_b32 exec_lo, exec_lo, s9
	s_and_saveexec_b32 s9, s7
	s_cbranch_execz .LBB167_41
.LBB167_49:                             ;   in Loop: Header=BB167_33 Depth=1
	s_delay_alu instid0(VALU_DEP_1) | instskip(NEXT) | instid1(VALU_DEP_1)
	v_add3_u32 v8, v6, -1, v7
	v_lshl_add_u32 v8, v8, 2, 0
	ds_store_2addr_stride64_b32 v8, v2, v3 offset1:16
	s_or_b32 exec_lo, exec_lo, s9
	s_and_saveexec_b32 s7, vcc_lo
	s_cbranch_execz .LBB167_32
.LBB167_50:                             ;   in Loop: Header=BB167_33 Depth=1
	ds_store_b32 v5, v7 offset:8220
	s_branch .LBB167_32
.LBB167_51:                             ;   in Loop: Header=BB167_52 Depth=1
	s_or_b32 exec_lo, exec_lo, s4
	v_add_co_u32 v1, vcc_lo, 0x200, v1
	v_add_co_ci_u32_e32 v2, vcc_lo, 0, v2, vcc_lo
	s_delay_alu instid0(VALU_DEP_1) | instskip(SKIP_1) | instid1(SALU_CYCLE_1)
	v_cmp_le_i64_e32 vcc_lo, s[0:1], v[1:2]
	s_or_b32 s3, vcc_lo, s3
	s_and_not1_b32 exec_lo, exec_lo, s3
	s_cbranch_execz .LBB167_30
.LBB167_52:                             ; =>This Loop Header: Depth=1
                                        ;     Child Loop BB167_54 Depth 2
	v_lshlrev_b64 v[3:4], 2, v[1:2]
	s_mov_b32 s4, 0
	s_delay_alu instid0(VALU_DEP_1) | instskip(NEXT) | instid1(VALU_DEP_2)
	v_add_co_u32 v5, vcc_lo, s6, v3
	v_add_co_ci_u32_e32 v6, vcc_lo, s7, v4, vcc_lo
	v_add_co_u32 v3, vcc_lo, s8, v3
	v_add_co_ci_u32_e32 v4, vcc_lo, s9, v4, vcc_lo
	global_load_b32 v5, v[5:6], off
	global_load_b32 v4, v[3:4], off
	s_waitcnt vmcnt(1)
	v_subrev_nc_u32_e32 v3, s27, v5
	s_delay_alu instid0(VALU_DEP_1) | instskip(SKIP_1) | instid1(VALU_DEP_1)
	v_mul_lo_u32 v5, 0x89, v3
	s_waitcnt vmcnt(0)
	v_dual_mul_f32 v4, v11, v4 :: v_dual_and_b32 v5, 0x3ff, v5
	s_branch .LBB167_54
.LBB167_53:                             ;   in Loop: Header=BB167_54 Depth=2
	s_or_b32 exec_lo, exec_lo, s5
	s_xor_b32 s5, s15, -1
	s_delay_alu instid0(SALU_CYCLE_1) | instskip(NEXT) | instid1(SALU_CYCLE_1)
	s_and_b32 s5, exec_lo, s5
	s_or_b32 s4, s5, s4
	s_delay_alu instid0(SALU_CYCLE_1)
	s_and_not1_b32 exec_lo, exec_lo, s4
	s_cbranch_execz .LBB167_51
.LBB167_54:                             ;   Parent Loop BB167_52 Depth=1
                                        ; =>  This Inner Loop Header: Depth=2
	s_delay_alu instid0(VALU_DEP_1)
	v_lshl_add_u32 v6, v5, 2, 0
	s_mov_b32 s5, exec_lo
                                        ; implicit-def: $sgpr15
	ds_load_b32 v7, v6
	s_waitcnt lgkmcnt(0)
	v_cmpx_ne_u32_e64 v7, v3
	s_xor_b32 s5, exec_lo, s5
	s_cbranch_execz .LBB167_62
; %bb.55:                               ;   in Loop: Header=BB167_54 Depth=2
	s_mov_b32 s16, exec_lo
                                        ; implicit-def: $sgpr15
	v_cmpx_ne_u32_e64 s33, v7
	s_xor_b32 s16, exec_lo, s16
; %bb.56:                               ;   in Loop: Header=BB167_54 Depth=2
	v_add_nc_u32_e32 v5, 1, v5
	s_mov_b32 s15, -1
                                        ; implicit-def: $vgpr6
	s_delay_alu instid0(VALU_DEP_1)
	v_and_b32_e32 v5, 0x3ff, v5
; %bb.57:                               ;   in Loop: Header=BB167_54 Depth=2
	s_and_not1_saveexec_b32 s16, s16
	s_cbranch_execz .LBB167_61
; %bb.58:                               ;   in Loop: Header=BB167_54 Depth=2
	v_mov_b32_e32 v7, s33
	s_mov_b32 s17, -1
	s_mov_b32 s18, exec_lo
	ds_cmpstore_rtn_b32 v7, v6, v3, v7
	s_waitcnt lgkmcnt(0)
	v_cmpx_eq_u32_e64 s33, v7
	s_cbranch_execz .LBB167_60
; %bb.59:                               ;   in Loop: Header=BB167_54 Depth=2
	ds_add_f32 v6, v4 offset:4096
	s_xor_b32 s17, exec_lo, -1
.LBB167_60:                             ;   in Loop: Header=BB167_54 Depth=2
	s_or_b32 exec_lo, exec_lo, s18
	s_delay_alu instid0(SALU_CYCLE_1) | instskip(SKIP_1) | instid1(SALU_CYCLE_1)
	s_and_not1_b32 s15, s15, exec_lo
	s_and_b32 s17, s17, exec_lo
	s_or_b32 s15, s15, s17
.LBB167_61:                             ;   in Loop: Header=BB167_54 Depth=2
	s_or_b32 exec_lo, exec_lo, s16
	s_delay_alu instid0(SALU_CYCLE_1)
	s_and_b32 s15, s15, exec_lo
                                        ; implicit-def: $vgpr6
.LBB167_62:                             ;   in Loop: Header=BB167_54 Depth=2
	s_and_not1_saveexec_b32 s5, s5
	s_cbranch_execz .LBB167_53
; %bb.63:                               ;   in Loop: Header=BB167_54 Depth=2
	ds_add_f32 v6, v4 offset:4096
	s_and_not1_b32 s15, s15, exec_lo
	s_branch .LBB167_53
.LBB167_64:
	s_or_b32 exec_lo, exec_lo, s8
	s_ashr_i32 s15, s14, 31
	s_mov_b32 s4, exec_lo
	s_lshl_b64 s[0:1], s[14:15], 3
	s_delay_alu instid0(SALU_CYCLE_1) | instskip(SKIP_4) | instid1(SALU_CYCLE_1)
	s_add_u32 s0, s10, s0
	s_addc_u32 s1, s11, s1
	s_load_b128 s[0:3], s[0:1], 0x0
	s_waitcnt lgkmcnt(0)
	s_sub_i32 s3, s2, s0
	v_cmpx_gt_i32_e64 s3, v0
	s_cbranch_execz .LBB167_74
; %bb.65:
	s_sub_u32 s4, s0, s26
	s_subb_u32 s5, s1, 0
	s_sub_i32 s0, s0, s2
	s_and_b32 s1, s3, 7
	s_cmp_lt_u32 s0, -7
	s_mov_b32 s8, 0
	s_cselect_b32 s2, -1, 0
	s_and_b32 s6, s3, -8
	s_cmp_lg_u32 s1, 0
	s_cselect_b32 s7, -1, 0
	s_branch .LBB167_67
.LBB167_66:                             ;   in Loop: Header=BB167_67 Depth=1
	s_delay_alu instid0(VALU_DEP_1) | instskip(SKIP_1) | instid1(VALU_DEP_1)
	v_lshlrev_b64 v[3:4], 2, v[3:4]
	v_add_nc_u32_e32 v0, 0x200, v0
	v_cmp_le_i32_e32 vcc_lo, s3, v0
	s_delay_alu instid0(VALU_DEP_3) | instskip(NEXT) | instid1(VALU_DEP_1)
	v_add_co_u32 v3, s0, s12, v3
	v_add_co_ci_u32_e64 v4, s0, s13, v4, s0
	s_or_b32 s8, vcc_lo, s8
	s_waitcnt lgkmcnt(0)
	global_store_b32 v[3:4], v2, off
	s_and_not1_b32 exec_lo, exec_lo, s8
	s_cbranch_execz .LBB167_74
.LBB167_67:                             ; =>This Loop Header: Depth=1
                                        ;     Child Loop BB167_69 Depth 2
                                        ;     Child Loop BB167_73 Depth 2
	v_lshl_add_u32 v1, v0, 2, 0
	v_dual_mov_b32 v3, s4 :: v_dual_mov_b32 v4, s5
	s_and_not1_b32 vcc_lo, exec_lo, s2
	s_mov_b32 s0, 0
	ds_load_2addr_stride64_b32 v[1:2], v1 offset1:16
	s_cbranch_vccnz .LBB167_71
; %bb.68:                               ;   in Loop: Header=BB167_67 Depth=1
	v_dual_mov_b32 v3, s4 :: v_dual_mov_b32 v4, s5
	s_mov_b32 s9, 0
	s_mov_b32 s10, 0
.LBB167_69:                             ;   Parent Loop BB167_67 Depth=1
                                        ; =>  This Inner Loop Header: Depth=2
	s_delay_alu instid0(SALU_CYCLE_1)
	v_mov_b32_e32 v11, s10
	s_add_i32 s9, s9, 8
	s_add_i32 s10, s10, 32
	s_cmp_eq_u32 s6, s9
	ds_load_2addr_b32 v[5:6], v11 offset1:1
	ds_load_2addr_b32 v[7:8], v11 offset0:2 offset1:3
	ds_load_2addr_b32 v[9:10], v11 offset0:4 offset1:5
	;; [unrolled: 1-line block ×3, first 2 shown]
	s_waitcnt lgkmcnt(3)
	v_cmp_gt_i32_e32 vcc_lo, v1, v5
	v_cndmask_b32_e64 v5, 0, 1, vcc_lo
	v_cmp_gt_i32_e32 vcc_lo, v1, v6
	v_cndmask_b32_e64 v6, 0, 1, vcc_lo
	s_waitcnt lgkmcnt(2)
	v_cmp_gt_i32_e32 vcc_lo, v1, v7
	v_cndmask_b32_e64 v7, 0, 1, vcc_lo
	v_cmp_gt_i32_e32 vcc_lo, v1, v8
	v_cndmask_b32_e64 v8, 0, 1, vcc_lo
	s_waitcnt lgkmcnt(1)
	v_cmp_gt_i32_e32 vcc_lo, v1, v9
	v_cndmask_b32_e64 v9, 0, 1, vcc_lo
	v_add_co_u32 v3, vcc_lo, v3, v5
	v_add_co_ci_u32_e32 v4, vcc_lo, 0, v4, vcc_lo
	v_cmp_gt_i32_e32 vcc_lo, v1, v10
	s_delay_alu instid0(VALU_DEP_3) | instskip(NEXT) | instid1(VALU_DEP_1)
	v_add_co_u32 v3, s0, v3, v6
	v_add_co_ci_u32_e64 v4, s0, 0, v4, s0
	v_cndmask_b32_e64 v5, 0, 1, vcc_lo
	s_delay_alu instid0(VALU_DEP_3) | instskip(NEXT) | instid1(VALU_DEP_3)
	v_add_co_u32 v3, vcc_lo, v3, v7
	v_add_co_ci_u32_e32 v4, vcc_lo, 0, v4, vcc_lo
	s_waitcnt lgkmcnt(0)
	v_cmp_gt_i32_e32 vcc_lo, v1, v11
	s_delay_alu instid0(VALU_DEP_3) | instskip(NEXT) | instid1(VALU_DEP_1)
	v_add_co_u32 v3, s0, v3, v8
	v_add_co_ci_u32_e64 v4, s0, 0, v4, s0
	v_cndmask_b32_e64 v6, 0, 1, vcc_lo
	s_delay_alu instid0(VALU_DEP_3) | instskip(NEXT) | instid1(VALU_DEP_3)
	v_add_co_u32 v3, vcc_lo, v3, v9
	v_add_co_ci_u32_e32 v4, vcc_lo, 0, v4, vcc_lo
	v_cmp_gt_i32_e32 vcc_lo, v1, v12
	s_delay_alu instid0(VALU_DEP_3) | instskip(NEXT) | instid1(VALU_DEP_1)
	v_add_co_u32 v3, s0, v3, v5
	v_add_co_ci_u32_e64 v4, s0, 0, v4, s0
	v_cndmask_b32_e64 v5, 0, 1, vcc_lo
	s_delay_alu instid0(VALU_DEP_3) | instskip(NEXT) | instid1(VALU_DEP_3)
	v_add_co_u32 v3, vcc_lo, v3, v6
	v_add_co_ci_u32_e32 v4, vcc_lo, 0, v4, vcc_lo
	s_delay_alu instid0(VALU_DEP_2) | instskip(NEXT) | instid1(VALU_DEP_2)
	v_add_co_u32 v3, vcc_lo, v3, v5
	v_add_co_ci_u32_e32 v4, vcc_lo, 0, v4, vcc_lo
	s_cbranch_scc0 .LBB167_69
; %bb.70:                               ;   in Loop: Header=BB167_67 Depth=1
	s_mov_b32 s0, s6
.LBB167_71:                             ;   in Loop: Header=BB167_67 Depth=1
	s_and_not1_b32 vcc_lo, exec_lo, s7
	s_cbranch_vccnz .LBB167_66
; %bb.72:                               ;   in Loop: Header=BB167_67 Depth=1
	s_lshl_b32 s0, s0, 2
	s_mov_b32 s9, s1
	s_add_i32 s0, s0, 0
.LBB167_73:                             ;   Parent Loop BB167_67 Depth=1
                                        ; =>  This Inner Loop Header: Depth=2
	s_delay_alu instid0(SALU_CYCLE_1)
	v_mov_b32_e32 v5, s0
	s_add_i32 s9, s9, -1
	s_add_i32 s0, s0, 4
	s_cmp_lg_u32 s9, 0
	ds_load_b32 v5, v5
	s_waitcnt lgkmcnt(0)
	v_cmp_gt_i32_e32 vcc_lo, v1, v5
	v_cndmask_b32_e64 v5, 0, 1, vcc_lo
	s_delay_alu instid0(VALU_DEP_1)
	v_add_co_u32 v3, vcc_lo, v3, v5
	v_add_co_ci_u32_e32 v4, vcc_lo, 0, v4, vcc_lo
	s_cbranch_scc1 .LBB167_73
	s_branch .LBB167_66
.LBB167_74:
	s_nop 0
	s_sendmsg sendmsg(MSG_DEALLOC_VGPRS)
	s_endpgm
	.section	.rodata,"a",@progbits
	.p2align	6, 0x0
	.amdhsa_kernel _ZN9rocsparseL41csrgemm_numeric_fill_block_per_row_kernelILj512ELj32ELj1024ELj137ELj64ElifEEvT5_PKS1_S3_NS_24const_host_device_scalarIT6_EEPKT4_S3_PKS5_S9_S3_SB_S6_S9_S3_SB_S9_S3_PS5_21rocsparse_index_base_SD_SD_SD_bbb
		.amdhsa_group_segment_fixed_size 0
		.amdhsa_private_segment_fixed_size 0
		.amdhsa_kernarg_size 156
		.amdhsa_user_sgpr_count 15
		.amdhsa_user_sgpr_dispatch_ptr 0
		.amdhsa_user_sgpr_queue_ptr 0
		.amdhsa_user_sgpr_kernarg_segment_ptr 1
		.amdhsa_user_sgpr_dispatch_id 0
		.amdhsa_user_sgpr_private_segment_size 0
		.amdhsa_wavefront_size32 1
		.amdhsa_uses_dynamic_stack 0
		.amdhsa_enable_private_segment 0
		.amdhsa_system_sgpr_workgroup_id_x 1
		.amdhsa_system_sgpr_workgroup_id_y 0
		.amdhsa_system_sgpr_workgroup_id_z 0
		.amdhsa_system_sgpr_workgroup_info 0
		.amdhsa_system_vgpr_workitem_id 0
		.amdhsa_next_free_vgpr 19
		.amdhsa_next_free_sgpr 41
		.amdhsa_reserve_vcc 1
		.amdhsa_float_round_mode_32 0
		.amdhsa_float_round_mode_16_64 0
		.amdhsa_float_denorm_mode_32 3
		.amdhsa_float_denorm_mode_16_64 3
		.amdhsa_dx10_clamp 1
		.amdhsa_ieee_mode 1
		.amdhsa_fp16_overflow 0
		.amdhsa_workgroup_processor_mode 1
		.amdhsa_memory_ordered 1
		.amdhsa_forward_progress 0
		.amdhsa_shared_vgpr_count 0
		.amdhsa_exception_fp_ieee_invalid_op 0
		.amdhsa_exception_fp_denorm_src 0
		.amdhsa_exception_fp_ieee_div_zero 0
		.amdhsa_exception_fp_ieee_overflow 0
		.amdhsa_exception_fp_ieee_underflow 0
		.amdhsa_exception_fp_ieee_inexact 0
		.amdhsa_exception_int_div_zero 0
	.end_amdhsa_kernel
	.section	.text._ZN9rocsparseL41csrgemm_numeric_fill_block_per_row_kernelILj512ELj32ELj1024ELj137ELj64ElifEEvT5_PKS1_S3_NS_24const_host_device_scalarIT6_EEPKT4_S3_PKS5_S9_S3_SB_S6_S9_S3_SB_S9_S3_PS5_21rocsparse_index_base_SD_SD_SD_bbb,"axG",@progbits,_ZN9rocsparseL41csrgemm_numeric_fill_block_per_row_kernelILj512ELj32ELj1024ELj137ELj64ElifEEvT5_PKS1_S3_NS_24const_host_device_scalarIT6_EEPKT4_S3_PKS5_S9_S3_SB_S6_S9_S3_SB_S9_S3_PS5_21rocsparse_index_base_SD_SD_SD_bbb,comdat
.Lfunc_end167:
	.size	_ZN9rocsparseL41csrgemm_numeric_fill_block_per_row_kernelILj512ELj32ELj1024ELj137ELj64ElifEEvT5_PKS1_S3_NS_24const_host_device_scalarIT6_EEPKT4_S3_PKS5_S9_S3_SB_S6_S9_S3_SB_S9_S3_PS5_21rocsparse_index_base_SD_SD_SD_bbb, .Lfunc_end167-_ZN9rocsparseL41csrgemm_numeric_fill_block_per_row_kernelILj512ELj32ELj1024ELj137ELj64ElifEEvT5_PKS1_S3_NS_24const_host_device_scalarIT6_EEPKT4_S3_PKS5_S9_S3_SB_S6_S9_S3_SB_S9_S3_PS5_21rocsparse_index_base_SD_SD_SD_bbb
                                        ; -- End function
	.section	.AMDGPU.csdata,"",@progbits
; Kernel info:
; codeLenInByte = 2868
; NumSgprs: 43
; NumVgprs: 19
; ScratchSize: 0
; MemoryBound: 0
; FloatMode: 240
; IeeeMode: 1
; LDSByteSize: 0 bytes/workgroup (compile time only)
; SGPRBlocks: 5
; VGPRBlocks: 2
; NumSGPRsForWavesPerEU: 43
; NumVGPRsForWavesPerEU: 19
; Occupancy: 16
; WaveLimiterHint : 1
; COMPUTE_PGM_RSRC2:SCRATCH_EN: 0
; COMPUTE_PGM_RSRC2:USER_SGPR: 15
; COMPUTE_PGM_RSRC2:TRAP_HANDLER: 0
; COMPUTE_PGM_RSRC2:TGID_X_EN: 1
; COMPUTE_PGM_RSRC2:TGID_Y_EN: 0
; COMPUTE_PGM_RSRC2:TGID_Z_EN: 0
; COMPUTE_PGM_RSRC2:TIDIG_COMP_CNT: 0
	.section	.text._ZN9rocsparseL41csrgemm_numeric_fill_block_per_row_kernelILj1024ELj32ELj2048ELj137ELj32ElifEEvT5_PKS1_S3_NS_24const_host_device_scalarIT6_EEPKT4_S3_PKS5_S9_S3_SB_S6_S9_S3_SB_S9_S3_PS5_21rocsparse_index_base_SD_SD_SD_bbb,"axG",@progbits,_ZN9rocsparseL41csrgemm_numeric_fill_block_per_row_kernelILj1024ELj32ELj2048ELj137ELj32ElifEEvT5_PKS1_S3_NS_24const_host_device_scalarIT6_EEPKT4_S3_PKS5_S9_S3_SB_S6_S9_S3_SB_S9_S3_PS5_21rocsparse_index_base_SD_SD_SD_bbb,comdat
	.globl	_ZN9rocsparseL41csrgemm_numeric_fill_block_per_row_kernelILj1024ELj32ELj2048ELj137ELj32ElifEEvT5_PKS1_S3_NS_24const_host_device_scalarIT6_EEPKT4_S3_PKS5_S9_S3_SB_S6_S9_S3_SB_S9_S3_PS5_21rocsparse_index_base_SD_SD_SD_bbb ; -- Begin function _ZN9rocsparseL41csrgemm_numeric_fill_block_per_row_kernelILj1024ELj32ELj2048ELj137ELj32ElifEEvT5_PKS1_S3_NS_24const_host_device_scalarIT6_EEPKT4_S3_PKS5_S9_S3_SB_S6_S9_S3_SB_S9_S3_PS5_21rocsparse_index_base_SD_SD_SD_bbb
	.p2align	8
	.type	_ZN9rocsparseL41csrgemm_numeric_fill_block_per_row_kernelILj1024ELj32ELj2048ELj137ELj32ElifEEvT5_PKS1_S3_NS_24const_host_device_scalarIT6_EEPKT4_S3_PKS5_S9_S3_SB_S6_S9_S3_SB_S9_S3_PS5_21rocsparse_index_base_SD_SD_SD_bbb,@function
_ZN9rocsparseL41csrgemm_numeric_fill_block_per_row_kernelILj1024ELj32ELj2048ELj137ELj32ElifEEvT5_PKS1_S3_NS_24const_host_device_scalarIT6_EEPKT4_S3_PKS5_S9_S3_SB_S6_S9_S3_SB_S9_S3_PS5_21rocsparse_index_base_SD_SD_SD_bbb: ; @_ZN9rocsparseL41csrgemm_numeric_fill_block_per_row_kernelILj1024ELj32ELj2048ELj137ELj32ElifEEvT5_PKS1_S3_NS_24const_host_device_scalarIT6_EEPKT4_S3_PKS5_S9_S3_SB_S6_S9_S3_SB_S9_S3_PS5_21rocsparse_index_base_SD_SD_SD_bbb
; %bb.0:
	s_clause 0x3
	s_load_b32 s12, s[0:1], 0x98
	s_load_b128 s[44:47], s[0:1], 0x88
	s_load_b64 s[4:5], s[0:1], 0x18
	s_load_b64 s[2:3], s[0:1], 0x50
	s_waitcnt lgkmcnt(0)
	s_bitcmp1_b32 s12, 0
	s_cselect_b32 s13, -1, 0
	s_bitcmp1_b32 s12, 16
	s_cselect_b32 s14, -1, 0
	s_xor_b32 s6, s13, -1
	s_delay_alu instid0(SALU_CYCLE_1) | instskip(NEXT) | instid1(SALU_CYCLE_1)
	s_or_b32 s6, s6, s14
	s_and_b32 vcc_lo, exec_lo, s6
	s_cbranch_vccnz .LBB168_2
; %bb.1:
	s_load_b32 s4, s[4:5], 0x0
	s_waitcnt lgkmcnt(0)
	v_mov_b32_e32 v13, s4
	s_branch .LBB168_3
.LBB168_2:
	v_cndmask_b32_e64 v13, 0, s4, s13
.LBB168_3:
	s_clause 0x4
	s_load_b64 s[34:35], s[0:1], 0x80
	s_load_b256 s[36:43], s[0:1], 0x58
	s_load_b128 s[16:19], s[0:1], 0x40
	s_load_b128 s[20:23], s[0:1], 0x8
	s_load_b256 s[4:11], s[0:1], 0x20
	s_bitcmp1_b32 s12, 8
	s_cselect_b32 s12, -1, 0
	s_delay_alu instid0(SALU_CYCLE_1) | instskip(NEXT) | instid1(SALU_CYCLE_1)
	s_xor_b32 s24, s12, -1
	s_or_b32 s14, s24, s14
	s_delay_alu instid0(SALU_CYCLE_1)
	s_and_b32 vcc_lo, exec_lo, s14
	s_cbranch_vccnz .LBB168_5
; %bb.4:
	s_load_b32 s2, s[2:3], 0x0
	s_waitcnt lgkmcnt(0)
	v_mov_b32_e32 v11, s2
	s_branch .LBB168_6
.LBB168_5:
	v_cndmask_b32_e64 v11, 0, s2, s12
.LBB168_6:
	s_load_b32 s33, s[0:1], 0x0
	v_lshl_add_u32 v9, v0, 2, 0
	v_or_b32_e32 v10, 0xfffffc00, v0
	v_mov_b32_e32 v1, 0
	s_mov_b32 s0, 0
	s_delay_alu instid0(VALU_DEP_3)
	v_mov_b32_e32 v2, v9
	s_waitcnt lgkmcnt(0)
	v_dual_mov_b32 v4, v10 :: v_dual_mov_b32 v3, s33
.LBB168_7:                              ; =>This Inner Loop Header: Depth=1
	s_delay_alu instid0(VALU_DEP_1) | instskip(NEXT) | instid1(VALU_DEP_1)
	v_add_co_u32 v4, s1, 0x400, v4
	s_xor_b32 s1, s1, -1
	ds_store_2addr_stride64_b32 v2, v3, v1 offset1:32
	v_add_nc_u32_e32 v2, 0x1000, v2
	s_and_b32 s1, exec_lo, s1
	s_delay_alu instid0(SALU_CYCLE_1) | instskip(NEXT) | instid1(SALU_CYCLE_1)
	s_or_b32 s0, s1, s0
	s_and_not1_b32 exec_lo, exec_lo, s0
	s_cbranch_execnz .LBB168_7
; %bb.8:
	s_or_b32 exec_lo, exec_lo, s0
	s_waitcnt lgkmcnt(0)
	s_barrier
	buffer_gl0_inv
	s_load_b32 s0, s[20:21], 0x0
	s_mov_b32 s1, 0
	v_lshrrev_b32_e32 v12, 5, v0
	s_waitcnt lgkmcnt(0)
	s_add_i32 s0, s0, s15
	s_delay_alu instid0(SALU_CYCLE_1) | instskip(NEXT) | instid1(SALU_CYCLE_1)
	s_lshl_b64 s[0:1], s[0:1], 2
	s_add_u32 s0, s22, s0
	s_addc_u32 s1, s23, s1
	s_and_b32 vcc_lo, exec_lo, s13
	s_load_b32 s48, s[0:1], 0x0
	s_cbranch_vccz .LBB168_28
; %bb.9:
	s_waitcnt lgkmcnt(0)
	s_ashr_i32 s49, s48, 31
	s_delay_alu instid0(SALU_CYCLE_1) | instskip(NEXT) | instid1(SALU_CYCLE_1)
	s_lshl_b64 s[0:1], s[48:49], 3
	s_add_u32 s0, s4, s0
	s_addc_u32 s1, s5, s1
	v_sub_co_u32 v1, s4, v12, s44
	s_load_b128 s[0:3], s[0:1], 0x0
	v_sub_co_ci_u32_e64 v2, null, 0, 0, s4
	s_waitcnt lgkmcnt(0)
	s_delay_alu instid0(VALU_DEP_2) | instskip(NEXT) | instid1(VALU_DEP_2)
	v_add_co_u32 v1, vcc_lo, s0, v1
	v_add_co_ci_u32_e32 v2, vcc_lo, s1, v2, vcc_lo
	s_sub_u32 s0, s2, s44
	s_subb_u32 s1, s3, 0
	s_mov_b32 s2, exec_lo
	s_delay_alu instid0(VALU_DEP_1)
	v_cmpx_gt_i64_e64 s[0:1], v[1:2]
	s_cbranch_execz .LBB168_27
; %bb.10:
	v_and_b32_e32 v3, 31, v0
	s_mov_b32 s4, s45
	s_delay_alu instid0(VALU_DEP_1) | instskip(NEXT) | instid1(VALU_DEP_1)
	v_sub_co_u32 v14, s3, v3, s45
	v_sub_co_ci_u32_e64 v15, null, 0, 0, s3
	s_mov_b32 s3, 0
	s_branch .LBB168_12
.LBB168_11:                             ;   in Loop: Header=BB168_12 Depth=1
	s_or_b32 exec_lo, exec_lo, s5
	v_add_co_u32 v1, vcc_lo, v1, 32
	v_add_co_ci_u32_e32 v2, vcc_lo, 0, v2, vcc_lo
	s_delay_alu instid0(VALU_DEP_1) | instskip(SKIP_1) | instid1(SALU_CYCLE_1)
	v_cmp_le_i64_e32 vcc_lo, s[0:1], v[1:2]
	s_or_b32 s3, vcc_lo, s3
	s_and_not1_b32 exec_lo, exec_lo, s3
	s_cbranch_execz .LBB168_27
.LBB168_12:                             ; =>This Loop Header: Depth=1
                                        ;     Child Loop BB168_15 Depth 2
                                        ;       Child Loop BB168_17 Depth 3
	v_lshlrev_b64 v[7:8], 2, v[1:2]
	s_mov_b32 s5, exec_lo
	s_delay_alu instid0(VALU_DEP_1) | instskip(NEXT) | instid1(VALU_DEP_2)
	v_add_co_u32 v3, vcc_lo, s6, v7
	v_add_co_ci_u32_e32 v4, vcc_lo, s7, v8, vcc_lo
	global_load_b32 v3, v[3:4], off
	s_waitcnt vmcnt(0)
	v_subrev_nc_u32_e32 v3, s44, v3
	s_delay_alu instid0(VALU_DEP_1) | instskip(NEXT) | instid1(VALU_DEP_1)
	v_ashrrev_i32_e32 v4, 31, v3
	v_lshlrev_b64 v[3:4], 3, v[3:4]
	s_delay_alu instid0(VALU_DEP_1) | instskip(NEXT) | instid1(VALU_DEP_2)
	v_add_co_u32 v3, vcc_lo, s10, v3
	v_add_co_ci_u32_e32 v4, vcc_lo, s11, v4, vcc_lo
	global_load_b128 v[16:19], v[3:4], off
	s_waitcnt vmcnt(0)
	v_sub_co_u32 v3, vcc_lo, v18, s4
	v_subrev_co_ci_u32_e32 v4, vcc_lo, 0, v19, vcc_lo
	v_add_co_u32 v5, vcc_lo, v16, v14
	v_add_co_ci_u32_e32 v6, vcc_lo, v17, v15, vcc_lo
	s_delay_alu instid0(VALU_DEP_1)
	v_cmpx_lt_i64_e64 v[5:6], v[3:4]
	s_cbranch_execz .LBB168_11
; %bb.13:                               ;   in Loop: Header=BB168_12 Depth=1
	v_add_co_u32 v7, vcc_lo, s8, v7
	v_add_co_ci_u32_e32 v8, vcc_lo, s9, v8, vcc_lo
	s_mov_b32 s13, 0
	global_load_b32 v7, v[7:8], off
	s_waitcnt vmcnt(0)
	v_mul_f32_e32 v7, v13, v7
	s_branch .LBB168_15
.LBB168_14:                             ;   in Loop: Header=BB168_15 Depth=2
	s_or_b32 exec_lo, exec_lo, s14
	v_add_co_u32 v5, vcc_lo, v5, 32
	v_add_co_ci_u32_e32 v6, vcc_lo, 0, v6, vcc_lo
	s_delay_alu instid0(VALU_DEP_1) | instskip(SKIP_1) | instid1(SALU_CYCLE_1)
	v_cmp_ge_i64_e32 vcc_lo, v[5:6], v[3:4]
	s_or_b32 s13, vcc_lo, s13
	s_and_not1_b32 exec_lo, exec_lo, s13
	s_cbranch_execz .LBB168_11
.LBB168_15:                             ;   Parent Loop BB168_12 Depth=1
                                        ; =>  This Loop Header: Depth=2
                                        ;       Child Loop BB168_17 Depth 3
	v_lshlrev_b64 v[16:17], 2, v[5:6]
	s_mov_b32 s14, 0
	s_delay_alu instid0(VALU_DEP_1) | instskip(NEXT) | instid1(VALU_DEP_2)
	v_add_co_u32 v18, vcc_lo, s16, v16
	v_add_co_ci_u32_e32 v19, vcc_lo, s17, v17, vcc_lo
	v_add_co_u32 v16, vcc_lo, s18, v16
	v_add_co_ci_u32_e32 v17, vcc_lo, s19, v17, vcc_lo
	global_load_b32 v8, v[18:19], off
	global_load_b32 v16, v[16:17], off
	s_waitcnt vmcnt(1)
	v_subrev_nc_u32_e32 v8, s45, v8
	s_delay_alu instid0(VALU_DEP_1) | instskip(SKIP_1) | instid1(VALU_DEP_1)
	v_mul_lo_u32 v17, 0x89, v8
	s_waitcnt vmcnt(0)
	v_dual_mul_f32 v16, v7, v16 :: v_dual_and_b32 v17, 0x7ff, v17
	s_branch .LBB168_17
.LBB168_16:                             ;   in Loop: Header=BB168_17 Depth=3
	s_or_b32 exec_lo, exec_lo, s15
	s_xor_b32 s15, s20, -1
	s_delay_alu instid0(SALU_CYCLE_1) | instskip(NEXT) | instid1(SALU_CYCLE_1)
	s_and_b32 s15, exec_lo, s15
	s_or_b32 s14, s15, s14
	s_delay_alu instid0(SALU_CYCLE_1)
	s_and_not1_b32 exec_lo, exec_lo, s14
	s_cbranch_execz .LBB168_14
.LBB168_17:                             ;   Parent Loop BB168_12 Depth=1
                                        ;     Parent Loop BB168_15 Depth=2
                                        ; =>    This Inner Loop Header: Depth=3
	s_delay_alu instid0(VALU_DEP_1)
	v_lshl_add_u32 v18, v17, 2, 0
	s_mov_b32 s15, exec_lo
                                        ; implicit-def: $sgpr20
	ds_load_b32 v19, v18
	s_waitcnt lgkmcnt(0)
	v_cmpx_ne_u32_e64 v19, v8
	s_xor_b32 s15, exec_lo, s15
	s_cbranch_execz .LBB168_25
; %bb.18:                               ;   in Loop: Header=BB168_17 Depth=3
	s_mov_b32 s21, exec_lo
                                        ; implicit-def: $sgpr20
	v_cmpx_ne_u32_e64 s33, v19
	s_xor_b32 s21, exec_lo, s21
; %bb.19:                               ;   in Loop: Header=BB168_17 Depth=3
	v_add_nc_u32_e32 v17, 1, v17
	s_mov_b32 s20, -1
                                        ; implicit-def: $vgpr18
	s_delay_alu instid0(VALU_DEP_1)
	v_and_b32_e32 v17, 0x7ff, v17
; %bb.20:                               ;   in Loop: Header=BB168_17 Depth=3
	s_and_not1_saveexec_b32 s21, s21
	s_cbranch_execz .LBB168_24
; %bb.21:                               ;   in Loop: Header=BB168_17 Depth=3
	v_mov_b32_e32 v19, s33
	s_mov_b32 s22, -1
	s_mov_b32 s23, exec_lo
	ds_cmpstore_rtn_b32 v19, v18, v8, v19
	s_waitcnt lgkmcnt(0)
	v_cmpx_eq_u32_e64 s33, v19
	s_cbranch_execz .LBB168_23
; %bb.22:                               ;   in Loop: Header=BB168_17 Depth=3
	ds_add_f32 v18, v16 offset:8192
	s_xor_b32 s22, exec_lo, -1
.LBB168_23:                             ;   in Loop: Header=BB168_17 Depth=3
	s_or_b32 exec_lo, exec_lo, s23
	s_delay_alu instid0(SALU_CYCLE_1) | instskip(SKIP_1) | instid1(SALU_CYCLE_1)
	s_and_not1_b32 s20, s20, exec_lo
	s_and_b32 s22, s22, exec_lo
	s_or_b32 s20, s20, s22
.LBB168_24:                             ;   in Loop: Header=BB168_17 Depth=3
	s_or_b32 exec_lo, exec_lo, s21
	s_delay_alu instid0(SALU_CYCLE_1)
	s_and_b32 s20, s20, exec_lo
                                        ; implicit-def: $vgpr18
.LBB168_25:                             ;   in Loop: Header=BB168_17 Depth=3
	s_and_not1_saveexec_b32 s15, s15
	s_cbranch_execz .LBB168_16
; %bb.26:                               ;   in Loop: Header=BB168_17 Depth=3
	ds_add_f32 v18, v16 offset:8192
	s_and_not1_b32 s20, s20, exec_lo
	s_branch .LBB168_16
.LBB168_27:
	s_or_b32 exec_lo, exec_lo, s2
.LBB168_28:
	s_delay_alu instid0(SALU_CYCLE_1)
	s_and_not1_b32 vcc_lo, exec_lo, s12
	s_cbranch_vccnz .LBB168_31
; %bb.29:
	s_waitcnt lgkmcnt(0)
	s_ashr_i32 s49, s48, 31
	v_sub_co_u32 v1, s4, v0, s47
	s_lshl_b64 s[0:1], s[48:49], 3
	v_sub_co_ci_u32_e64 v2, null, 0, 0, s4
	s_add_u32 s0, s36, s0
	s_addc_u32 s1, s37, s1
	s_load_b128 s[0:3], s[0:1], 0x0
	s_waitcnt lgkmcnt(0)
	v_add_co_u32 v1, vcc_lo, s0, v1
	v_add_co_ci_u32_e32 v2, vcc_lo, s1, v2, vcc_lo
	s_sub_u32 s0, s2, s47
	s_subb_u32 s1, s3, 0
	s_mov_b32 s3, 0
	s_mov_b32 s2, exec_lo
	v_cmpx_gt_i64_e64 s[0:1], v[1:2]
	s_cbranch_execnz .LBB168_100
.LBB168_30:
	s_or_b32 exec_lo, exec_lo, s2
.LBB168_31:
	v_mbcnt_lo_u32_b32 v1, -1, 0
	v_lshl_add_u32 v4, v12, 2, 0
	v_cmp_eq_u32_e32 vcc_lo, 0x3ff, v0
	v_cmp_lt_u32_e64 s0, 31, v0
	v_cmp_lt_u32_e64 s1, 63, v0
	v_xor_b32_e32 v1, 63, v1
	v_cmp_lt_u32_e64 s2, 0x5f, v0
	v_cmp_lt_u32_e64 s3, 0x7f, v0
	;; [unrolled: 1-line block ×4, first 2 shown]
	v_lshrrev_b64 v[1:2], v1, -1
	v_cmp_lt_u32_e64 s6, 0xdf, v0
	v_cmp_lt_u32_e64 s7, 0xff, v0
	;; [unrolled: 1-line block ×25, first 2 shown]
	v_dual_mov_b32 v5, 0 :: v_dual_mov_b32 v6, 0
	s_mov_b32 s36, 0
	s_waitcnt lgkmcnt(0)
	s_barrier
	buffer_gl0_inv
	s_branch .LBB168_33
.LBB168_32:                             ;   in Loop: Header=BB168_33 Depth=1
	s_or_b32 exec_lo, exec_lo, s31
	s_waitcnt lgkmcnt(0)
	s_barrier
	buffer_gl0_inv
	ds_load_b32 v2, v5 offset:16508
	v_add_co_u32 v10, s31, 0x400, v10
	s_delay_alu instid0(VALU_DEP_1) | instskip(SKIP_2) | instid1(SALU_CYCLE_1)
	s_xor_b32 s31, s31, -1
	v_add_nc_u32_e32 v9, 0x1000, v9
	s_and_b32 s31, exec_lo, s31
	s_or_b32 s36, s31, s36
	s_waitcnt lgkmcnt(0)
	v_add_nc_u32_e32 v6, v2, v6
	s_and_not1_b32 exec_lo, exec_lo, s36
	s_cbranch_execz .LBB168_112
.LBB168_33:                             ; =>This Inner Loop Header: Depth=1
	ds_load_2addr_stride64_b32 v[2:3], v9 offset1:32
	s_waitcnt lgkmcnt(0)
	s_barrier
	buffer_gl0_inv
	v_cmp_gt_i32_e64 s31, s33, v2
	s_delay_alu instid0(VALU_DEP_1) | instskip(NEXT) | instid1(SALU_CYCLE_1)
	s_bcnt1_i32_b32 s37, s31
	v_dual_mov_b32 v8, s37 :: v_dual_and_b32 v7, s31, v1
	s_delay_alu instid0(VALU_DEP_1)
	v_bcnt_u32_b32 v7, v7, 0
	ds_store_b32 v4, v8 offset:16384
	s_waitcnt lgkmcnt(0)
	s_barrier
	buffer_gl0_inv
	s_and_saveexec_b32 s37, s0
	s_cbranch_execnz .LBB168_66
; %bb.34:                               ;   in Loop: Header=BB168_33 Depth=1
	s_or_b32 exec_lo, exec_lo, s37
	s_and_saveexec_b32 s37, s1
	s_cbranch_execnz .LBB168_67
.LBB168_35:                             ;   in Loop: Header=BB168_33 Depth=1
	s_or_b32 exec_lo, exec_lo, s37
	s_and_saveexec_b32 s37, s2
	s_cbranch_execnz .LBB168_68
.LBB168_36:                             ;   in Loop: Header=BB168_33 Depth=1
	s_or_b32 exec_lo, exec_lo, s37
	s_and_saveexec_b32 s37, s3
	s_cbranch_execnz .LBB168_69
.LBB168_37:                             ;   in Loop: Header=BB168_33 Depth=1
	s_or_b32 exec_lo, exec_lo, s37
	s_and_saveexec_b32 s37, s4
	s_cbranch_execnz .LBB168_70
.LBB168_38:                             ;   in Loop: Header=BB168_33 Depth=1
	s_or_b32 exec_lo, exec_lo, s37
	s_and_saveexec_b32 s37, s5
	s_cbranch_execnz .LBB168_71
.LBB168_39:                             ;   in Loop: Header=BB168_33 Depth=1
	s_or_b32 exec_lo, exec_lo, s37
	s_and_saveexec_b32 s37, s6
	s_cbranch_execnz .LBB168_72
.LBB168_40:                             ;   in Loop: Header=BB168_33 Depth=1
	s_or_b32 exec_lo, exec_lo, s37
	s_and_saveexec_b32 s37, s7
	s_cbranch_execnz .LBB168_73
.LBB168_41:                             ;   in Loop: Header=BB168_33 Depth=1
	s_or_b32 exec_lo, exec_lo, s37
	s_and_saveexec_b32 s37, s8
	s_cbranch_execnz .LBB168_74
.LBB168_42:                             ;   in Loop: Header=BB168_33 Depth=1
	s_or_b32 exec_lo, exec_lo, s37
	s_and_saveexec_b32 s37, s9
	s_cbranch_execnz .LBB168_75
.LBB168_43:                             ;   in Loop: Header=BB168_33 Depth=1
	s_or_b32 exec_lo, exec_lo, s37
	s_and_saveexec_b32 s37, s10
	s_cbranch_execnz .LBB168_76
.LBB168_44:                             ;   in Loop: Header=BB168_33 Depth=1
	s_or_b32 exec_lo, exec_lo, s37
	s_and_saveexec_b32 s37, s11
	s_cbranch_execnz .LBB168_77
.LBB168_45:                             ;   in Loop: Header=BB168_33 Depth=1
	s_or_b32 exec_lo, exec_lo, s37
	s_and_saveexec_b32 s37, s12
	s_cbranch_execnz .LBB168_78
.LBB168_46:                             ;   in Loop: Header=BB168_33 Depth=1
	s_or_b32 exec_lo, exec_lo, s37
	s_and_saveexec_b32 s37, s13
	s_cbranch_execnz .LBB168_79
.LBB168_47:                             ;   in Loop: Header=BB168_33 Depth=1
	s_or_b32 exec_lo, exec_lo, s37
	s_and_saveexec_b32 s37, s14
	s_cbranch_execnz .LBB168_80
.LBB168_48:                             ;   in Loop: Header=BB168_33 Depth=1
	s_or_b32 exec_lo, exec_lo, s37
	s_and_saveexec_b32 s37, s15
	s_cbranch_execnz .LBB168_81
.LBB168_49:                             ;   in Loop: Header=BB168_33 Depth=1
	s_or_b32 exec_lo, exec_lo, s37
	s_and_saveexec_b32 s37, s16
	s_cbranch_execnz .LBB168_82
.LBB168_50:                             ;   in Loop: Header=BB168_33 Depth=1
	s_or_b32 exec_lo, exec_lo, s37
	s_and_saveexec_b32 s37, s17
	s_cbranch_execnz .LBB168_83
.LBB168_51:                             ;   in Loop: Header=BB168_33 Depth=1
	s_or_b32 exec_lo, exec_lo, s37
	s_and_saveexec_b32 s37, s18
	s_cbranch_execnz .LBB168_84
.LBB168_52:                             ;   in Loop: Header=BB168_33 Depth=1
	s_or_b32 exec_lo, exec_lo, s37
	s_and_saveexec_b32 s37, s19
	s_cbranch_execnz .LBB168_85
.LBB168_53:                             ;   in Loop: Header=BB168_33 Depth=1
	s_or_b32 exec_lo, exec_lo, s37
	s_and_saveexec_b32 s37, s20
	s_cbranch_execnz .LBB168_86
.LBB168_54:                             ;   in Loop: Header=BB168_33 Depth=1
	s_or_b32 exec_lo, exec_lo, s37
	s_and_saveexec_b32 s37, s21
	s_cbranch_execnz .LBB168_87
.LBB168_55:                             ;   in Loop: Header=BB168_33 Depth=1
	s_or_b32 exec_lo, exec_lo, s37
	s_and_saveexec_b32 s37, s22
	s_cbranch_execnz .LBB168_88
.LBB168_56:                             ;   in Loop: Header=BB168_33 Depth=1
	s_or_b32 exec_lo, exec_lo, s37
	s_and_saveexec_b32 s37, s23
	s_cbranch_execnz .LBB168_89
.LBB168_57:                             ;   in Loop: Header=BB168_33 Depth=1
	s_or_b32 exec_lo, exec_lo, s37
	s_and_saveexec_b32 s37, s24
	s_cbranch_execnz .LBB168_90
.LBB168_58:                             ;   in Loop: Header=BB168_33 Depth=1
	s_or_b32 exec_lo, exec_lo, s37
	s_and_saveexec_b32 s37, s25
	s_cbranch_execnz .LBB168_91
.LBB168_59:                             ;   in Loop: Header=BB168_33 Depth=1
	s_or_b32 exec_lo, exec_lo, s37
	s_and_saveexec_b32 s37, s26
	s_cbranch_execnz .LBB168_92
.LBB168_60:                             ;   in Loop: Header=BB168_33 Depth=1
	s_or_b32 exec_lo, exec_lo, s37
	s_and_saveexec_b32 s37, s27
	s_cbranch_execnz .LBB168_93
.LBB168_61:                             ;   in Loop: Header=BB168_33 Depth=1
	s_or_b32 exec_lo, exec_lo, s37
	s_and_saveexec_b32 s37, s28
	s_cbranch_execnz .LBB168_94
.LBB168_62:                             ;   in Loop: Header=BB168_33 Depth=1
	s_or_b32 exec_lo, exec_lo, s37
	s_and_saveexec_b32 s37, s29
	s_cbranch_execnz .LBB168_95
.LBB168_63:                             ;   in Loop: Header=BB168_33 Depth=1
	s_or_b32 exec_lo, exec_lo, s37
	s_and_saveexec_b32 s37, s30
	s_cbranch_execnz .LBB168_96
.LBB168_64:                             ;   in Loop: Header=BB168_33 Depth=1
	s_or_b32 exec_lo, exec_lo, s37
	s_and_saveexec_b32 s37, s31
	s_cbranch_execnz .LBB168_97
.LBB168_65:                             ;   in Loop: Header=BB168_33 Depth=1
	s_or_b32 exec_lo, exec_lo, s37
	s_and_saveexec_b32 s31, vcc_lo
	s_cbranch_execz .LBB168_32
	s_branch .LBB168_98
.LBB168_66:                             ;   in Loop: Header=BB168_33 Depth=1
	ds_load_b32 v8, v5 offset:16384
	s_waitcnt lgkmcnt(0)
	v_add_nc_u32_e32 v7, v8, v7
	s_or_b32 exec_lo, exec_lo, s37
	s_and_saveexec_b32 s37, s1
	s_cbranch_execz .LBB168_35
.LBB168_67:                             ;   in Loop: Header=BB168_33 Depth=1
	ds_load_b32 v8, v5 offset:16388
	s_waitcnt lgkmcnt(0)
	v_add_nc_u32_e32 v7, v8, v7
	s_or_b32 exec_lo, exec_lo, s37
	s_and_saveexec_b32 s37, s2
	s_cbranch_execz .LBB168_36
.LBB168_68:                             ;   in Loop: Header=BB168_33 Depth=1
	ds_load_b32 v8, v5 offset:16392
	s_waitcnt lgkmcnt(0)
	v_add_nc_u32_e32 v7, v8, v7
	s_or_b32 exec_lo, exec_lo, s37
	s_and_saveexec_b32 s37, s3
	s_cbranch_execz .LBB168_37
.LBB168_69:                             ;   in Loop: Header=BB168_33 Depth=1
	ds_load_b32 v8, v5 offset:16396
	s_waitcnt lgkmcnt(0)
	v_add_nc_u32_e32 v7, v8, v7
	s_or_b32 exec_lo, exec_lo, s37
	s_and_saveexec_b32 s37, s4
	s_cbranch_execz .LBB168_38
.LBB168_70:                             ;   in Loop: Header=BB168_33 Depth=1
	ds_load_b32 v8, v5 offset:16400
	s_waitcnt lgkmcnt(0)
	v_add_nc_u32_e32 v7, v8, v7
	s_or_b32 exec_lo, exec_lo, s37
	s_and_saveexec_b32 s37, s5
	s_cbranch_execz .LBB168_39
.LBB168_71:                             ;   in Loop: Header=BB168_33 Depth=1
	ds_load_b32 v8, v5 offset:16404
	s_waitcnt lgkmcnt(0)
	v_add_nc_u32_e32 v7, v8, v7
	s_or_b32 exec_lo, exec_lo, s37
	s_and_saveexec_b32 s37, s6
	s_cbranch_execz .LBB168_40
.LBB168_72:                             ;   in Loop: Header=BB168_33 Depth=1
	ds_load_b32 v8, v5 offset:16408
	s_waitcnt lgkmcnt(0)
	v_add_nc_u32_e32 v7, v8, v7
	s_or_b32 exec_lo, exec_lo, s37
	s_and_saveexec_b32 s37, s7
	s_cbranch_execz .LBB168_41
.LBB168_73:                             ;   in Loop: Header=BB168_33 Depth=1
	ds_load_b32 v8, v5 offset:16412
	s_waitcnt lgkmcnt(0)
	v_add_nc_u32_e32 v7, v8, v7
	s_or_b32 exec_lo, exec_lo, s37
	s_and_saveexec_b32 s37, s8
	s_cbranch_execz .LBB168_42
.LBB168_74:                             ;   in Loop: Header=BB168_33 Depth=1
	ds_load_b32 v8, v5 offset:16416
	s_waitcnt lgkmcnt(0)
	v_add_nc_u32_e32 v7, v8, v7
	s_or_b32 exec_lo, exec_lo, s37
	s_and_saveexec_b32 s37, s9
	s_cbranch_execz .LBB168_43
.LBB168_75:                             ;   in Loop: Header=BB168_33 Depth=1
	ds_load_b32 v8, v5 offset:16420
	s_waitcnt lgkmcnt(0)
	v_add_nc_u32_e32 v7, v8, v7
	s_or_b32 exec_lo, exec_lo, s37
	s_and_saveexec_b32 s37, s10
	s_cbranch_execz .LBB168_44
.LBB168_76:                             ;   in Loop: Header=BB168_33 Depth=1
	ds_load_b32 v8, v5 offset:16424
	s_waitcnt lgkmcnt(0)
	v_add_nc_u32_e32 v7, v8, v7
	s_or_b32 exec_lo, exec_lo, s37
	s_and_saveexec_b32 s37, s11
	s_cbranch_execz .LBB168_45
.LBB168_77:                             ;   in Loop: Header=BB168_33 Depth=1
	ds_load_b32 v8, v5 offset:16428
	s_waitcnt lgkmcnt(0)
	v_add_nc_u32_e32 v7, v8, v7
	s_or_b32 exec_lo, exec_lo, s37
	s_and_saveexec_b32 s37, s12
	s_cbranch_execz .LBB168_46
.LBB168_78:                             ;   in Loop: Header=BB168_33 Depth=1
	ds_load_b32 v8, v5 offset:16432
	s_waitcnt lgkmcnt(0)
	v_add_nc_u32_e32 v7, v8, v7
	s_or_b32 exec_lo, exec_lo, s37
	s_and_saveexec_b32 s37, s13
	s_cbranch_execz .LBB168_47
.LBB168_79:                             ;   in Loop: Header=BB168_33 Depth=1
	ds_load_b32 v8, v5 offset:16436
	s_waitcnt lgkmcnt(0)
	v_add_nc_u32_e32 v7, v8, v7
	s_or_b32 exec_lo, exec_lo, s37
	s_and_saveexec_b32 s37, s14
	s_cbranch_execz .LBB168_48
.LBB168_80:                             ;   in Loop: Header=BB168_33 Depth=1
	ds_load_b32 v8, v5 offset:16440
	s_waitcnt lgkmcnt(0)
	v_add_nc_u32_e32 v7, v8, v7
	s_or_b32 exec_lo, exec_lo, s37
	s_and_saveexec_b32 s37, s15
	s_cbranch_execz .LBB168_49
.LBB168_81:                             ;   in Loop: Header=BB168_33 Depth=1
	ds_load_b32 v8, v5 offset:16444
	s_waitcnt lgkmcnt(0)
	v_add_nc_u32_e32 v7, v8, v7
	s_or_b32 exec_lo, exec_lo, s37
	s_and_saveexec_b32 s37, s16
	s_cbranch_execz .LBB168_50
.LBB168_82:                             ;   in Loop: Header=BB168_33 Depth=1
	ds_load_b32 v8, v5 offset:16448
	s_waitcnt lgkmcnt(0)
	v_add_nc_u32_e32 v7, v8, v7
	s_or_b32 exec_lo, exec_lo, s37
	s_and_saveexec_b32 s37, s17
	s_cbranch_execz .LBB168_51
.LBB168_83:                             ;   in Loop: Header=BB168_33 Depth=1
	ds_load_b32 v8, v5 offset:16452
	s_waitcnt lgkmcnt(0)
	v_add_nc_u32_e32 v7, v8, v7
	s_or_b32 exec_lo, exec_lo, s37
	s_and_saveexec_b32 s37, s18
	s_cbranch_execz .LBB168_52
.LBB168_84:                             ;   in Loop: Header=BB168_33 Depth=1
	ds_load_b32 v8, v5 offset:16456
	s_waitcnt lgkmcnt(0)
	v_add_nc_u32_e32 v7, v8, v7
	s_or_b32 exec_lo, exec_lo, s37
	s_and_saveexec_b32 s37, s19
	s_cbranch_execz .LBB168_53
.LBB168_85:                             ;   in Loop: Header=BB168_33 Depth=1
	ds_load_b32 v8, v5 offset:16460
	s_waitcnt lgkmcnt(0)
	v_add_nc_u32_e32 v7, v8, v7
	s_or_b32 exec_lo, exec_lo, s37
	s_and_saveexec_b32 s37, s20
	s_cbranch_execz .LBB168_54
.LBB168_86:                             ;   in Loop: Header=BB168_33 Depth=1
	ds_load_b32 v8, v5 offset:16464
	s_waitcnt lgkmcnt(0)
	v_add_nc_u32_e32 v7, v8, v7
	s_or_b32 exec_lo, exec_lo, s37
	s_and_saveexec_b32 s37, s21
	s_cbranch_execz .LBB168_55
.LBB168_87:                             ;   in Loop: Header=BB168_33 Depth=1
	ds_load_b32 v8, v5 offset:16468
	s_waitcnt lgkmcnt(0)
	v_add_nc_u32_e32 v7, v8, v7
	s_or_b32 exec_lo, exec_lo, s37
	s_and_saveexec_b32 s37, s22
	s_cbranch_execz .LBB168_56
.LBB168_88:                             ;   in Loop: Header=BB168_33 Depth=1
	ds_load_b32 v8, v5 offset:16472
	s_waitcnt lgkmcnt(0)
	v_add_nc_u32_e32 v7, v8, v7
	s_or_b32 exec_lo, exec_lo, s37
	s_and_saveexec_b32 s37, s23
	s_cbranch_execz .LBB168_57
.LBB168_89:                             ;   in Loop: Header=BB168_33 Depth=1
	ds_load_b32 v8, v5 offset:16476
	s_waitcnt lgkmcnt(0)
	v_add_nc_u32_e32 v7, v8, v7
	s_or_b32 exec_lo, exec_lo, s37
	s_and_saveexec_b32 s37, s24
	s_cbranch_execz .LBB168_58
.LBB168_90:                             ;   in Loop: Header=BB168_33 Depth=1
	ds_load_b32 v8, v5 offset:16480
	s_waitcnt lgkmcnt(0)
	v_add_nc_u32_e32 v7, v8, v7
	s_or_b32 exec_lo, exec_lo, s37
	s_and_saveexec_b32 s37, s25
	s_cbranch_execz .LBB168_59
.LBB168_91:                             ;   in Loop: Header=BB168_33 Depth=1
	ds_load_b32 v8, v5 offset:16484
	s_waitcnt lgkmcnt(0)
	v_add_nc_u32_e32 v7, v8, v7
	s_or_b32 exec_lo, exec_lo, s37
	s_and_saveexec_b32 s37, s26
	s_cbranch_execz .LBB168_60
.LBB168_92:                             ;   in Loop: Header=BB168_33 Depth=1
	ds_load_b32 v8, v5 offset:16488
	s_waitcnt lgkmcnt(0)
	v_add_nc_u32_e32 v7, v8, v7
	s_or_b32 exec_lo, exec_lo, s37
	s_and_saveexec_b32 s37, s27
	s_cbranch_execz .LBB168_61
.LBB168_93:                             ;   in Loop: Header=BB168_33 Depth=1
	ds_load_b32 v8, v5 offset:16492
	s_waitcnt lgkmcnt(0)
	v_add_nc_u32_e32 v7, v8, v7
	s_or_b32 exec_lo, exec_lo, s37
	s_and_saveexec_b32 s37, s28
	s_cbranch_execz .LBB168_62
.LBB168_94:                             ;   in Loop: Header=BB168_33 Depth=1
	ds_load_b32 v8, v5 offset:16496
	s_waitcnt lgkmcnt(0)
	v_add_nc_u32_e32 v7, v8, v7
	s_or_b32 exec_lo, exec_lo, s37
	s_and_saveexec_b32 s37, s29
	s_cbranch_execz .LBB168_63
.LBB168_95:                             ;   in Loop: Header=BB168_33 Depth=1
	ds_load_b32 v8, v5 offset:16500
	s_waitcnt lgkmcnt(0)
	v_add_nc_u32_e32 v7, v8, v7
	s_or_b32 exec_lo, exec_lo, s37
	s_and_saveexec_b32 s37, s30
	s_cbranch_execz .LBB168_64
.LBB168_96:                             ;   in Loop: Header=BB168_33 Depth=1
	ds_load_b32 v8, v5 offset:16504
	s_waitcnt lgkmcnt(0)
	v_add_nc_u32_e32 v7, v8, v7
	s_or_b32 exec_lo, exec_lo, s37
	s_and_saveexec_b32 s37, s31
	s_cbranch_execz .LBB168_65
.LBB168_97:                             ;   in Loop: Header=BB168_33 Depth=1
	s_delay_alu instid0(VALU_DEP_1) | instskip(NEXT) | instid1(VALU_DEP_1)
	v_add3_u32 v8, v6, -1, v7
	v_lshl_add_u32 v8, v8, 2, 0
	ds_store_2addr_stride64_b32 v8, v2, v3 offset1:32
	s_or_b32 exec_lo, exec_lo, s37
	s_and_saveexec_b32 s31, vcc_lo
	s_cbranch_execz .LBB168_32
.LBB168_98:                             ;   in Loop: Header=BB168_33 Depth=1
	ds_store_b32 v5, v7 offset:16508
	s_branch .LBB168_32
.LBB168_99:                             ;   in Loop: Header=BB168_100 Depth=1
	s_or_b32 exec_lo, exec_lo, s4
	v_add_co_u32 v1, vcc_lo, 0x400, v1
	v_add_co_ci_u32_e32 v2, vcc_lo, 0, v2, vcc_lo
	s_delay_alu instid0(VALU_DEP_1) | instskip(SKIP_1) | instid1(SALU_CYCLE_1)
	v_cmp_le_i64_e32 vcc_lo, s[0:1], v[1:2]
	s_or_b32 s3, vcc_lo, s3
	s_and_not1_b32 exec_lo, exec_lo, s3
	s_cbranch_execz .LBB168_30
.LBB168_100:                            ; =>This Loop Header: Depth=1
                                        ;     Child Loop BB168_102 Depth 2
	v_lshlrev_b64 v[3:4], 2, v[1:2]
	s_mov_b32 s4, 0
	s_delay_alu instid0(VALU_DEP_1) | instskip(NEXT) | instid1(VALU_DEP_2)
	v_add_co_u32 v5, vcc_lo, s38, v3
	v_add_co_ci_u32_e32 v6, vcc_lo, s39, v4, vcc_lo
	v_add_co_u32 v3, vcc_lo, s40, v3
	v_add_co_ci_u32_e32 v4, vcc_lo, s41, v4, vcc_lo
	global_load_b32 v5, v[5:6], off
	global_load_b32 v4, v[3:4], off
	s_waitcnt vmcnt(1)
	v_subrev_nc_u32_e32 v3, s47, v5
	s_delay_alu instid0(VALU_DEP_1) | instskip(SKIP_1) | instid1(VALU_DEP_1)
	v_mul_lo_u32 v5, 0x89, v3
	s_waitcnt vmcnt(0)
	v_dual_mul_f32 v4, v11, v4 :: v_dual_and_b32 v5, 0x7ff, v5
	s_branch .LBB168_102
.LBB168_101:                            ;   in Loop: Header=BB168_102 Depth=2
	s_or_b32 exec_lo, exec_lo, s5
	s_xor_b32 s5, s6, -1
	s_delay_alu instid0(SALU_CYCLE_1) | instskip(NEXT) | instid1(SALU_CYCLE_1)
	s_and_b32 s5, exec_lo, s5
	s_or_b32 s4, s5, s4
	s_delay_alu instid0(SALU_CYCLE_1)
	s_and_not1_b32 exec_lo, exec_lo, s4
	s_cbranch_execz .LBB168_99
.LBB168_102:                            ;   Parent Loop BB168_100 Depth=1
                                        ; =>  This Inner Loop Header: Depth=2
	s_delay_alu instid0(VALU_DEP_1)
	v_lshl_add_u32 v6, v5, 2, 0
	s_mov_b32 s5, exec_lo
                                        ; implicit-def: $sgpr6
	ds_load_b32 v7, v6
	s_waitcnt lgkmcnt(0)
	v_cmpx_ne_u32_e64 v7, v3
	s_xor_b32 s5, exec_lo, s5
	s_cbranch_execz .LBB168_110
; %bb.103:                              ;   in Loop: Header=BB168_102 Depth=2
	s_mov_b32 s7, exec_lo
                                        ; implicit-def: $sgpr6
	v_cmpx_ne_u32_e64 s33, v7
	s_xor_b32 s7, exec_lo, s7
; %bb.104:                              ;   in Loop: Header=BB168_102 Depth=2
	v_add_nc_u32_e32 v5, 1, v5
	s_mov_b32 s6, -1
                                        ; implicit-def: $vgpr6
	s_delay_alu instid0(VALU_DEP_1)
	v_and_b32_e32 v5, 0x7ff, v5
; %bb.105:                              ;   in Loop: Header=BB168_102 Depth=2
	s_and_not1_saveexec_b32 s7, s7
	s_cbranch_execz .LBB168_109
; %bb.106:                              ;   in Loop: Header=BB168_102 Depth=2
	v_mov_b32_e32 v7, s33
	s_mov_b32 s8, -1
	s_mov_b32 s9, exec_lo
	ds_cmpstore_rtn_b32 v7, v6, v3, v7
	s_waitcnt lgkmcnt(0)
	v_cmpx_eq_u32_e64 s33, v7
	s_cbranch_execz .LBB168_108
; %bb.107:                              ;   in Loop: Header=BB168_102 Depth=2
	ds_add_f32 v6, v4 offset:8192
	s_xor_b32 s8, exec_lo, -1
.LBB168_108:                            ;   in Loop: Header=BB168_102 Depth=2
	s_or_b32 exec_lo, exec_lo, s9
	s_delay_alu instid0(SALU_CYCLE_1) | instskip(SKIP_1) | instid1(SALU_CYCLE_1)
	s_and_not1_b32 s6, s6, exec_lo
	s_and_b32 s8, s8, exec_lo
	s_or_b32 s6, s6, s8
.LBB168_109:                            ;   in Loop: Header=BB168_102 Depth=2
	s_or_b32 exec_lo, exec_lo, s7
	s_delay_alu instid0(SALU_CYCLE_1)
	s_and_b32 s6, s6, exec_lo
                                        ; implicit-def: $vgpr6
.LBB168_110:                            ;   in Loop: Header=BB168_102 Depth=2
	s_and_not1_saveexec_b32 s5, s5
	s_cbranch_execz .LBB168_101
; %bb.111:                              ;   in Loop: Header=BB168_102 Depth=2
	ds_add_f32 v6, v4 offset:8192
	s_and_not1_b32 s6, s6, exec_lo
	s_branch .LBB168_101
.LBB168_112:
	s_or_b32 exec_lo, exec_lo, s36
	s_ashr_i32 s49, s48, 31
	s_mov_b32 s4, exec_lo
	s_lshl_b64 s[0:1], s[48:49], 3
	s_delay_alu instid0(SALU_CYCLE_1) | instskip(SKIP_4) | instid1(SALU_CYCLE_1)
	s_add_u32 s0, s42, s0
	s_addc_u32 s1, s43, s1
	s_load_b128 s[0:3], s[0:1], 0x0
	s_waitcnt lgkmcnt(0)
	s_sub_i32 s3, s2, s0
	v_cmpx_gt_i32_e64 s3, v0
	s_cbranch_execz .LBB168_122
; %bb.113:
	s_sub_u32 s4, s0, s46
	s_subb_u32 s5, s1, 0
	s_sub_i32 s0, s0, s2
	s_and_b32 s1, s3, 7
	s_cmp_lt_u32 s0, -7
	s_mov_b32 s8, 0
	s_cselect_b32 s2, -1, 0
	s_and_b32 s6, s3, -8
	s_cmp_lg_u32 s1, 0
	s_cselect_b32 s7, -1, 0
	s_branch .LBB168_115
.LBB168_114:                            ;   in Loop: Header=BB168_115 Depth=1
	s_delay_alu instid0(VALU_DEP_1) | instskip(SKIP_1) | instid1(VALU_DEP_1)
	v_lshlrev_b64 v[3:4], 2, v[3:4]
	v_add_nc_u32_e32 v0, 0x400, v0
	v_cmp_le_i32_e32 vcc_lo, s3, v0
	s_delay_alu instid0(VALU_DEP_3) | instskip(NEXT) | instid1(VALU_DEP_1)
	v_add_co_u32 v3, s0, s34, v3
	v_add_co_ci_u32_e64 v4, s0, s35, v4, s0
	s_or_b32 s8, vcc_lo, s8
	s_waitcnt lgkmcnt(0)
	global_store_b32 v[3:4], v2, off
	s_and_not1_b32 exec_lo, exec_lo, s8
	s_cbranch_execz .LBB168_122
.LBB168_115:                            ; =>This Loop Header: Depth=1
                                        ;     Child Loop BB168_117 Depth 2
                                        ;     Child Loop BB168_121 Depth 2
	v_lshl_add_u32 v1, v0, 2, 0
	v_dual_mov_b32 v3, s4 :: v_dual_mov_b32 v4, s5
	s_and_not1_b32 vcc_lo, exec_lo, s2
	s_mov_b32 s0, 0
	ds_load_2addr_stride64_b32 v[1:2], v1 offset1:32
	s_cbranch_vccnz .LBB168_119
; %bb.116:                              ;   in Loop: Header=BB168_115 Depth=1
	v_dual_mov_b32 v3, s4 :: v_dual_mov_b32 v4, s5
	s_mov_b32 s9, 0
	s_mov_b32 s10, 0
.LBB168_117:                            ;   Parent Loop BB168_115 Depth=1
                                        ; =>  This Inner Loop Header: Depth=2
	s_delay_alu instid0(SALU_CYCLE_1)
	v_mov_b32_e32 v11, s10
	s_add_i32 s9, s9, 8
	s_add_i32 s10, s10, 32
	s_cmp_eq_u32 s6, s9
	ds_load_2addr_b32 v[5:6], v11 offset1:1
	ds_load_2addr_b32 v[7:8], v11 offset0:2 offset1:3
	ds_load_2addr_b32 v[9:10], v11 offset0:4 offset1:5
	;; [unrolled: 1-line block ×3, first 2 shown]
	s_waitcnt lgkmcnt(3)
	v_cmp_gt_i32_e32 vcc_lo, v1, v5
	v_cndmask_b32_e64 v5, 0, 1, vcc_lo
	v_cmp_gt_i32_e32 vcc_lo, v1, v6
	v_cndmask_b32_e64 v6, 0, 1, vcc_lo
	s_waitcnt lgkmcnt(2)
	v_cmp_gt_i32_e32 vcc_lo, v1, v7
	v_cndmask_b32_e64 v7, 0, 1, vcc_lo
	v_cmp_gt_i32_e32 vcc_lo, v1, v8
	v_cndmask_b32_e64 v8, 0, 1, vcc_lo
	s_waitcnt lgkmcnt(1)
	v_cmp_gt_i32_e32 vcc_lo, v1, v9
	v_cndmask_b32_e64 v9, 0, 1, vcc_lo
	v_add_co_u32 v3, vcc_lo, v3, v5
	v_add_co_ci_u32_e32 v4, vcc_lo, 0, v4, vcc_lo
	v_cmp_gt_i32_e32 vcc_lo, v1, v10
	s_delay_alu instid0(VALU_DEP_3) | instskip(NEXT) | instid1(VALU_DEP_1)
	v_add_co_u32 v3, s0, v3, v6
	v_add_co_ci_u32_e64 v4, s0, 0, v4, s0
	v_cndmask_b32_e64 v5, 0, 1, vcc_lo
	s_delay_alu instid0(VALU_DEP_3) | instskip(NEXT) | instid1(VALU_DEP_3)
	v_add_co_u32 v3, vcc_lo, v3, v7
	v_add_co_ci_u32_e32 v4, vcc_lo, 0, v4, vcc_lo
	s_waitcnt lgkmcnt(0)
	v_cmp_gt_i32_e32 vcc_lo, v1, v11
	s_delay_alu instid0(VALU_DEP_3) | instskip(NEXT) | instid1(VALU_DEP_1)
	v_add_co_u32 v3, s0, v3, v8
	v_add_co_ci_u32_e64 v4, s0, 0, v4, s0
	v_cndmask_b32_e64 v6, 0, 1, vcc_lo
	s_delay_alu instid0(VALU_DEP_3) | instskip(NEXT) | instid1(VALU_DEP_3)
	v_add_co_u32 v3, vcc_lo, v3, v9
	v_add_co_ci_u32_e32 v4, vcc_lo, 0, v4, vcc_lo
	v_cmp_gt_i32_e32 vcc_lo, v1, v12
	s_delay_alu instid0(VALU_DEP_3) | instskip(NEXT) | instid1(VALU_DEP_1)
	v_add_co_u32 v3, s0, v3, v5
	v_add_co_ci_u32_e64 v4, s0, 0, v4, s0
	v_cndmask_b32_e64 v5, 0, 1, vcc_lo
	s_delay_alu instid0(VALU_DEP_3) | instskip(NEXT) | instid1(VALU_DEP_3)
	v_add_co_u32 v3, vcc_lo, v3, v6
	v_add_co_ci_u32_e32 v4, vcc_lo, 0, v4, vcc_lo
	s_delay_alu instid0(VALU_DEP_2) | instskip(NEXT) | instid1(VALU_DEP_2)
	v_add_co_u32 v3, vcc_lo, v3, v5
	v_add_co_ci_u32_e32 v4, vcc_lo, 0, v4, vcc_lo
	s_cbranch_scc0 .LBB168_117
; %bb.118:                              ;   in Loop: Header=BB168_115 Depth=1
	s_mov_b32 s0, s6
.LBB168_119:                            ;   in Loop: Header=BB168_115 Depth=1
	s_and_not1_b32 vcc_lo, exec_lo, s7
	s_cbranch_vccnz .LBB168_114
; %bb.120:                              ;   in Loop: Header=BB168_115 Depth=1
	s_lshl_b32 s0, s0, 2
	s_mov_b32 s9, s1
	s_add_i32 s0, s0, 0
.LBB168_121:                            ;   Parent Loop BB168_115 Depth=1
                                        ; =>  This Inner Loop Header: Depth=2
	s_delay_alu instid0(SALU_CYCLE_1)
	v_mov_b32_e32 v5, s0
	s_add_i32 s9, s9, -1
	s_add_i32 s0, s0, 4
	s_cmp_lg_u32 s9, 0
	ds_load_b32 v5, v5
	s_waitcnt lgkmcnt(0)
	v_cmp_gt_i32_e32 vcc_lo, v1, v5
	v_cndmask_b32_e64 v5, 0, 1, vcc_lo
	s_delay_alu instid0(VALU_DEP_1)
	v_add_co_u32 v3, vcc_lo, v3, v5
	v_add_co_ci_u32_e32 v4, vcc_lo, 0, v4, vcc_lo
	s_cbranch_scc1 .LBB168_121
	s_branch .LBB168_114
.LBB168_122:
	s_nop 0
	s_sendmsg sendmsg(MSG_DEALLOC_VGPRS)
	s_endpgm
	.section	.rodata,"a",@progbits
	.p2align	6, 0x0
	.amdhsa_kernel _ZN9rocsparseL41csrgemm_numeric_fill_block_per_row_kernelILj1024ELj32ELj2048ELj137ELj32ElifEEvT5_PKS1_S3_NS_24const_host_device_scalarIT6_EEPKT4_S3_PKS5_S9_S3_SB_S6_S9_S3_SB_S9_S3_PS5_21rocsparse_index_base_SD_SD_SD_bbb
		.amdhsa_group_segment_fixed_size 0
		.amdhsa_private_segment_fixed_size 0
		.amdhsa_kernarg_size 156
		.amdhsa_user_sgpr_count 15
		.amdhsa_user_sgpr_dispatch_ptr 0
		.amdhsa_user_sgpr_queue_ptr 0
		.amdhsa_user_sgpr_kernarg_segment_ptr 1
		.amdhsa_user_sgpr_dispatch_id 0
		.amdhsa_user_sgpr_private_segment_size 0
		.amdhsa_wavefront_size32 1
		.amdhsa_uses_dynamic_stack 0
		.amdhsa_enable_private_segment 0
		.amdhsa_system_sgpr_workgroup_id_x 1
		.amdhsa_system_sgpr_workgroup_id_y 0
		.amdhsa_system_sgpr_workgroup_id_z 0
		.amdhsa_system_sgpr_workgroup_info 0
		.amdhsa_system_vgpr_workitem_id 0
		.amdhsa_next_free_vgpr 20
		.amdhsa_next_free_sgpr 50
		.amdhsa_reserve_vcc 1
		.amdhsa_float_round_mode_32 0
		.amdhsa_float_round_mode_16_64 0
		.amdhsa_float_denorm_mode_32 3
		.amdhsa_float_denorm_mode_16_64 3
		.amdhsa_dx10_clamp 1
		.amdhsa_ieee_mode 1
		.amdhsa_fp16_overflow 0
		.amdhsa_workgroup_processor_mode 1
		.amdhsa_memory_ordered 1
		.amdhsa_forward_progress 0
		.amdhsa_shared_vgpr_count 0
		.amdhsa_exception_fp_ieee_invalid_op 0
		.amdhsa_exception_fp_denorm_src 0
		.amdhsa_exception_fp_ieee_div_zero 0
		.amdhsa_exception_fp_ieee_overflow 0
		.amdhsa_exception_fp_ieee_underflow 0
		.amdhsa_exception_fp_ieee_inexact 0
		.amdhsa_exception_int_div_zero 0
	.end_amdhsa_kernel
	.section	.text._ZN9rocsparseL41csrgemm_numeric_fill_block_per_row_kernelILj1024ELj32ELj2048ELj137ELj32ElifEEvT5_PKS1_S3_NS_24const_host_device_scalarIT6_EEPKT4_S3_PKS5_S9_S3_SB_S6_S9_S3_SB_S9_S3_PS5_21rocsparse_index_base_SD_SD_SD_bbb,"axG",@progbits,_ZN9rocsparseL41csrgemm_numeric_fill_block_per_row_kernelILj1024ELj32ELj2048ELj137ELj32ElifEEvT5_PKS1_S3_NS_24const_host_device_scalarIT6_EEPKT4_S3_PKS5_S9_S3_SB_S6_S9_S3_SB_S9_S3_PS5_21rocsparse_index_base_SD_SD_SD_bbb,comdat
.Lfunc_end168:
	.size	_ZN9rocsparseL41csrgemm_numeric_fill_block_per_row_kernelILj1024ELj32ELj2048ELj137ELj32ElifEEvT5_PKS1_S3_NS_24const_host_device_scalarIT6_EEPKT4_S3_PKS5_S9_S3_SB_S6_S9_S3_SB_S9_S3_PS5_21rocsparse_index_base_SD_SD_SD_bbb, .Lfunc_end168-_ZN9rocsparseL41csrgemm_numeric_fill_block_per_row_kernelILj1024ELj32ELj2048ELj137ELj32ElifEEvT5_PKS1_S3_NS_24const_host_device_scalarIT6_EEPKT4_S3_PKS5_S9_S3_SB_S6_S9_S3_SB_S9_S3_PS5_21rocsparse_index_base_SD_SD_SD_bbb
                                        ; -- End function
	.section	.AMDGPU.csdata,"",@progbits
; Kernel info:
; codeLenInByte = 4096
; NumSgprs: 52
; NumVgprs: 20
; ScratchSize: 0
; MemoryBound: 0
; FloatMode: 240
; IeeeMode: 1
; LDSByteSize: 0 bytes/workgroup (compile time only)
; SGPRBlocks: 6
; VGPRBlocks: 2
; NumSGPRsForWavesPerEU: 52
; NumVGPRsForWavesPerEU: 20
; Occupancy: 16
; WaveLimiterHint : 1
; COMPUTE_PGM_RSRC2:SCRATCH_EN: 0
; COMPUTE_PGM_RSRC2:USER_SGPR: 15
; COMPUTE_PGM_RSRC2:TRAP_HANDLER: 0
; COMPUTE_PGM_RSRC2:TGID_X_EN: 1
; COMPUTE_PGM_RSRC2:TGID_Y_EN: 0
; COMPUTE_PGM_RSRC2:TGID_Z_EN: 0
; COMPUTE_PGM_RSRC2:TIDIG_COMP_CNT: 0
	.section	.text._ZN9rocsparseL41csrgemm_numeric_fill_block_per_row_kernelILj1024ELj32ELj2048ELj137ELj64ElifEEvT5_PKS1_S3_NS_24const_host_device_scalarIT6_EEPKT4_S3_PKS5_S9_S3_SB_S6_S9_S3_SB_S9_S3_PS5_21rocsparse_index_base_SD_SD_SD_bbb,"axG",@progbits,_ZN9rocsparseL41csrgemm_numeric_fill_block_per_row_kernelILj1024ELj32ELj2048ELj137ELj64ElifEEvT5_PKS1_S3_NS_24const_host_device_scalarIT6_EEPKT4_S3_PKS5_S9_S3_SB_S6_S9_S3_SB_S9_S3_PS5_21rocsparse_index_base_SD_SD_SD_bbb,comdat
	.globl	_ZN9rocsparseL41csrgemm_numeric_fill_block_per_row_kernelILj1024ELj32ELj2048ELj137ELj64ElifEEvT5_PKS1_S3_NS_24const_host_device_scalarIT6_EEPKT4_S3_PKS5_S9_S3_SB_S6_S9_S3_SB_S9_S3_PS5_21rocsparse_index_base_SD_SD_SD_bbb ; -- Begin function _ZN9rocsparseL41csrgemm_numeric_fill_block_per_row_kernelILj1024ELj32ELj2048ELj137ELj64ElifEEvT5_PKS1_S3_NS_24const_host_device_scalarIT6_EEPKT4_S3_PKS5_S9_S3_SB_S6_S9_S3_SB_S9_S3_PS5_21rocsparse_index_base_SD_SD_SD_bbb
	.p2align	8
	.type	_ZN9rocsparseL41csrgemm_numeric_fill_block_per_row_kernelILj1024ELj32ELj2048ELj137ELj64ElifEEvT5_PKS1_S3_NS_24const_host_device_scalarIT6_EEPKT4_S3_PKS5_S9_S3_SB_S6_S9_S3_SB_S9_S3_PS5_21rocsparse_index_base_SD_SD_SD_bbb,@function
_ZN9rocsparseL41csrgemm_numeric_fill_block_per_row_kernelILj1024ELj32ELj2048ELj137ELj64ElifEEvT5_PKS1_S3_NS_24const_host_device_scalarIT6_EEPKT4_S3_PKS5_S9_S3_SB_S6_S9_S3_SB_S9_S3_PS5_21rocsparse_index_base_SD_SD_SD_bbb: ; @_ZN9rocsparseL41csrgemm_numeric_fill_block_per_row_kernelILj1024ELj32ELj2048ELj137ELj64ElifEEvT5_PKS1_S3_NS_24const_host_device_scalarIT6_EEPKT4_S3_PKS5_S9_S3_SB_S6_S9_S3_SB_S9_S3_PS5_21rocsparse_index_base_SD_SD_SD_bbb
; %bb.0:
	s_clause 0x3
	s_load_b32 s12, s[0:1], 0x98
	s_load_b128 s[24:27], s[0:1], 0x88
	s_load_b64 s[4:5], s[0:1], 0x18
	s_load_b64 s[2:3], s[0:1], 0x50
	s_waitcnt lgkmcnt(0)
	s_bitcmp1_b32 s12, 0
	s_cselect_b32 s13, -1, 0
	s_bitcmp1_b32 s12, 16
	s_cselect_b32 s14, -1, 0
	s_xor_b32 s6, s13, -1
	s_delay_alu instid0(SALU_CYCLE_1) | instskip(NEXT) | instid1(SALU_CYCLE_1)
	s_or_b32 s6, s6, s14
	s_and_b32 vcc_lo, exec_lo, s6
	s_cbranch_vccnz .LBB169_2
; %bb.1:
	s_load_b32 s4, s[4:5], 0x0
	s_waitcnt lgkmcnt(0)
	v_mov_b32_e32 v12, s4
	s_branch .LBB169_3
.LBB169_2:
	v_cndmask_b32_e64 v12, 0, s4, s13
.LBB169_3:
	s_clause 0x4
	s_load_b64 s[34:35], s[0:1], 0x80
	s_load_b256 s[16:23], s[0:1], 0x58
	s_load_b128 s[28:31], s[0:1], 0x40
	s_load_b128 s[36:39], s[0:1], 0x8
	s_load_b256 s[4:11], s[0:1], 0x20
	s_bitcmp1_b32 s12, 8
	s_cselect_b32 s12, -1, 0
	s_delay_alu instid0(SALU_CYCLE_1) | instskip(NEXT) | instid1(SALU_CYCLE_1)
	s_xor_b32 s33, s12, -1
	s_or_b32 s14, s33, s14
	s_delay_alu instid0(SALU_CYCLE_1)
	s_and_b32 vcc_lo, exec_lo, s14
	s_cbranch_vccnz .LBB169_5
; %bb.4:
	s_load_b32 s2, s[2:3], 0x0
	s_waitcnt lgkmcnt(0)
	v_mov_b32_e32 v11, s2
	s_branch .LBB169_6
.LBB169_5:
	v_cndmask_b32_e64 v11, 0, s2, s12
.LBB169_6:
	s_load_b32 s33, s[0:1], 0x0
	v_lshl_add_u32 v9, v0, 2, 0
	v_or_b32_e32 v10, 0xfffffc00, v0
	v_mov_b32_e32 v1, 0
	s_mov_b32 s0, 0
	s_delay_alu instid0(VALU_DEP_3)
	v_mov_b32_e32 v2, v9
	s_waitcnt lgkmcnt(0)
	v_dual_mov_b32 v4, v10 :: v_dual_mov_b32 v3, s33
.LBB169_7:                              ; =>This Inner Loop Header: Depth=1
	s_delay_alu instid0(VALU_DEP_1) | instskip(NEXT) | instid1(VALU_DEP_1)
	v_add_co_u32 v4, s1, 0x400, v4
	s_xor_b32 s1, s1, -1
	ds_store_2addr_stride64_b32 v2, v3, v1 offset1:32
	v_add_nc_u32_e32 v2, 0x1000, v2
	s_and_b32 s1, exec_lo, s1
	s_delay_alu instid0(SALU_CYCLE_1) | instskip(NEXT) | instid1(SALU_CYCLE_1)
	s_or_b32 s0, s1, s0
	s_and_not1_b32 exec_lo, exec_lo, s0
	s_cbranch_execnz .LBB169_7
; %bb.8:
	s_or_b32 exec_lo, exec_lo, s0
	s_waitcnt lgkmcnt(0)
	s_barrier
	buffer_gl0_inv
	s_load_b32 s0, s[36:37], 0x0
	s_mov_b32 s1, 0
	s_waitcnt lgkmcnt(0)
	s_add_i32 s0, s0, s15
	s_delay_alu instid0(SALU_CYCLE_1) | instskip(NEXT) | instid1(SALU_CYCLE_1)
	s_lshl_b64 s[0:1], s[0:1], 2
	s_add_u32 s0, s38, s0
	s_addc_u32 s1, s39, s1
	s_and_b32 vcc_lo, exec_lo, s13
	s_load_b32 s36, s[0:1], 0x0
	s_cbranch_vccz .LBB169_28
; %bb.9:
	s_waitcnt lgkmcnt(0)
	s_ashr_i32 s37, s36, 31
	v_lshrrev_b32_e32 v1, 5, v0
	s_lshl_b64 s[0:1], s[36:37], 3
	s_delay_alu instid0(SALU_CYCLE_1) | instskip(SKIP_1) | instid1(VALU_DEP_1)
	s_add_u32 s0, s4, s0
	s_addc_u32 s1, s5, s1
	v_sub_co_u32 v1, s4, v1, s24
	s_load_b128 s[0:3], s[0:1], 0x0
	v_sub_co_ci_u32_e64 v2, null, 0, 0, s4
	s_waitcnt lgkmcnt(0)
	s_delay_alu instid0(VALU_DEP_2) | instskip(NEXT) | instid1(VALU_DEP_2)
	v_add_co_u32 v1, vcc_lo, s0, v1
	v_add_co_ci_u32_e32 v2, vcc_lo, s1, v2, vcc_lo
	s_sub_u32 s0, s2, s24
	s_subb_u32 s1, s3, 0
	s_mov_b32 s2, exec_lo
	s_delay_alu instid0(VALU_DEP_1)
	v_cmpx_gt_i64_e64 s[0:1], v[1:2]
	s_cbranch_execz .LBB169_27
; %bb.10:
	v_and_b32_e32 v3, 31, v0
	s_mov_b32 s4, s25
	s_delay_alu instid0(VALU_DEP_1) | instskip(NEXT) | instid1(VALU_DEP_1)
	v_sub_co_u32 v13, s3, v3, s25
	v_sub_co_ci_u32_e64 v14, null, 0, 0, s3
	s_mov_b32 s3, 0
	s_branch .LBB169_12
.LBB169_11:                             ;   in Loop: Header=BB169_12 Depth=1
	s_or_b32 exec_lo, exec_lo, s5
	v_add_co_u32 v1, vcc_lo, v1, 32
	v_add_co_ci_u32_e32 v2, vcc_lo, 0, v2, vcc_lo
	s_delay_alu instid0(VALU_DEP_1) | instskip(SKIP_1) | instid1(SALU_CYCLE_1)
	v_cmp_le_i64_e32 vcc_lo, s[0:1], v[1:2]
	s_or_b32 s3, vcc_lo, s3
	s_and_not1_b32 exec_lo, exec_lo, s3
	s_cbranch_execz .LBB169_27
.LBB169_12:                             ; =>This Loop Header: Depth=1
                                        ;     Child Loop BB169_15 Depth 2
                                        ;       Child Loop BB169_17 Depth 3
	v_lshlrev_b64 v[7:8], 2, v[1:2]
	s_mov_b32 s5, exec_lo
	s_delay_alu instid0(VALU_DEP_1) | instskip(NEXT) | instid1(VALU_DEP_2)
	v_add_co_u32 v3, vcc_lo, s6, v7
	v_add_co_ci_u32_e32 v4, vcc_lo, s7, v8, vcc_lo
	global_load_b32 v3, v[3:4], off
	s_waitcnt vmcnt(0)
	v_subrev_nc_u32_e32 v3, s24, v3
	s_delay_alu instid0(VALU_DEP_1) | instskip(NEXT) | instid1(VALU_DEP_1)
	v_ashrrev_i32_e32 v4, 31, v3
	v_lshlrev_b64 v[3:4], 3, v[3:4]
	s_delay_alu instid0(VALU_DEP_1) | instskip(NEXT) | instid1(VALU_DEP_2)
	v_add_co_u32 v3, vcc_lo, s10, v3
	v_add_co_ci_u32_e32 v4, vcc_lo, s11, v4, vcc_lo
	global_load_b128 v[15:18], v[3:4], off
	s_waitcnt vmcnt(0)
	v_sub_co_u32 v3, vcc_lo, v17, s4
	v_subrev_co_ci_u32_e32 v4, vcc_lo, 0, v18, vcc_lo
	v_add_co_u32 v5, vcc_lo, v15, v13
	v_add_co_ci_u32_e32 v6, vcc_lo, v16, v14, vcc_lo
	s_delay_alu instid0(VALU_DEP_1)
	v_cmpx_lt_i64_e64 v[5:6], v[3:4]
	s_cbranch_execz .LBB169_11
; %bb.13:                               ;   in Loop: Header=BB169_12 Depth=1
	v_add_co_u32 v7, vcc_lo, s8, v7
	v_add_co_ci_u32_e32 v8, vcc_lo, s9, v8, vcc_lo
	s_mov_b32 s13, 0
	global_load_b32 v7, v[7:8], off
	s_waitcnt vmcnt(0)
	v_mul_f32_e32 v7, v12, v7
	s_branch .LBB169_15
.LBB169_14:                             ;   in Loop: Header=BB169_15 Depth=2
	s_or_b32 exec_lo, exec_lo, s14
	v_add_co_u32 v5, vcc_lo, v5, 32
	v_add_co_ci_u32_e32 v6, vcc_lo, 0, v6, vcc_lo
	s_delay_alu instid0(VALU_DEP_1) | instskip(SKIP_1) | instid1(SALU_CYCLE_1)
	v_cmp_ge_i64_e32 vcc_lo, v[5:6], v[3:4]
	s_or_b32 s13, vcc_lo, s13
	s_and_not1_b32 exec_lo, exec_lo, s13
	s_cbranch_execz .LBB169_11
.LBB169_15:                             ;   Parent Loop BB169_12 Depth=1
                                        ; =>  This Loop Header: Depth=2
                                        ;       Child Loop BB169_17 Depth 3
	v_lshlrev_b64 v[15:16], 2, v[5:6]
	s_mov_b32 s14, 0
	s_delay_alu instid0(VALU_DEP_1) | instskip(NEXT) | instid1(VALU_DEP_2)
	v_add_co_u32 v17, vcc_lo, s28, v15
	v_add_co_ci_u32_e32 v18, vcc_lo, s29, v16, vcc_lo
	v_add_co_u32 v15, vcc_lo, s30, v15
	v_add_co_ci_u32_e32 v16, vcc_lo, s31, v16, vcc_lo
	global_load_b32 v8, v[17:18], off
	global_load_b32 v15, v[15:16], off
	s_waitcnt vmcnt(1)
	v_subrev_nc_u32_e32 v8, s25, v8
	s_delay_alu instid0(VALU_DEP_1) | instskip(SKIP_1) | instid1(VALU_DEP_1)
	v_mul_lo_u32 v16, 0x89, v8
	s_waitcnt vmcnt(0)
	v_dual_mul_f32 v15, v7, v15 :: v_dual_and_b32 v16, 0x7ff, v16
	s_branch .LBB169_17
.LBB169_16:                             ;   in Loop: Header=BB169_17 Depth=3
	s_or_b32 exec_lo, exec_lo, s15
	s_xor_b32 s15, s37, -1
	s_delay_alu instid0(SALU_CYCLE_1) | instskip(NEXT) | instid1(SALU_CYCLE_1)
	s_and_b32 s15, exec_lo, s15
	s_or_b32 s14, s15, s14
	s_delay_alu instid0(SALU_CYCLE_1)
	s_and_not1_b32 exec_lo, exec_lo, s14
	s_cbranch_execz .LBB169_14
.LBB169_17:                             ;   Parent Loop BB169_12 Depth=1
                                        ;     Parent Loop BB169_15 Depth=2
                                        ; =>    This Inner Loop Header: Depth=3
	s_delay_alu instid0(VALU_DEP_1)
	v_lshl_add_u32 v17, v16, 2, 0
	s_mov_b32 s15, exec_lo
                                        ; implicit-def: $sgpr37
	ds_load_b32 v18, v17
	s_waitcnt lgkmcnt(0)
	v_cmpx_ne_u32_e64 v18, v8
	s_xor_b32 s15, exec_lo, s15
	s_cbranch_execz .LBB169_25
; %bb.18:                               ;   in Loop: Header=BB169_17 Depth=3
	s_mov_b32 s38, exec_lo
                                        ; implicit-def: $sgpr37
	v_cmpx_ne_u32_e64 s33, v18
	s_xor_b32 s38, exec_lo, s38
; %bb.19:                               ;   in Loop: Header=BB169_17 Depth=3
	v_add_nc_u32_e32 v16, 1, v16
	s_mov_b32 s37, -1
                                        ; implicit-def: $vgpr17
	s_delay_alu instid0(VALU_DEP_1)
	v_and_b32_e32 v16, 0x7ff, v16
; %bb.20:                               ;   in Loop: Header=BB169_17 Depth=3
	s_and_not1_saveexec_b32 s38, s38
	s_cbranch_execz .LBB169_24
; %bb.21:                               ;   in Loop: Header=BB169_17 Depth=3
	v_mov_b32_e32 v18, s33
	s_mov_b32 s39, -1
	s_mov_b32 s40, exec_lo
	ds_cmpstore_rtn_b32 v18, v17, v8, v18
	s_waitcnt lgkmcnt(0)
	v_cmpx_eq_u32_e64 s33, v18
	s_cbranch_execz .LBB169_23
; %bb.22:                               ;   in Loop: Header=BB169_17 Depth=3
	ds_add_f32 v17, v15 offset:8192
	s_xor_b32 s39, exec_lo, -1
.LBB169_23:                             ;   in Loop: Header=BB169_17 Depth=3
	s_or_b32 exec_lo, exec_lo, s40
	s_delay_alu instid0(SALU_CYCLE_1) | instskip(SKIP_1) | instid1(SALU_CYCLE_1)
	s_and_not1_b32 s37, s37, exec_lo
	s_and_b32 s39, s39, exec_lo
	s_or_b32 s37, s37, s39
.LBB169_24:                             ;   in Loop: Header=BB169_17 Depth=3
	s_or_b32 exec_lo, exec_lo, s38
	s_delay_alu instid0(SALU_CYCLE_1)
	s_and_b32 s37, s37, exec_lo
                                        ; implicit-def: $vgpr17
.LBB169_25:                             ;   in Loop: Header=BB169_17 Depth=3
	s_and_not1_saveexec_b32 s15, s15
	s_cbranch_execz .LBB169_16
; %bb.26:                               ;   in Loop: Header=BB169_17 Depth=3
	ds_add_f32 v17, v15 offset:8192
	s_and_not1_b32 s37, s37, exec_lo
	s_branch .LBB169_16
.LBB169_27:
	s_or_b32 exec_lo, exec_lo, s2
.LBB169_28:
	s_delay_alu instid0(SALU_CYCLE_1)
	s_and_not1_b32 vcc_lo, exec_lo, s12
	s_cbranch_vccnz .LBB169_31
; %bb.29:
	s_waitcnt lgkmcnt(0)
	s_ashr_i32 s37, s36, 31
	v_sub_co_u32 v1, s4, v0, s27
	s_lshl_b64 s[0:1], s[36:37], 3
	v_sub_co_ci_u32_e64 v2, null, 0, 0, s4
	s_add_u32 s0, s16, s0
	s_addc_u32 s1, s17, s1
	s_load_b128 s[0:3], s[0:1], 0x0
	s_waitcnt lgkmcnt(0)
	v_add_co_u32 v1, vcc_lo, s0, v1
	v_add_co_ci_u32_e32 v2, vcc_lo, s1, v2, vcc_lo
	s_sub_u32 s0, s2, s27
	s_subb_u32 s1, s3, 0
	s_mov_b32 s3, 0
	s_mov_b32 s2, exec_lo
	v_cmpx_gt_i64_e64 s[0:1], v[1:2]
	s_cbranch_execnz .LBB169_68
.LBB169_30:
	s_or_b32 exec_lo, exec_lo, s2
.LBB169_31:
	v_mbcnt_lo_u32_b32 v1, -1, 0
	v_lshrrev_b32_e32 v2, 4, v0
	v_cmp_eq_u32_e32 vcc_lo, 0x3ff, v0
	v_cmp_lt_u32_e64 s0, 63, v0
	v_cmp_lt_u32_e64 s1, 0x7f, v0
	v_xor_b32_e32 v1, 63, v1
	v_dual_mov_b32 v6, 0 :: v_dual_and_b32 v3, 60, v2
	v_cmp_lt_u32_e64 s2, 0xbf, v0
	v_cmp_lt_u32_e64 s3, 0xff, v0
	s_delay_alu instid0(VALU_DEP_4) | instskip(NEXT) | instid1(VALU_DEP_4)
	v_lshrrev_b64 v[1:2], v1, -1
	v_dual_mov_b32 v5, 0 :: v_dual_add_nc_u32 v4, 0, v3
	v_cmp_lt_u32_e64 s4, 0x13f, v0
	v_cmp_lt_u32_e64 s5, 0x17f, v0
	;; [unrolled: 1-line block ×11, first 2 shown]
	s_mov_b32 s16, 0
	s_waitcnt lgkmcnt(0)
	s_barrier
	buffer_gl0_inv
	s_branch .LBB169_33
.LBB169_32:                             ;   in Loop: Header=BB169_33 Depth=1
	s_or_b32 exec_lo, exec_lo, s15
	s_waitcnt lgkmcnt(0)
	s_barrier
	buffer_gl0_inv
	ds_load_b32 v2, v5 offset:16444
	v_add_co_u32 v10, s15, 0x400, v10
	s_delay_alu instid0(VALU_DEP_1) | instskip(SKIP_2) | instid1(SALU_CYCLE_1)
	s_xor_b32 s15, s15, -1
	v_add_nc_u32_e32 v9, 0x1000, v9
	s_and_b32 s15, exec_lo, s15
	s_or_b32 s16, s15, s16
	s_waitcnt lgkmcnt(0)
	v_add_nc_u32_e32 v6, v2, v6
	s_and_not1_b32 exec_lo, exec_lo, s16
	s_cbranch_execz .LBB169_80
.LBB169_33:                             ; =>This Inner Loop Header: Depth=1
	ds_load_2addr_stride64_b32 v[2:3], v9 offset1:32
	s_waitcnt lgkmcnt(0)
	s_barrier
	buffer_gl0_inv
	v_cmp_gt_i32_e64 s15, s33, v2
	s_delay_alu instid0(VALU_DEP_1) | instskip(NEXT) | instid1(SALU_CYCLE_1)
	s_bcnt1_i32_b32 s17, s15
	v_dual_mov_b32 v8, s17 :: v_dual_and_b32 v7, s15, v1
	s_delay_alu instid0(VALU_DEP_1)
	v_bcnt_u32_b32 v7, v7, 0
	ds_store_b32 v4, v8 offset:16384
	s_waitcnt lgkmcnt(0)
	s_barrier
	buffer_gl0_inv
	s_and_saveexec_b32 s17, s0
	s_cbranch_execnz .LBB169_50
; %bb.34:                               ;   in Loop: Header=BB169_33 Depth=1
	s_or_b32 exec_lo, exec_lo, s17
	s_and_saveexec_b32 s17, s1
	s_cbranch_execnz .LBB169_51
.LBB169_35:                             ;   in Loop: Header=BB169_33 Depth=1
	s_or_b32 exec_lo, exec_lo, s17
	s_and_saveexec_b32 s17, s2
	s_cbranch_execnz .LBB169_52
.LBB169_36:                             ;   in Loop: Header=BB169_33 Depth=1
	s_or_b32 exec_lo, exec_lo, s17
	s_and_saveexec_b32 s17, s3
	s_cbranch_execnz .LBB169_53
.LBB169_37:                             ;   in Loop: Header=BB169_33 Depth=1
	s_or_b32 exec_lo, exec_lo, s17
	s_and_saveexec_b32 s17, s4
	s_cbranch_execnz .LBB169_54
.LBB169_38:                             ;   in Loop: Header=BB169_33 Depth=1
	s_or_b32 exec_lo, exec_lo, s17
	s_and_saveexec_b32 s17, s5
	s_cbranch_execnz .LBB169_55
.LBB169_39:                             ;   in Loop: Header=BB169_33 Depth=1
	s_or_b32 exec_lo, exec_lo, s17
	s_and_saveexec_b32 s17, s6
	s_cbranch_execnz .LBB169_56
.LBB169_40:                             ;   in Loop: Header=BB169_33 Depth=1
	s_or_b32 exec_lo, exec_lo, s17
	s_and_saveexec_b32 s17, s7
	s_cbranch_execnz .LBB169_57
.LBB169_41:                             ;   in Loop: Header=BB169_33 Depth=1
	s_or_b32 exec_lo, exec_lo, s17
	s_and_saveexec_b32 s17, s8
	s_cbranch_execnz .LBB169_58
.LBB169_42:                             ;   in Loop: Header=BB169_33 Depth=1
	s_or_b32 exec_lo, exec_lo, s17
	s_and_saveexec_b32 s17, s9
	s_cbranch_execnz .LBB169_59
.LBB169_43:                             ;   in Loop: Header=BB169_33 Depth=1
	s_or_b32 exec_lo, exec_lo, s17
	s_and_saveexec_b32 s17, s10
	s_cbranch_execnz .LBB169_60
.LBB169_44:                             ;   in Loop: Header=BB169_33 Depth=1
	s_or_b32 exec_lo, exec_lo, s17
	s_and_saveexec_b32 s17, s11
	s_cbranch_execnz .LBB169_61
.LBB169_45:                             ;   in Loop: Header=BB169_33 Depth=1
	s_or_b32 exec_lo, exec_lo, s17
	s_and_saveexec_b32 s17, s12
	s_cbranch_execnz .LBB169_62
.LBB169_46:                             ;   in Loop: Header=BB169_33 Depth=1
	s_or_b32 exec_lo, exec_lo, s17
	s_and_saveexec_b32 s17, s13
	s_cbranch_execnz .LBB169_63
.LBB169_47:                             ;   in Loop: Header=BB169_33 Depth=1
	s_or_b32 exec_lo, exec_lo, s17
	s_and_saveexec_b32 s17, s14
	s_cbranch_execnz .LBB169_64
.LBB169_48:                             ;   in Loop: Header=BB169_33 Depth=1
	s_or_b32 exec_lo, exec_lo, s17
	s_and_saveexec_b32 s17, s15
	s_cbranch_execnz .LBB169_65
.LBB169_49:                             ;   in Loop: Header=BB169_33 Depth=1
	s_or_b32 exec_lo, exec_lo, s17
	s_and_saveexec_b32 s15, vcc_lo
	s_cbranch_execz .LBB169_32
	s_branch .LBB169_66
.LBB169_50:                             ;   in Loop: Header=BB169_33 Depth=1
	ds_load_b32 v8, v5 offset:16384
	s_waitcnt lgkmcnt(0)
	v_add_nc_u32_e32 v7, v8, v7
	s_or_b32 exec_lo, exec_lo, s17
	s_and_saveexec_b32 s17, s1
	s_cbranch_execz .LBB169_35
.LBB169_51:                             ;   in Loop: Header=BB169_33 Depth=1
	ds_load_b32 v8, v5 offset:16388
	s_waitcnt lgkmcnt(0)
	v_add_nc_u32_e32 v7, v8, v7
	s_or_b32 exec_lo, exec_lo, s17
	s_and_saveexec_b32 s17, s2
	s_cbranch_execz .LBB169_36
.LBB169_52:                             ;   in Loop: Header=BB169_33 Depth=1
	ds_load_b32 v8, v5 offset:16392
	s_waitcnt lgkmcnt(0)
	v_add_nc_u32_e32 v7, v8, v7
	s_or_b32 exec_lo, exec_lo, s17
	s_and_saveexec_b32 s17, s3
	s_cbranch_execz .LBB169_37
.LBB169_53:                             ;   in Loop: Header=BB169_33 Depth=1
	ds_load_b32 v8, v5 offset:16396
	s_waitcnt lgkmcnt(0)
	v_add_nc_u32_e32 v7, v8, v7
	s_or_b32 exec_lo, exec_lo, s17
	s_and_saveexec_b32 s17, s4
	s_cbranch_execz .LBB169_38
.LBB169_54:                             ;   in Loop: Header=BB169_33 Depth=1
	ds_load_b32 v8, v5 offset:16400
	s_waitcnt lgkmcnt(0)
	v_add_nc_u32_e32 v7, v8, v7
	s_or_b32 exec_lo, exec_lo, s17
	s_and_saveexec_b32 s17, s5
	s_cbranch_execz .LBB169_39
.LBB169_55:                             ;   in Loop: Header=BB169_33 Depth=1
	ds_load_b32 v8, v5 offset:16404
	s_waitcnt lgkmcnt(0)
	v_add_nc_u32_e32 v7, v8, v7
	s_or_b32 exec_lo, exec_lo, s17
	s_and_saveexec_b32 s17, s6
	s_cbranch_execz .LBB169_40
.LBB169_56:                             ;   in Loop: Header=BB169_33 Depth=1
	ds_load_b32 v8, v5 offset:16408
	s_waitcnt lgkmcnt(0)
	v_add_nc_u32_e32 v7, v8, v7
	s_or_b32 exec_lo, exec_lo, s17
	s_and_saveexec_b32 s17, s7
	s_cbranch_execz .LBB169_41
.LBB169_57:                             ;   in Loop: Header=BB169_33 Depth=1
	ds_load_b32 v8, v5 offset:16412
	s_waitcnt lgkmcnt(0)
	v_add_nc_u32_e32 v7, v8, v7
	s_or_b32 exec_lo, exec_lo, s17
	s_and_saveexec_b32 s17, s8
	s_cbranch_execz .LBB169_42
.LBB169_58:                             ;   in Loop: Header=BB169_33 Depth=1
	ds_load_b32 v8, v5 offset:16416
	s_waitcnt lgkmcnt(0)
	v_add_nc_u32_e32 v7, v8, v7
	s_or_b32 exec_lo, exec_lo, s17
	s_and_saveexec_b32 s17, s9
	s_cbranch_execz .LBB169_43
.LBB169_59:                             ;   in Loop: Header=BB169_33 Depth=1
	ds_load_b32 v8, v5 offset:16420
	s_waitcnt lgkmcnt(0)
	v_add_nc_u32_e32 v7, v8, v7
	s_or_b32 exec_lo, exec_lo, s17
	s_and_saveexec_b32 s17, s10
	s_cbranch_execz .LBB169_44
.LBB169_60:                             ;   in Loop: Header=BB169_33 Depth=1
	ds_load_b32 v8, v5 offset:16424
	s_waitcnt lgkmcnt(0)
	v_add_nc_u32_e32 v7, v8, v7
	s_or_b32 exec_lo, exec_lo, s17
	s_and_saveexec_b32 s17, s11
	s_cbranch_execz .LBB169_45
.LBB169_61:                             ;   in Loop: Header=BB169_33 Depth=1
	ds_load_b32 v8, v5 offset:16428
	s_waitcnt lgkmcnt(0)
	v_add_nc_u32_e32 v7, v8, v7
	s_or_b32 exec_lo, exec_lo, s17
	s_and_saveexec_b32 s17, s12
	s_cbranch_execz .LBB169_46
.LBB169_62:                             ;   in Loop: Header=BB169_33 Depth=1
	ds_load_b32 v8, v5 offset:16432
	s_waitcnt lgkmcnt(0)
	v_add_nc_u32_e32 v7, v8, v7
	s_or_b32 exec_lo, exec_lo, s17
	s_and_saveexec_b32 s17, s13
	s_cbranch_execz .LBB169_47
.LBB169_63:                             ;   in Loop: Header=BB169_33 Depth=1
	ds_load_b32 v8, v5 offset:16436
	s_waitcnt lgkmcnt(0)
	v_add_nc_u32_e32 v7, v8, v7
	s_or_b32 exec_lo, exec_lo, s17
	s_and_saveexec_b32 s17, s14
	s_cbranch_execz .LBB169_48
.LBB169_64:                             ;   in Loop: Header=BB169_33 Depth=1
	ds_load_b32 v8, v5 offset:16440
	s_waitcnt lgkmcnt(0)
	v_add_nc_u32_e32 v7, v8, v7
	s_or_b32 exec_lo, exec_lo, s17
	s_and_saveexec_b32 s17, s15
	s_cbranch_execz .LBB169_49
.LBB169_65:                             ;   in Loop: Header=BB169_33 Depth=1
	s_delay_alu instid0(VALU_DEP_1) | instskip(NEXT) | instid1(VALU_DEP_1)
	v_add3_u32 v8, v6, -1, v7
	v_lshl_add_u32 v8, v8, 2, 0
	ds_store_2addr_stride64_b32 v8, v2, v3 offset1:32
	s_or_b32 exec_lo, exec_lo, s17
	s_and_saveexec_b32 s15, vcc_lo
	s_cbranch_execz .LBB169_32
.LBB169_66:                             ;   in Loop: Header=BB169_33 Depth=1
	ds_store_b32 v5, v7 offset:16444
	s_branch .LBB169_32
.LBB169_67:                             ;   in Loop: Header=BB169_68 Depth=1
	s_or_b32 exec_lo, exec_lo, s4
	v_add_co_u32 v1, vcc_lo, 0x400, v1
	v_add_co_ci_u32_e32 v2, vcc_lo, 0, v2, vcc_lo
	s_delay_alu instid0(VALU_DEP_1) | instskip(SKIP_1) | instid1(SALU_CYCLE_1)
	v_cmp_le_i64_e32 vcc_lo, s[0:1], v[1:2]
	s_or_b32 s3, vcc_lo, s3
	s_and_not1_b32 exec_lo, exec_lo, s3
	s_cbranch_execz .LBB169_30
.LBB169_68:                             ; =>This Loop Header: Depth=1
                                        ;     Child Loop BB169_70 Depth 2
	v_lshlrev_b64 v[3:4], 2, v[1:2]
	s_mov_b32 s4, 0
	s_delay_alu instid0(VALU_DEP_1) | instskip(NEXT) | instid1(VALU_DEP_2)
	v_add_co_u32 v5, vcc_lo, s18, v3
	v_add_co_ci_u32_e32 v6, vcc_lo, s19, v4, vcc_lo
	v_add_co_u32 v3, vcc_lo, s20, v3
	v_add_co_ci_u32_e32 v4, vcc_lo, s21, v4, vcc_lo
	global_load_b32 v5, v[5:6], off
	global_load_b32 v4, v[3:4], off
	s_waitcnt vmcnt(1)
	v_subrev_nc_u32_e32 v3, s27, v5
	s_delay_alu instid0(VALU_DEP_1) | instskip(SKIP_1) | instid1(VALU_DEP_1)
	v_mul_lo_u32 v5, 0x89, v3
	s_waitcnt vmcnt(0)
	v_dual_mul_f32 v4, v11, v4 :: v_dual_and_b32 v5, 0x7ff, v5
	s_branch .LBB169_70
.LBB169_69:                             ;   in Loop: Header=BB169_70 Depth=2
	s_or_b32 exec_lo, exec_lo, s5
	s_xor_b32 s5, s6, -1
	s_delay_alu instid0(SALU_CYCLE_1) | instskip(NEXT) | instid1(SALU_CYCLE_1)
	s_and_b32 s5, exec_lo, s5
	s_or_b32 s4, s5, s4
	s_delay_alu instid0(SALU_CYCLE_1)
	s_and_not1_b32 exec_lo, exec_lo, s4
	s_cbranch_execz .LBB169_67
.LBB169_70:                             ;   Parent Loop BB169_68 Depth=1
                                        ; =>  This Inner Loop Header: Depth=2
	s_delay_alu instid0(VALU_DEP_1)
	v_lshl_add_u32 v6, v5, 2, 0
	s_mov_b32 s5, exec_lo
                                        ; implicit-def: $sgpr6
	ds_load_b32 v7, v6
	s_waitcnt lgkmcnt(0)
	v_cmpx_ne_u32_e64 v7, v3
	s_xor_b32 s5, exec_lo, s5
	s_cbranch_execz .LBB169_78
; %bb.71:                               ;   in Loop: Header=BB169_70 Depth=2
	s_mov_b32 s7, exec_lo
                                        ; implicit-def: $sgpr6
	v_cmpx_ne_u32_e64 s33, v7
	s_xor_b32 s7, exec_lo, s7
; %bb.72:                               ;   in Loop: Header=BB169_70 Depth=2
	v_add_nc_u32_e32 v5, 1, v5
	s_mov_b32 s6, -1
                                        ; implicit-def: $vgpr6
	s_delay_alu instid0(VALU_DEP_1)
	v_and_b32_e32 v5, 0x7ff, v5
; %bb.73:                               ;   in Loop: Header=BB169_70 Depth=2
	s_and_not1_saveexec_b32 s7, s7
	s_cbranch_execz .LBB169_77
; %bb.74:                               ;   in Loop: Header=BB169_70 Depth=2
	v_mov_b32_e32 v7, s33
	s_mov_b32 s8, -1
	s_mov_b32 s9, exec_lo
	ds_cmpstore_rtn_b32 v7, v6, v3, v7
	s_waitcnt lgkmcnt(0)
	v_cmpx_eq_u32_e64 s33, v7
	s_cbranch_execz .LBB169_76
; %bb.75:                               ;   in Loop: Header=BB169_70 Depth=2
	ds_add_f32 v6, v4 offset:8192
	s_xor_b32 s8, exec_lo, -1
.LBB169_76:                             ;   in Loop: Header=BB169_70 Depth=2
	s_or_b32 exec_lo, exec_lo, s9
	s_delay_alu instid0(SALU_CYCLE_1) | instskip(SKIP_1) | instid1(SALU_CYCLE_1)
	s_and_not1_b32 s6, s6, exec_lo
	s_and_b32 s8, s8, exec_lo
	s_or_b32 s6, s6, s8
.LBB169_77:                             ;   in Loop: Header=BB169_70 Depth=2
	s_or_b32 exec_lo, exec_lo, s7
	s_delay_alu instid0(SALU_CYCLE_1)
	s_and_b32 s6, s6, exec_lo
                                        ; implicit-def: $vgpr6
.LBB169_78:                             ;   in Loop: Header=BB169_70 Depth=2
	s_and_not1_saveexec_b32 s5, s5
	s_cbranch_execz .LBB169_69
; %bb.79:                               ;   in Loop: Header=BB169_70 Depth=2
	ds_add_f32 v6, v4 offset:8192
	s_and_not1_b32 s6, s6, exec_lo
	s_branch .LBB169_69
.LBB169_80:
	s_or_b32 exec_lo, exec_lo, s16
	s_ashr_i32 s37, s36, 31
	s_mov_b32 s4, exec_lo
	s_lshl_b64 s[0:1], s[36:37], 3
	s_delay_alu instid0(SALU_CYCLE_1) | instskip(SKIP_4) | instid1(SALU_CYCLE_1)
	s_add_u32 s0, s22, s0
	s_addc_u32 s1, s23, s1
	s_load_b128 s[0:3], s[0:1], 0x0
	s_waitcnt lgkmcnt(0)
	s_sub_i32 s3, s2, s0
	v_cmpx_gt_i32_e64 s3, v0
	s_cbranch_execz .LBB169_90
; %bb.81:
	s_sub_u32 s4, s0, s26
	s_subb_u32 s5, s1, 0
	s_sub_i32 s0, s0, s2
	s_and_b32 s1, s3, 7
	s_cmp_lt_u32 s0, -7
	s_mov_b32 s8, 0
	s_cselect_b32 s2, -1, 0
	s_and_b32 s6, s3, -8
	s_cmp_lg_u32 s1, 0
	s_cselect_b32 s7, -1, 0
	s_branch .LBB169_83
.LBB169_82:                             ;   in Loop: Header=BB169_83 Depth=1
	s_delay_alu instid0(VALU_DEP_1) | instskip(SKIP_1) | instid1(VALU_DEP_1)
	v_lshlrev_b64 v[3:4], 2, v[3:4]
	v_add_nc_u32_e32 v0, 0x400, v0
	v_cmp_le_i32_e32 vcc_lo, s3, v0
	s_delay_alu instid0(VALU_DEP_3) | instskip(NEXT) | instid1(VALU_DEP_1)
	v_add_co_u32 v3, s0, s34, v3
	v_add_co_ci_u32_e64 v4, s0, s35, v4, s0
	s_or_b32 s8, vcc_lo, s8
	s_waitcnt lgkmcnt(0)
	global_store_b32 v[3:4], v2, off
	s_and_not1_b32 exec_lo, exec_lo, s8
	s_cbranch_execz .LBB169_90
.LBB169_83:                             ; =>This Loop Header: Depth=1
                                        ;     Child Loop BB169_85 Depth 2
                                        ;     Child Loop BB169_89 Depth 2
	v_lshl_add_u32 v1, v0, 2, 0
	v_dual_mov_b32 v3, s4 :: v_dual_mov_b32 v4, s5
	s_and_not1_b32 vcc_lo, exec_lo, s2
	s_mov_b32 s0, 0
	ds_load_2addr_stride64_b32 v[1:2], v1 offset1:32
	s_cbranch_vccnz .LBB169_87
; %bb.84:                               ;   in Loop: Header=BB169_83 Depth=1
	v_dual_mov_b32 v3, s4 :: v_dual_mov_b32 v4, s5
	s_mov_b32 s9, 0
	s_mov_b32 s10, 0
.LBB169_85:                             ;   Parent Loop BB169_83 Depth=1
                                        ; =>  This Inner Loop Header: Depth=2
	s_delay_alu instid0(SALU_CYCLE_1)
	v_mov_b32_e32 v11, s10
	s_add_i32 s9, s9, 8
	s_add_i32 s10, s10, 32
	s_cmp_eq_u32 s6, s9
	ds_load_2addr_b32 v[5:6], v11 offset1:1
	ds_load_2addr_b32 v[7:8], v11 offset0:2 offset1:3
	ds_load_2addr_b32 v[9:10], v11 offset0:4 offset1:5
	;; [unrolled: 1-line block ×3, first 2 shown]
	s_waitcnt lgkmcnt(3)
	v_cmp_gt_i32_e32 vcc_lo, v1, v5
	v_cndmask_b32_e64 v5, 0, 1, vcc_lo
	v_cmp_gt_i32_e32 vcc_lo, v1, v6
	v_cndmask_b32_e64 v6, 0, 1, vcc_lo
	s_waitcnt lgkmcnt(2)
	v_cmp_gt_i32_e32 vcc_lo, v1, v7
	v_cndmask_b32_e64 v7, 0, 1, vcc_lo
	v_cmp_gt_i32_e32 vcc_lo, v1, v8
	v_cndmask_b32_e64 v8, 0, 1, vcc_lo
	s_waitcnt lgkmcnt(1)
	v_cmp_gt_i32_e32 vcc_lo, v1, v9
	v_cndmask_b32_e64 v9, 0, 1, vcc_lo
	v_add_co_u32 v3, vcc_lo, v3, v5
	v_add_co_ci_u32_e32 v4, vcc_lo, 0, v4, vcc_lo
	v_cmp_gt_i32_e32 vcc_lo, v1, v10
	s_delay_alu instid0(VALU_DEP_3) | instskip(NEXT) | instid1(VALU_DEP_1)
	v_add_co_u32 v3, s0, v3, v6
	v_add_co_ci_u32_e64 v4, s0, 0, v4, s0
	v_cndmask_b32_e64 v5, 0, 1, vcc_lo
	s_delay_alu instid0(VALU_DEP_3) | instskip(NEXT) | instid1(VALU_DEP_3)
	v_add_co_u32 v3, vcc_lo, v3, v7
	v_add_co_ci_u32_e32 v4, vcc_lo, 0, v4, vcc_lo
	s_waitcnt lgkmcnt(0)
	v_cmp_gt_i32_e32 vcc_lo, v1, v11
	s_delay_alu instid0(VALU_DEP_3) | instskip(NEXT) | instid1(VALU_DEP_1)
	v_add_co_u32 v3, s0, v3, v8
	v_add_co_ci_u32_e64 v4, s0, 0, v4, s0
	v_cndmask_b32_e64 v6, 0, 1, vcc_lo
	s_delay_alu instid0(VALU_DEP_3) | instskip(NEXT) | instid1(VALU_DEP_3)
	v_add_co_u32 v3, vcc_lo, v3, v9
	v_add_co_ci_u32_e32 v4, vcc_lo, 0, v4, vcc_lo
	v_cmp_gt_i32_e32 vcc_lo, v1, v12
	s_delay_alu instid0(VALU_DEP_3) | instskip(NEXT) | instid1(VALU_DEP_1)
	v_add_co_u32 v3, s0, v3, v5
	v_add_co_ci_u32_e64 v4, s0, 0, v4, s0
	v_cndmask_b32_e64 v5, 0, 1, vcc_lo
	s_delay_alu instid0(VALU_DEP_3) | instskip(NEXT) | instid1(VALU_DEP_3)
	v_add_co_u32 v3, vcc_lo, v3, v6
	v_add_co_ci_u32_e32 v4, vcc_lo, 0, v4, vcc_lo
	s_delay_alu instid0(VALU_DEP_2) | instskip(NEXT) | instid1(VALU_DEP_2)
	v_add_co_u32 v3, vcc_lo, v3, v5
	v_add_co_ci_u32_e32 v4, vcc_lo, 0, v4, vcc_lo
	s_cbranch_scc0 .LBB169_85
; %bb.86:                               ;   in Loop: Header=BB169_83 Depth=1
	s_mov_b32 s0, s6
.LBB169_87:                             ;   in Loop: Header=BB169_83 Depth=1
	s_and_not1_b32 vcc_lo, exec_lo, s7
	s_cbranch_vccnz .LBB169_82
; %bb.88:                               ;   in Loop: Header=BB169_83 Depth=1
	s_lshl_b32 s0, s0, 2
	s_mov_b32 s9, s1
	s_add_i32 s0, s0, 0
.LBB169_89:                             ;   Parent Loop BB169_83 Depth=1
                                        ; =>  This Inner Loop Header: Depth=2
	s_delay_alu instid0(SALU_CYCLE_1)
	v_mov_b32_e32 v5, s0
	s_add_i32 s9, s9, -1
	s_add_i32 s0, s0, 4
	s_cmp_lg_u32 s9, 0
	ds_load_b32 v5, v5
	s_waitcnt lgkmcnt(0)
	v_cmp_gt_i32_e32 vcc_lo, v1, v5
	v_cndmask_b32_e64 v5, 0, 1, vcc_lo
	s_delay_alu instid0(VALU_DEP_1)
	v_add_co_u32 v3, vcc_lo, v3, v5
	v_add_co_ci_u32_e32 v4, vcc_lo, 0, v4, vcc_lo
	s_cbranch_scc1 .LBB169_89
	s_branch .LBB169_82
.LBB169_90:
	s_nop 0
	s_sendmsg sendmsg(MSG_DEALLOC_VGPRS)
	s_endpgm
	.section	.rodata,"a",@progbits
	.p2align	6, 0x0
	.amdhsa_kernel _ZN9rocsparseL41csrgemm_numeric_fill_block_per_row_kernelILj1024ELj32ELj2048ELj137ELj64ElifEEvT5_PKS1_S3_NS_24const_host_device_scalarIT6_EEPKT4_S3_PKS5_S9_S3_SB_S6_S9_S3_SB_S9_S3_PS5_21rocsparse_index_base_SD_SD_SD_bbb
		.amdhsa_group_segment_fixed_size 0
		.amdhsa_private_segment_fixed_size 0
		.amdhsa_kernarg_size 156
		.amdhsa_user_sgpr_count 15
		.amdhsa_user_sgpr_dispatch_ptr 0
		.amdhsa_user_sgpr_queue_ptr 0
		.amdhsa_user_sgpr_kernarg_segment_ptr 1
		.amdhsa_user_sgpr_dispatch_id 0
		.amdhsa_user_sgpr_private_segment_size 0
		.amdhsa_wavefront_size32 1
		.amdhsa_uses_dynamic_stack 0
		.amdhsa_enable_private_segment 0
		.amdhsa_system_sgpr_workgroup_id_x 1
		.amdhsa_system_sgpr_workgroup_id_y 0
		.amdhsa_system_sgpr_workgroup_id_z 0
		.amdhsa_system_sgpr_workgroup_info 0
		.amdhsa_system_vgpr_workitem_id 0
		.amdhsa_next_free_vgpr 19
		.amdhsa_next_free_sgpr 41
		.amdhsa_reserve_vcc 1
		.amdhsa_float_round_mode_32 0
		.amdhsa_float_round_mode_16_64 0
		.amdhsa_float_denorm_mode_32 3
		.amdhsa_float_denorm_mode_16_64 3
		.amdhsa_dx10_clamp 1
		.amdhsa_ieee_mode 1
		.amdhsa_fp16_overflow 0
		.amdhsa_workgroup_processor_mode 1
		.amdhsa_memory_ordered 1
		.amdhsa_forward_progress 0
		.amdhsa_shared_vgpr_count 0
		.amdhsa_exception_fp_ieee_invalid_op 0
		.amdhsa_exception_fp_denorm_src 0
		.amdhsa_exception_fp_ieee_div_zero 0
		.amdhsa_exception_fp_ieee_overflow 0
		.amdhsa_exception_fp_ieee_underflow 0
		.amdhsa_exception_fp_ieee_inexact 0
		.amdhsa_exception_int_div_zero 0
	.end_amdhsa_kernel
	.section	.text._ZN9rocsparseL41csrgemm_numeric_fill_block_per_row_kernelILj1024ELj32ELj2048ELj137ELj64ElifEEvT5_PKS1_S3_NS_24const_host_device_scalarIT6_EEPKT4_S3_PKS5_S9_S3_SB_S6_S9_S3_SB_S9_S3_PS5_21rocsparse_index_base_SD_SD_SD_bbb,"axG",@progbits,_ZN9rocsparseL41csrgemm_numeric_fill_block_per_row_kernelILj1024ELj32ELj2048ELj137ELj64ElifEEvT5_PKS1_S3_NS_24const_host_device_scalarIT6_EEPKT4_S3_PKS5_S9_S3_SB_S6_S9_S3_SB_S9_S3_PS5_21rocsparse_index_base_SD_SD_SD_bbb,comdat
.Lfunc_end169:
	.size	_ZN9rocsparseL41csrgemm_numeric_fill_block_per_row_kernelILj1024ELj32ELj2048ELj137ELj64ElifEEvT5_PKS1_S3_NS_24const_host_device_scalarIT6_EEPKT4_S3_PKS5_S9_S3_SB_S6_S9_S3_SB_S9_S3_PS5_21rocsparse_index_base_SD_SD_SD_bbb, .Lfunc_end169-_ZN9rocsparseL41csrgemm_numeric_fill_block_per_row_kernelILj1024ELj32ELj2048ELj137ELj64ElifEEvT5_PKS1_S3_NS_24const_host_device_scalarIT6_EEPKT4_S3_PKS5_S9_S3_SB_S6_S9_S3_SB_S9_S3_PS5_21rocsparse_index_base_SD_SD_SD_bbb
                                        ; -- End function
	.section	.AMDGPU.csdata,"",@progbits
; Kernel info:
; codeLenInByte = 3276
; NumSgprs: 43
; NumVgprs: 19
; ScratchSize: 0
; MemoryBound: 0
; FloatMode: 240
; IeeeMode: 1
; LDSByteSize: 0 bytes/workgroup (compile time only)
; SGPRBlocks: 5
; VGPRBlocks: 2
; NumSGPRsForWavesPerEU: 43
; NumVGPRsForWavesPerEU: 19
; Occupancy: 16
; WaveLimiterHint : 1
; COMPUTE_PGM_RSRC2:SCRATCH_EN: 0
; COMPUTE_PGM_RSRC2:USER_SGPR: 15
; COMPUTE_PGM_RSRC2:TRAP_HANDLER: 0
; COMPUTE_PGM_RSRC2:TGID_X_EN: 1
; COMPUTE_PGM_RSRC2:TGID_Y_EN: 0
; COMPUTE_PGM_RSRC2:TGID_Z_EN: 0
; COMPUTE_PGM_RSRC2:TIDIG_COMP_CNT: 0
	.section	.text._ZN9rocsparseL41csrgemm_numeric_fill_block_per_row_kernelILj1024ELj64ELj4096ELj137ELj32ElifEEvT5_PKS1_S3_NS_24const_host_device_scalarIT6_EEPKT4_S3_PKS5_S9_S3_SB_S6_S9_S3_SB_S9_S3_PS5_21rocsparse_index_base_SD_SD_SD_bbb,"axG",@progbits,_ZN9rocsparseL41csrgemm_numeric_fill_block_per_row_kernelILj1024ELj64ELj4096ELj137ELj32ElifEEvT5_PKS1_S3_NS_24const_host_device_scalarIT6_EEPKT4_S3_PKS5_S9_S3_SB_S6_S9_S3_SB_S9_S3_PS5_21rocsparse_index_base_SD_SD_SD_bbb,comdat
	.globl	_ZN9rocsparseL41csrgemm_numeric_fill_block_per_row_kernelILj1024ELj64ELj4096ELj137ELj32ElifEEvT5_PKS1_S3_NS_24const_host_device_scalarIT6_EEPKT4_S3_PKS5_S9_S3_SB_S6_S9_S3_SB_S9_S3_PS5_21rocsparse_index_base_SD_SD_SD_bbb ; -- Begin function _ZN9rocsparseL41csrgemm_numeric_fill_block_per_row_kernelILj1024ELj64ELj4096ELj137ELj32ElifEEvT5_PKS1_S3_NS_24const_host_device_scalarIT6_EEPKT4_S3_PKS5_S9_S3_SB_S6_S9_S3_SB_S9_S3_PS5_21rocsparse_index_base_SD_SD_SD_bbb
	.p2align	8
	.type	_ZN9rocsparseL41csrgemm_numeric_fill_block_per_row_kernelILj1024ELj64ELj4096ELj137ELj32ElifEEvT5_PKS1_S3_NS_24const_host_device_scalarIT6_EEPKT4_S3_PKS5_S9_S3_SB_S6_S9_S3_SB_S9_S3_PS5_21rocsparse_index_base_SD_SD_SD_bbb,@function
_ZN9rocsparseL41csrgemm_numeric_fill_block_per_row_kernelILj1024ELj64ELj4096ELj137ELj32ElifEEvT5_PKS1_S3_NS_24const_host_device_scalarIT6_EEPKT4_S3_PKS5_S9_S3_SB_S6_S9_S3_SB_S9_S3_PS5_21rocsparse_index_base_SD_SD_SD_bbb: ; @_ZN9rocsparseL41csrgemm_numeric_fill_block_per_row_kernelILj1024ELj64ELj4096ELj137ELj32ElifEEvT5_PKS1_S3_NS_24const_host_device_scalarIT6_EEPKT4_S3_PKS5_S9_S3_SB_S6_S9_S3_SB_S9_S3_PS5_21rocsparse_index_base_SD_SD_SD_bbb
; %bb.0:
	s_clause 0x3
	s_load_b32 s12, s[0:1], 0x98
	s_load_b128 s[44:47], s[0:1], 0x88
	s_load_b64 s[4:5], s[0:1], 0x18
	s_load_b64 s[2:3], s[0:1], 0x50
	s_waitcnt lgkmcnt(0)
	s_bitcmp1_b32 s12, 0
	s_cselect_b32 s13, -1, 0
	s_bitcmp1_b32 s12, 16
	s_cselect_b32 s14, -1, 0
	s_xor_b32 s6, s13, -1
	s_delay_alu instid0(SALU_CYCLE_1) | instskip(NEXT) | instid1(SALU_CYCLE_1)
	s_or_b32 s6, s6, s14
	s_and_b32 vcc_lo, exec_lo, s6
	s_cbranch_vccnz .LBB170_2
; %bb.1:
	s_load_b32 s4, s[4:5], 0x0
	s_waitcnt lgkmcnt(0)
	v_mov_b32_e32 v12, s4
	s_branch .LBB170_3
.LBB170_2:
	v_cndmask_b32_e64 v12, 0, s4, s13
.LBB170_3:
	s_clause 0x4
	s_load_b64 s[34:35], s[0:1], 0x80
	s_load_b256 s[36:43], s[0:1], 0x58
	s_load_b128 s[16:19], s[0:1], 0x40
	s_load_b128 s[20:23], s[0:1], 0x8
	s_load_b256 s[4:11], s[0:1], 0x20
	s_bitcmp1_b32 s12, 8
	s_cselect_b32 s12, -1, 0
	s_delay_alu instid0(SALU_CYCLE_1) | instskip(NEXT) | instid1(SALU_CYCLE_1)
	s_xor_b32 s24, s12, -1
	s_or_b32 s14, s24, s14
	s_delay_alu instid0(SALU_CYCLE_1)
	s_and_b32 vcc_lo, exec_lo, s14
	s_cbranch_vccnz .LBB170_5
; %bb.4:
	s_load_b32 s2, s[2:3], 0x0
	s_waitcnt lgkmcnt(0)
	v_mov_b32_e32 v11, s2
	s_branch .LBB170_6
.LBB170_5:
	v_cndmask_b32_e64 v11, 0, s2, s12
.LBB170_6:
	s_load_b32 s33, s[0:1], 0x0
	v_lshl_add_u32 v9, v0, 2, 0
	v_or_b32_e32 v10, 0xfffffc00, v0
	v_mov_b32_e32 v1, 0
	s_mov_b32 s0, 0
	s_delay_alu instid0(VALU_DEP_3)
	v_mov_b32_e32 v2, v9
	s_waitcnt lgkmcnt(0)
	v_dual_mov_b32 v4, v10 :: v_dual_mov_b32 v3, s33
.LBB170_7:                              ; =>This Inner Loop Header: Depth=1
	s_delay_alu instid0(VALU_DEP_1) | instskip(SKIP_4) | instid1(SALU_CYCLE_1)
	v_add_nc_u32_e32 v4, 0x400, v4
	ds_store_2addr_stride64_b32 v2, v3, v1 offset1:64
	v_add_nc_u32_e32 v2, 0x1000, v2
	v_cmp_lt_u32_e32 vcc_lo, 0xbff, v4
	s_or_b32 s0, vcc_lo, s0
	s_and_not1_b32 exec_lo, exec_lo, s0
	s_cbranch_execnz .LBB170_7
; %bb.8:
	s_or_b32 exec_lo, exec_lo, s0
	s_waitcnt lgkmcnt(0)
	s_barrier
	buffer_gl0_inv
	s_load_b32 s0, s[20:21], 0x0
	s_mov_b32 s1, 0
	s_waitcnt lgkmcnt(0)
	s_add_i32 s0, s0, s15
	s_delay_alu instid0(SALU_CYCLE_1) | instskip(NEXT) | instid1(SALU_CYCLE_1)
	s_lshl_b64 s[0:1], s[0:1], 2
	s_add_u32 s0, s22, s0
	s_addc_u32 s1, s23, s1
	s_and_b32 vcc_lo, exec_lo, s13
	s_load_b32 s48, s[0:1], 0x0
	s_cbranch_vccz .LBB170_28
; %bb.9:
	s_waitcnt lgkmcnt(0)
	s_ashr_i32 s49, s48, 31
	v_lshrrev_b32_e32 v1, 6, v0
	s_lshl_b64 s[0:1], s[48:49], 3
	s_delay_alu instid0(SALU_CYCLE_1) | instskip(SKIP_1) | instid1(VALU_DEP_1)
	s_add_u32 s0, s4, s0
	s_addc_u32 s1, s5, s1
	v_sub_co_u32 v1, s4, v1, s44
	s_load_b128 s[0:3], s[0:1], 0x0
	v_sub_co_ci_u32_e64 v2, null, 0, 0, s4
	s_waitcnt lgkmcnt(0)
	s_delay_alu instid0(VALU_DEP_2) | instskip(NEXT) | instid1(VALU_DEP_2)
	v_add_co_u32 v1, vcc_lo, s0, v1
	v_add_co_ci_u32_e32 v2, vcc_lo, s1, v2, vcc_lo
	s_sub_u32 s0, s2, s44
	s_subb_u32 s1, s3, 0
	s_mov_b32 s2, exec_lo
	s_delay_alu instid0(VALU_DEP_1)
	v_cmpx_gt_i64_e64 s[0:1], v[1:2]
	s_cbranch_execz .LBB170_27
; %bb.10:
	v_and_b32_e32 v3, 63, v0
	s_mov_b32 s4, s45
	s_delay_alu instid0(VALU_DEP_1) | instskip(NEXT) | instid1(VALU_DEP_1)
	v_sub_co_u32 v13, s3, v3, s45
	v_sub_co_ci_u32_e64 v14, null, 0, 0, s3
	s_mov_b32 s3, 0
	s_branch .LBB170_12
.LBB170_11:                             ;   in Loop: Header=BB170_12 Depth=1
	s_or_b32 exec_lo, exec_lo, s5
	v_add_co_u32 v1, vcc_lo, v1, 16
	v_add_co_ci_u32_e32 v2, vcc_lo, 0, v2, vcc_lo
	s_delay_alu instid0(VALU_DEP_1) | instskip(SKIP_1) | instid1(SALU_CYCLE_1)
	v_cmp_le_i64_e32 vcc_lo, s[0:1], v[1:2]
	s_or_b32 s3, vcc_lo, s3
	s_and_not1_b32 exec_lo, exec_lo, s3
	s_cbranch_execz .LBB170_27
.LBB170_12:                             ; =>This Loop Header: Depth=1
                                        ;     Child Loop BB170_15 Depth 2
                                        ;       Child Loop BB170_17 Depth 3
	v_lshlrev_b64 v[7:8], 2, v[1:2]
	s_mov_b32 s5, exec_lo
	s_delay_alu instid0(VALU_DEP_1) | instskip(NEXT) | instid1(VALU_DEP_2)
	v_add_co_u32 v3, vcc_lo, s6, v7
	v_add_co_ci_u32_e32 v4, vcc_lo, s7, v8, vcc_lo
	global_load_b32 v3, v[3:4], off
	s_waitcnt vmcnt(0)
	v_subrev_nc_u32_e32 v3, s44, v3
	s_delay_alu instid0(VALU_DEP_1) | instskip(NEXT) | instid1(VALU_DEP_1)
	v_ashrrev_i32_e32 v4, 31, v3
	v_lshlrev_b64 v[3:4], 3, v[3:4]
	s_delay_alu instid0(VALU_DEP_1) | instskip(NEXT) | instid1(VALU_DEP_2)
	v_add_co_u32 v3, vcc_lo, s10, v3
	v_add_co_ci_u32_e32 v4, vcc_lo, s11, v4, vcc_lo
	global_load_b128 v[15:18], v[3:4], off
	s_waitcnt vmcnt(0)
	v_sub_co_u32 v3, vcc_lo, v17, s4
	v_subrev_co_ci_u32_e32 v4, vcc_lo, 0, v18, vcc_lo
	v_add_co_u32 v5, vcc_lo, v15, v13
	v_add_co_ci_u32_e32 v6, vcc_lo, v16, v14, vcc_lo
	s_delay_alu instid0(VALU_DEP_1)
	v_cmpx_lt_i64_e64 v[5:6], v[3:4]
	s_cbranch_execz .LBB170_11
; %bb.13:                               ;   in Loop: Header=BB170_12 Depth=1
	v_add_co_u32 v7, vcc_lo, s8, v7
	v_add_co_ci_u32_e32 v8, vcc_lo, s9, v8, vcc_lo
	s_mov_b32 s13, 0
	global_load_b32 v7, v[7:8], off
	s_waitcnt vmcnt(0)
	v_mul_f32_e32 v7, v12, v7
	s_branch .LBB170_15
.LBB170_14:                             ;   in Loop: Header=BB170_15 Depth=2
	s_or_b32 exec_lo, exec_lo, s14
	v_add_co_u32 v5, vcc_lo, v5, 64
	v_add_co_ci_u32_e32 v6, vcc_lo, 0, v6, vcc_lo
	s_delay_alu instid0(VALU_DEP_1) | instskip(SKIP_1) | instid1(SALU_CYCLE_1)
	v_cmp_ge_i64_e32 vcc_lo, v[5:6], v[3:4]
	s_or_b32 s13, vcc_lo, s13
	s_and_not1_b32 exec_lo, exec_lo, s13
	s_cbranch_execz .LBB170_11
.LBB170_15:                             ;   Parent Loop BB170_12 Depth=1
                                        ; =>  This Loop Header: Depth=2
                                        ;       Child Loop BB170_17 Depth 3
	v_lshlrev_b64 v[15:16], 2, v[5:6]
	s_mov_b32 s14, 0
	s_delay_alu instid0(VALU_DEP_1) | instskip(NEXT) | instid1(VALU_DEP_2)
	v_add_co_u32 v17, vcc_lo, s16, v15
	v_add_co_ci_u32_e32 v18, vcc_lo, s17, v16, vcc_lo
	v_add_co_u32 v15, vcc_lo, s18, v15
	v_add_co_ci_u32_e32 v16, vcc_lo, s19, v16, vcc_lo
	global_load_b32 v8, v[17:18], off
	global_load_b32 v15, v[15:16], off
	s_waitcnt vmcnt(1)
	v_subrev_nc_u32_e32 v8, s45, v8
	s_delay_alu instid0(VALU_DEP_1) | instskip(SKIP_1) | instid1(VALU_DEP_1)
	v_mul_lo_u32 v16, 0x89, v8
	s_waitcnt vmcnt(0)
	v_dual_mul_f32 v15, v7, v15 :: v_dual_and_b32 v16, 0xfff, v16
	s_branch .LBB170_17
.LBB170_16:                             ;   in Loop: Header=BB170_17 Depth=3
	s_or_b32 exec_lo, exec_lo, s15
	s_xor_b32 s15, s20, -1
	s_delay_alu instid0(SALU_CYCLE_1) | instskip(NEXT) | instid1(SALU_CYCLE_1)
	s_and_b32 s15, exec_lo, s15
	s_or_b32 s14, s15, s14
	s_delay_alu instid0(SALU_CYCLE_1)
	s_and_not1_b32 exec_lo, exec_lo, s14
	s_cbranch_execz .LBB170_14
.LBB170_17:                             ;   Parent Loop BB170_12 Depth=1
                                        ;     Parent Loop BB170_15 Depth=2
                                        ; =>    This Inner Loop Header: Depth=3
	s_delay_alu instid0(VALU_DEP_1)
	v_lshl_add_u32 v17, v16, 2, 0
	s_mov_b32 s15, exec_lo
                                        ; implicit-def: $sgpr20
	ds_load_b32 v18, v17
	s_waitcnt lgkmcnt(0)
	v_cmpx_ne_u32_e64 v18, v8
	s_xor_b32 s15, exec_lo, s15
	s_cbranch_execz .LBB170_25
; %bb.18:                               ;   in Loop: Header=BB170_17 Depth=3
	s_mov_b32 s21, exec_lo
                                        ; implicit-def: $sgpr20
	v_cmpx_ne_u32_e64 s33, v18
	s_xor_b32 s21, exec_lo, s21
; %bb.19:                               ;   in Loop: Header=BB170_17 Depth=3
	v_add_nc_u32_e32 v16, 1, v16
	s_mov_b32 s20, -1
                                        ; implicit-def: $vgpr17
	s_delay_alu instid0(VALU_DEP_1)
	v_and_b32_e32 v16, 0xfff, v16
; %bb.20:                               ;   in Loop: Header=BB170_17 Depth=3
	s_and_not1_saveexec_b32 s21, s21
	s_cbranch_execz .LBB170_24
; %bb.21:                               ;   in Loop: Header=BB170_17 Depth=3
	v_mov_b32_e32 v18, s33
	s_mov_b32 s22, -1
	s_mov_b32 s23, exec_lo
	ds_cmpstore_rtn_b32 v18, v17, v8, v18
	s_waitcnt lgkmcnt(0)
	v_cmpx_eq_u32_e64 s33, v18
	s_cbranch_execz .LBB170_23
; %bb.22:                               ;   in Loop: Header=BB170_17 Depth=3
	ds_add_f32 v17, v15 offset:16384
	s_xor_b32 s22, exec_lo, -1
.LBB170_23:                             ;   in Loop: Header=BB170_17 Depth=3
	s_or_b32 exec_lo, exec_lo, s23
	s_delay_alu instid0(SALU_CYCLE_1) | instskip(SKIP_1) | instid1(SALU_CYCLE_1)
	s_and_not1_b32 s20, s20, exec_lo
	s_and_b32 s22, s22, exec_lo
	s_or_b32 s20, s20, s22
.LBB170_24:                             ;   in Loop: Header=BB170_17 Depth=3
	s_or_b32 exec_lo, exec_lo, s21
	s_delay_alu instid0(SALU_CYCLE_1)
	s_and_b32 s20, s20, exec_lo
                                        ; implicit-def: $vgpr17
.LBB170_25:                             ;   in Loop: Header=BB170_17 Depth=3
	s_and_not1_saveexec_b32 s15, s15
	s_cbranch_execz .LBB170_16
; %bb.26:                               ;   in Loop: Header=BB170_17 Depth=3
	ds_add_f32 v17, v15 offset:16384
	s_and_not1_b32 s20, s20, exec_lo
	s_branch .LBB170_16
.LBB170_27:
	s_or_b32 exec_lo, exec_lo, s2
.LBB170_28:
	s_delay_alu instid0(SALU_CYCLE_1)
	s_and_not1_b32 vcc_lo, exec_lo, s12
	s_cbranch_vccnz .LBB170_31
; %bb.29:
	s_waitcnt lgkmcnt(0)
	s_ashr_i32 s49, s48, 31
	v_sub_co_u32 v1, s4, v0, s47
	s_lshl_b64 s[0:1], s[48:49], 3
	v_sub_co_ci_u32_e64 v2, null, 0, 0, s4
	s_add_u32 s0, s36, s0
	s_addc_u32 s1, s37, s1
	s_load_b128 s[0:3], s[0:1], 0x0
	s_waitcnt lgkmcnt(0)
	v_add_co_u32 v1, vcc_lo, s0, v1
	v_add_co_ci_u32_e32 v2, vcc_lo, s1, v2, vcc_lo
	s_sub_u32 s0, s2, s47
	s_subb_u32 s1, s3, 0
	s_mov_b32 s3, 0
	s_mov_b32 s2, exec_lo
	v_cmpx_gt_i64_e64 s[0:1], v[1:2]
	s_cbranch_execnz .LBB170_100
.LBB170_30:
	s_or_b32 exec_lo, exec_lo, s2
.LBB170_31:
	v_mbcnt_lo_u32_b32 v1, -1, 0
	v_lshrrev_b32_e32 v2, 3, v0
	v_cmp_eq_u32_e32 vcc_lo, 0x3ff, v0
	v_cmp_lt_u32_e64 s0, 31, v0
	v_cmp_lt_u32_e64 s1, 63, v0
	v_xor_b32_e32 v1, 63, v1
	v_dual_mov_b32 v6, 0 :: v_dual_and_b32 v3, 0x7c, v2
	v_cmp_lt_u32_e64 s2, 0x5f, v0
	v_cmp_lt_u32_e64 s3, 0x7f, v0
	s_delay_alu instid0(VALU_DEP_4) | instskip(NEXT) | instid1(VALU_DEP_4)
	v_lshrrev_b64 v[1:2], v1, -1
	v_dual_mov_b32 v5, 0 :: v_dual_add_nc_u32 v4, 0, v3
	v_cmp_lt_u32_e64 s4, 0x9f, v0
	v_cmp_lt_u32_e64 s5, 0xbf, v0
	;; [unrolled: 1-line block ×27, first 2 shown]
	s_mov_b32 s36, 0
	s_waitcnt lgkmcnt(0)
	s_barrier
	buffer_gl0_inv
	s_branch .LBB170_33
.LBB170_32:                             ;   in Loop: Header=BB170_33 Depth=1
	s_or_b32 exec_lo, exec_lo, s31
	s_waitcnt lgkmcnt(0)
	s_barrier
	buffer_gl0_inv
	ds_load_b32 v2, v5 offset:32892
	v_add_nc_u32_e32 v10, 0x400, v10
	v_add_nc_u32_e32 v9, 0x1000, v9
	s_delay_alu instid0(VALU_DEP_2) | instskip(NEXT) | instid1(VALU_DEP_1)
	v_cmp_lt_u32_e64 s31, 0xbff, v10
	s_or_b32 s36, s31, s36
	s_waitcnt lgkmcnt(0)
	v_add_nc_u32_e32 v6, v2, v6
	s_and_not1_b32 exec_lo, exec_lo, s36
	s_cbranch_execz .LBB170_112
.LBB170_33:                             ; =>This Inner Loop Header: Depth=1
	ds_load_2addr_stride64_b32 v[2:3], v9 offset1:64
	s_waitcnt lgkmcnt(0)
	s_barrier
	buffer_gl0_inv
	v_cmp_gt_i32_e64 s31, s33, v2
	s_delay_alu instid0(VALU_DEP_1) | instskip(NEXT) | instid1(SALU_CYCLE_1)
	s_bcnt1_i32_b32 s37, s31
	v_dual_mov_b32 v8, s37 :: v_dual_and_b32 v7, s31, v1
	s_delay_alu instid0(VALU_DEP_1)
	v_bcnt_u32_b32 v7, v7, 0
	ds_store_b32 v4, v8 offset:32768
	s_waitcnt lgkmcnt(0)
	s_barrier
	buffer_gl0_inv
	s_and_saveexec_b32 s37, s0
	s_cbranch_execnz .LBB170_66
; %bb.34:                               ;   in Loop: Header=BB170_33 Depth=1
	s_or_b32 exec_lo, exec_lo, s37
	s_and_saveexec_b32 s37, s1
	s_cbranch_execnz .LBB170_67
.LBB170_35:                             ;   in Loop: Header=BB170_33 Depth=1
	s_or_b32 exec_lo, exec_lo, s37
	s_and_saveexec_b32 s37, s2
	s_cbranch_execnz .LBB170_68
.LBB170_36:                             ;   in Loop: Header=BB170_33 Depth=1
	s_or_b32 exec_lo, exec_lo, s37
	s_and_saveexec_b32 s37, s3
	s_cbranch_execnz .LBB170_69
.LBB170_37:                             ;   in Loop: Header=BB170_33 Depth=1
	s_or_b32 exec_lo, exec_lo, s37
	s_and_saveexec_b32 s37, s4
	s_cbranch_execnz .LBB170_70
.LBB170_38:                             ;   in Loop: Header=BB170_33 Depth=1
	s_or_b32 exec_lo, exec_lo, s37
	s_and_saveexec_b32 s37, s5
	s_cbranch_execnz .LBB170_71
.LBB170_39:                             ;   in Loop: Header=BB170_33 Depth=1
	s_or_b32 exec_lo, exec_lo, s37
	s_and_saveexec_b32 s37, s6
	s_cbranch_execnz .LBB170_72
.LBB170_40:                             ;   in Loop: Header=BB170_33 Depth=1
	s_or_b32 exec_lo, exec_lo, s37
	s_and_saveexec_b32 s37, s7
	s_cbranch_execnz .LBB170_73
.LBB170_41:                             ;   in Loop: Header=BB170_33 Depth=1
	s_or_b32 exec_lo, exec_lo, s37
	s_and_saveexec_b32 s37, s8
	s_cbranch_execnz .LBB170_74
.LBB170_42:                             ;   in Loop: Header=BB170_33 Depth=1
	s_or_b32 exec_lo, exec_lo, s37
	s_and_saveexec_b32 s37, s9
	s_cbranch_execnz .LBB170_75
.LBB170_43:                             ;   in Loop: Header=BB170_33 Depth=1
	s_or_b32 exec_lo, exec_lo, s37
	s_and_saveexec_b32 s37, s10
	s_cbranch_execnz .LBB170_76
.LBB170_44:                             ;   in Loop: Header=BB170_33 Depth=1
	s_or_b32 exec_lo, exec_lo, s37
	s_and_saveexec_b32 s37, s11
	s_cbranch_execnz .LBB170_77
.LBB170_45:                             ;   in Loop: Header=BB170_33 Depth=1
	s_or_b32 exec_lo, exec_lo, s37
	s_and_saveexec_b32 s37, s12
	s_cbranch_execnz .LBB170_78
.LBB170_46:                             ;   in Loop: Header=BB170_33 Depth=1
	s_or_b32 exec_lo, exec_lo, s37
	s_and_saveexec_b32 s37, s13
	s_cbranch_execnz .LBB170_79
.LBB170_47:                             ;   in Loop: Header=BB170_33 Depth=1
	s_or_b32 exec_lo, exec_lo, s37
	s_and_saveexec_b32 s37, s14
	s_cbranch_execnz .LBB170_80
.LBB170_48:                             ;   in Loop: Header=BB170_33 Depth=1
	s_or_b32 exec_lo, exec_lo, s37
	s_and_saveexec_b32 s37, s15
	s_cbranch_execnz .LBB170_81
.LBB170_49:                             ;   in Loop: Header=BB170_33 Depth=1
	s_or_b32 exec_lo, exec_lo, s37
	s_and_saveexec_b32 s37, s16
	s_cbranch_execnz .LBB170_82
.LBB170_50:                             ;   in Loop: Header=BB170_33 Depth=1
	s_or_b32 exec_lo, exec_lo, s37
	s_and_saveexec_b32 s37, s17
	s_cbranch_execnz .LBB170_83
.LBB170_51:                             ;   in Loop: Header=BB170_33 Depth=1
	s_or_b32 exec_lo, exec_lo, s37
	s_and_saveexec_b32 s37, s18
	s_cbranch_execnz .LBB170_84
.LBB170_52:                             ;   in Loop: Header=BB170_33 Depth=1
	s_or_b32 exec_lo, exec_lo, s37
	s_and_saveexec_b32 s37, s19
	s_cbranch_execnz .LBB170_85
.LBB170_53:                             ;   in Loop: Header=BB170_33 Depth=1
	s_or_b32 exec_lo, exec_lo, s37
	s_and_saveexec_b32 s37, s20
	s_cbranch_execnz .LBB170_86
.LBB170_54:                             ;   in Loop: Header=BB170_33 Depth=1
	s_or_b32 exec_lo, exec_lo, s37
	s_and_saveexec_b32 s37, s21
	s_cbranch_execnz .LBB170_87
.LBB170_55:                             ;   in Loop: Header=BB170_33 Depth=1
	s_or_b32 exec_lo, exec_lo, s37
	s_and_saveexec_b32 s37, s22
	s_cbranch_execnz .LBB170_88
.LBB170_56:                             ;   in Loop: Header=BB170_33 Depth=1
	s_or_b32 exec_lo, exec_lo, s37
	s_and_saveexec_b32 s37, s23
	s_cbranch_execnz .LBB170_89
.LBB170_57:                             ;   in Loop: Header=BB170_33 Depth=1
	s_or_b32 exec_lo, exec_lo, s37
	s_and_saveexec_b32 s37, s24
	s_cbranch_execnz .LBB170_90
.LBB170_58:                             ;   in Loop: Header=BB170_33 Depth=1
	s_or_b32 exec_lo, exec_lo, s37
	s_and_saveexec_b32 s37, s25
	s_cbranch_execnz .LBB170_91
.LBB170_59:                             ;   in Loop: Header=BB170_33 Depth=1
	s_or_b32 exec_lo, exec_lo, s37
	s_and_saveexec_b32 s37, s26
	s_cbranch_execnz .LBB170_92
.LBB170_60:                             ;   in Loop: Header=BB170_33 Depth=1
	s_or_b32 exec_lo, exec_lo, s37
	s_and_saveexec_b32 s37, s27
	s_cbranch_execnz .LBB170_93
.LBB170_61:                             ;   in Loop: Header=BB170_33 Depth=1
	s_or_b32 exec_lo, exec_lo, s37
	s_and_saveexec_b32 s37, s28
	s_cbranch_execnz .LBB170_94
.LBB170_62:                             ;   in Loop: Header=BB170_33 Depth=1
	s_or_b32 exec_lo, exec_lo, s37
	s_and_saveexec_b32 s37, s29
	s_cbranch_execnz .LBB170_95
.LBB170_63:                             ;   in Loop: Header=BB170_33 Depth=1
	s_or_b32 exec_lo, exec_lo, s37
	s_and_saveexec_b32 s37, s30
	s_cbranch_execnz .LBB170_96
.LBB170_64:                             ;   in Loop: Header=BB170_33 Depth=1
	s_or_b32 exec_lo, exec_lo, s37
	s_and_saveexec_b32 s37, s31
	s_cbranch_execnz .LBB170_97
.LBB170_65:                             ;   in Loop: Header=BB170_33 Depth=1
	s_or_b32 exec_lo, exec_lo, s37
	s_and_saveexec_b32 s31, vcc_lo
	s_cbranch_execz .LBB170_32
	s_branch .LBB170_98
.LBB170_66:                             ;   in Loop: Header=BB170_33 Depth=1
	ds_load_b32 v8, v5 offset:32768
	s_waitcnt lgkmcnt(0)
	v_add_nc_u32_e32 v7, v8, v7
	s_or_b32 exec_lo, exec_lo, s37
	s_and_saveexec_b32 s37, s1
	s_cbranch_execz .LBB170_35
.LBB170_67:                             ;   in Loop: Header=BB170_33 Depth=1
	ds_load_b32 v8, v5 offset:32772
	s_waitcnt lgkmcnt(0)
	v_add_nc_u32_e32 v7, v8, v7
	s_or_b32 exec_lo, exec_lo, s37
	s_and_saveexec_b32 s37, s2
	s_cbranch_execz .LBB170_36
.LBB170_68:                             ;   in Loop: Header=BB170_33 Depth=1
	ds_load_b32 v8, v5 offset:32776
	s_waitcnt lgkmcnt(0)
	v_add_nc_u32_e32 v7, v8, v7
	s_or_b32 exec_lo, exec_lo, s37
	s_and_saveexec_b32 s37, s3
	s_cbranch_execz .LBB170_37
.LBB170_69:                             ;   in Loop: Header=BB170_33 Depth=1
	ds_load_b32 v8, v5 offset:32780
	s_waitcnt lgkmcnt(0)
	v_add_nc_u32_e32 v7, v8, v7
	s_or_b32 exec_lo, exec_lo, s37
	s_and_saveexec_b32 s37, s4
	s_cbranch_execz .LBB170_38
.LBB170_70:                             ;   in Loop: Header=BB170_33 Depth=1
	ds_load_b32 v8, v5 offset:32784
	s_waitcnt lgkmcnt(0)
	v_add_nc_u32_e32 v7, v8, v7
	s_or_b32 exec_lo, exec_lo, s37
	s_and_saveexec_b32 s37, s5
	s_cbranch_execz .LBB170_39
.LBB170_71:                             ;   in Loop: Header=BB170_33 Depth=1
	ds_load_b32 v8, v5 offset:32788
	s_waitcnt lgkmcnt(0)
	v_add_nc_u32_e32 v7, v8, v7
	s_or_b32 exec_lo, exec_lo, s37
	s_and_saveexec_b32 s37, s6
	s_cbranch_execz .LBB170_40
.LBB170_72:                             ;   in Loop: Header=BB170_33 Depth=1
	ds_load_b32 v8, v5 offset:32792
	s_waitcnt lgkmcnt(0)
	v_add_nc_u32_e32 v7, v8, v7
	s_or_b32 exec_lo, exec_lo, s37
	s_and_saveexec_b32 s37, s7
	s_cbranch_execz .LBB170_41
.LBB170_73:                             ;   in Loop: Header=BB170_33 Depth=1
	ds_load_b32 v8, v5 offset:32796
	s_waitcnt lgkmcnt(0)
	v_add_nc_u32_e32 v7, v8, v7
	s_or_b32 exec_lo, exec_lo, s37
	s_and_saveexec_b32 s37, s8
	s_cbranch_execz .LBB170_42
.LBB170_74:                             ;   in Loop: Header=BB170_33 Depth=1
	ds_load_b32 v8, v5 offset:32800
	s_waitcnt lgkmcnt(0)
	v_add_nc_u32_e32 v7, v8, v7
	s_or_b32 exec_lo, exec_lo, s37
	s_and_saveexec_b32 s37, s9
	s_cbranch_execz .LBB170_43
.LBB170_75:                             ;   in Loop: Header=BB170_33 Depth=1
	ds_load_b32 v8, v5 offset:32804
	s_waitcnt lgkmcnt(0)
	v_add_nc_u32_e32 v7, v8, v7
	s_or_b32 exec_lo, exec_lo, s37
	s_and_saveexec_b32 s37, s10
	s_cbranch_execz .LBB170_44
.LBB170_76:                             ;   in Loop: Header=BB170_33 Depth=1
	ds_load_b32 v8, v5 offset:32808
	s_waitcnt lgkmcnt(0)
	v_add_nc_u32_e32 v7, v8, v7
	s_or_b32 exec_lo, exec_lo, s37
	s_and_saveexec_b32 s37, s11
	s_cbranch_execz .LBB170_45
.LBB170_77:                             ;   in Loop: Header=BB170_33 Depth=1
	ds_load_b32 v8, v5 offset:32812
	s_waitcnt lgkmcnt(0)
	v_add_nc_u32_e32 v7, v8, v7
	s_or_b32 exec_lo, exec_lo, s37
	s_and_saveexec_b32 s37, s12
	s_cbranch_execz .LBB170_46
.LBB170_78:                             ;   in Loop: Header=BB170_33 Depth=1
	ds_load_b32 v8, v5 offset:32816
	s_waitcnt lgkmcnt(0)
	v_add_nc_u32_e32 v7, v8, v7
	s_or_b32 exec_lo, exec_lo, s37
	s_and_saveexec_b32 s37, s13
	s_cbranch_execz .LBB170_47
.LBB170_79:                             ;   in Loop: Header=BB170_33 Depth=1
	ds_load_b32 v8, v5 offset:32820
	s_waitcnt lgkmcnt(0)
	v_add_nc_u32_e32 v7, v8, v7
	s_or_b32 exec_lo, exec_lo, s37
	s_and_saveexec_b32 s37, s14
	s_cbranch_execz .LBB170_48
.LBB170_80:                             ;   in Loop: Header=BB170_33 Depth=1
	ds_load_b32 v8, v5 offset:32824
	s_waitcnt lgkmcnt(0)
	v_add_nc_u32_e32 v7, v8, v7
	s_or_b32 exec_lo, exec_lo, s37
	s_and_saveexec_b32 s37, s15
	s_cbranch_execz .LBB170_49
.LBB170_81:                             ;   in Loop: Header=BB170_33 Depth=1
	ds_load_b32 v8, v5 offset:32828
	s_waitcnt lgkmcnt(0)
	v_add_nc_u32_e32 v7, v8, v7
	s_or_b32 exec_lo, exec_lo, s37
	s_and_saveexec_b32 s37, s16
	s_cbranch_execz .LBB170_50
.LBB170_82:                             ;   in Loop: Header=BB170_33 Depth=1
	ds_load_b32 v8, v5 offset:32832
	s_waitcnt lgkmcnt(0)
	v_add_nc_u32_e32 v7, v8, v7
	s_or_b32 exec_lo, exec_lo, s37
	s_and_saveexec_b32 s37, s17
	s_cbranch_execz .LBB170_51
.LBB170_83:                             ;   in Loop: Header=BB170_33 Depth=1
	ds_load_b32 v8, v5 offset:32836
	s_waitcnt lgkmcnt(0)
	v_add_nc_u32_e32 v7, v8, v7
	s_or_b32 exec_lo, exec_lo, s37
	s_and_saveexec_b32 s37, s18
	s_cbranch_execz .LBB170_52
.LBB170_84:                             ;   in Loop: Header=BB170_33 Depth=1
	ds_load_b32 v8, v5 offset:32840
	s_waitcnt lgkmcnt(0)
	v_add_nc_u32_e32 v7, v8, v7
	s_or_b32 exec_lo, exec_lo, s37
	s_and_saveexec_b32 s37, s19
	s_cbranch_execz .LBB170_53
.LBB170_85:                             ;   in Loop: Header=BB170_33 Depth=1
	ds_load_b32 v8, v5 offset:32844
	s_waitcnt lgkmcnt(0)
	v_add_nc_u32_e32 v7, v8, v7
	s_or_b32 exec_lo, exec_lo, s37
	s_and_saveexec_b32 s37, s20
	s_cbranch_execz .LBB170_54
.LBB170_86:                             ;   in Loop: Header=BB170_33 Depth=1
	ds_load_b32 v8, v5 offset:32848
	s_waitcnt lgkmcnt(0)
	v_add_nc_u32_e32 v7, v8, v7
	s_or_b32 exec_lo, exec_lo, s37
	s_and_saveexec_b32 s37, s21
	s_cbranch_execz .LBB170_55
.LBB170_87:                             ;   in Loop: Header=BB170_33 Depth=1
	ds_load_b32 v8, v5 offset:32852
	s_waitcnt lgkmcnt(0)
	v_add_nc_u32_e32 v7, v8, v7
	s_or_b32 exec_lo, exec_lo, s37
	s_and_saveexec_b32 s37, s22
	s_cbranch_execz .LBB170_56
.LBB170_88:                             ;   in Loop: Header=BB170_33 Depth=1
	ds_load_b32 v8, v5 offset:32856
	s_waitcnt lgkmcnt(0)
	v_add_nc_u32_e32 v7, v8, v7
	s_or_b32 exec_lo, exec_lo, s37
	s_and_saveexec_b32 s37, s23
	s_cbranch_execz .LBB170_57
.LBB170_89:                             ;   in Loop: Header=BB170_33 Depth=1
	ds_load_b32 v8, v5 offset:32860
	s_waitcnt lgkmcnt(0)
	v_add_nc_u32_e32 v7, v8, v7
	s_or_b32 exec_lo, exec_lo, s37
	s_and_saveexec_b32 s37, s24
	s_cbranch_execz .LBB170_58
.LBB170_90:                             ;   in Loop: Header=BB170_33 Depth=1
	ds_load_b32 v8, v5 offset:32864
	s_waitcnt lgkmcnt(0)
	v_add_nc_u32_e32 v7, v8, v7
	s_or_b32 exec_lo, exec_lo, s37
	s_and_saveexec_b32 s37, s25
	s_cbranch_execz .LBB170_59
.LBB170_91:                             ;   in Loop: Header=BB170_33 Depth=1
	ds_load_b32 v8, v5 offset:32868
	s_waitcnt lgkmcnt(0)
	v_add_nc_u32_e32 v7, v8, v7
	s_or_b32 exec_lo, exec_lo, s37
	s_and_saveexec_b32 s37, s26
	s_cbranch_execz .LBB170_60
.LBB170_92:                             ;   in Loop: Header=BB170_33 Depth=1
	ds_load_b32 v8, v5 offset:32872
	s_waitcnt lgkmcnt(0)
	v_add_nc_u32_e32 v7, v8, v7
	s_or_b32 exec_lo, exec_lo, s37
	s_and_saveexec_b32 s37, s27
	s_cbranch_execz .LBB170_61
.LBB170_93:                             ;   in Loop: Header=BB170_33 Depth=1
	ds_load_b32 v8, v5 offset:32876
	s_waitcnt lgkmcnt(0)
	v_add_nc_u32_e32 v7, v8, v7
	s_or_b32 exec_lo, exec_lo, s37
	s_and_saveexec_b32 s37, s28
	s_cbranch_execz .LBB170_62
.LBB170_94:                             ;   in Loop: Header=BB170_33 Depth=1
	ds_load_b32 v8, v5 offset:32880
	s_waitcnt lgkmcnt(0)
	v_add_nc_u32_e32 v7, v8, v7
	s_or_b32 exec_lo, exec_lo, s37
	s_and_saveexec_b32 s37, s29
	s_cbranch_execz .LBB170_63
.LBB170_95:                             ;   in Loop: Header=BB170_33 Depth=1
	ds_load_b32 v8, v5 offset:32884
	s_waitcnt lgkmcnt(0)
	v_add_nc_u32_e32 v7, v8, v7
	s_or_b32 exec_lo, exec_lo, s37
	s_and_saveexec_b32 s37, s30
	s_cbranch_execz .LBB170_64
.LBB170_96:                             ;   in Loop: Header=BB170_33 Depth=1
	ds_load_b32 v8, v5 offset:32888
	s_waitcnt lgkmcnt(0)
	v_add_nc_u32_e32 v7, v8, v7
	s_or_b32 exec_lo, exec_lo, s37
	s_and_saveexec_b32 s37, s31
	s_cbranch_execz .LBB170_65
.LBB170_97:                             ;   in Loop: Header=BB170_33 Depth=1
	s_delay_alu instid0(VALU_DEP_1) | instskip(NEXT) | instid1(VALU_DEP_1)
	v_add3_u32 v8, v6, -1, v7
	v_lshl_add_u32 v8, v8, 2, 0
	ds_store_2addr_stride64_b32 v8, v2, v3 offset1:64
	s_or_b32 exec_lo, exec_lo, s37
	s_and_saveexec_b32 s31, vcc_lo
	s_cbranch_execz .LBB170_32
.LBB170_98:                             ;   in Loop: Header=BB170_33 Depth=1
	ds_store_b32 v5, v7 offset:32892
	s_branch .LBB170_32
.LBB170_99:                             ;   in Loop: Header=BB170_100 Depth=1
	s_or_b32 exec_lo, exec_lo, s4
	v_add_co_u32 v1, vcc_lo, 0x400, v1
	v_add_co_ci_u32_e32 v2, vcc_lo, 0, v2, vcc_lo
	s_delay_alu instid0(VALU_DEP_1) | instskip(SKIP_1) | instid1(SALU_CYCLE_1)
	v_cmp_le_i64_e32 vcc_lo, s[0:1], v[1:2]
	s_or_b32 s3, vcc_lo, s3
	s_and_not1_b32 exec_lo, exec_lo, s3
	s_cbranch_execz .LBB170_30
.LBB170_100:                            ; =>This Loop Header: Depth=1
                                        ;     Child Loop BB170_102 Depth 2
	v_lshlrev_b64 v[3:4], 2, v[1:2]
	s_mov_b32 s4, 0
	s_delay_alu instid0(VALU_DEP_1) | instskip(NEXT) | instid1(VALU_DEP_2)
	v_add_co_u32 v5, vcc_lo, s38, v3
	v_add_co_ci_u32_e32 v6, vcc_lo, s39, v4, vcc_lo
	v_add_co_u32 v3, vcc_lo, s40, v3
	v_add_co_ci_u32_e32 v4, vcc_lo, s41, v4, vcc_lo
	global_load_b32 v5, v[5:6], off
	global_load_b32 v4, v[3:4], off
	s_waitcnt vmcnt(1)
	v_subrev_nc_u32_e32 v3, s47, v5
	s_delay_alu instid0(VALU_DEP_1) | instskip(SKIP_1) | instid1(VALU_DEP_1)
	v_mul_lo_u32 v5, 0x89, v3
	s_waitcnt vmcnt(0)
	v_dual_mul_f32 v4, v11, v4 :: v_dual_and_b32 v5, 0xfff, v5
	s_branch .LBB170_102
.LBB170_101:                            ;   in Loop: Header=BB170_102 Depth=2
	s_or_b32 exec_lo, exec_lo, s5
	s_xor_b32 s5, s6, -1
	s_delay_alu instid0(SALU_CYCLE_1) | instskip(NEXT) | instid1(SALU_CYCLE_1)
	s_and_b32 s5, exec_lo, s5
	s_or_b32 s4, s5, s4
	s_delay_alu instid0(SALU_CYCLE_1)
	s_and_not1_b32 exec_lo, exec_lo, s4
	s_cbranch_execz .LBB170_99
.LBB170_102:                            ;   Parent Loop BB170_100 Depth=1
                                        ; =>  This Inner Loop Header: Depth=2
	s_delay_alu instid0(VALU_DEP_1)
	v_lshl_add_u32 v6, v5, 2, 0
	s_mov_b32 s5, exec_lo
                                        ; implicit-def: $sgpr6
	ds_load_b32 v7, v6
	s_waitcnt lgkmcnt(0)
	v_cmpx_ne_u32_e64 v7, v3
	s_xor_b32 s5, exec_lo, s5
	s_cbranch_execz .LBB170_110
; %bb.103:                              ;   in Loop: Header=BB170_102 Depth=2
	s_mov_b32 s7, exec_lo
                                        ; implicit-def: $sgpr6
	v_cmpx_ne_u32_e64 s33, v7
	s_xor_b32 s7, exec_lo, s7
; %bb.104:                              ;   in Loop: Header=BB170_102 Depth=2
	v_add_nc_u32_e32 v5, 1, v5
	s_mov_b32 s6, -1
                                        ; implicit-def: $vgpr6
	s_delay_alu instid0(VALU_DEP_1)
	v_and_b32_e32 v5, 0xfff, v5
; %bb.105:                              ;   in Loop: Header=BB170_102 Depth=2
	s_and_not1_saveexec_b32 s7, s7
	s_cbranch_execz .LBB170_109
; %bb.106:                              ;   in Loop: Header=BB170_102 Depth=2
	v_mov_b32_e32 v7, s33
	s_mov_b32 s8, -1
	s_mov_b32 s9, exec_lo
	ds_cmpstore_rtn_b32 v7, v6, v3, v7
	s_waitcnt lgkmcnt(0)
	v_cmpx_eq_u32_e64 s33, v7
	s_cbranch_execz .LBB170_108
; %bb.107:                              ;   in Loop: Header=BB170_102 Depth=2
	ds_add_f32 v6, v4 offset:16384
	s_xor_b32 s8, exec_lo, -1
.LBB170_108:                            ;   in Loop: Header=BB170_102 Depth=2
	s_or_b32 exec_lo, exec_lo, s9
	s_delay_alu instid0(SALU_CYCLE_1) | instskip(SKIP_1) | instid1(SALU_CYCLE_1)
	s_and_not1_b32 s6, s6, exec_lo
	s_and_b32 s8, s8, exec_lo
	s_or_b32 s6, s6, s8
.LBB170_109:                            ;   in Loop: Header=BB170_102 Depth=2
	s_or_b32 exec_lo, exec_lo, s7
	s_delay_alu instid0(SALU_CYCLE_1)
	s_and_b32 s6, s6, exec_lo
                                        ; implicit-def: $vgpr6
.LBB170_110:                            ;   in Loop: Header=BB170_102 Depth=2
	s_and_not1_saveexec_b32 s5, s5
	s_cbranch_execz .LBB170_101
; %bb.111:                              ;   in Loop: Header=BB170_102 Depth=2
	ds_add_f32 v6, v4 offset:16384
	s_and_not1_b32 s6, s6, exec_lo
	s_branch .LBB170_101
.LBB170_112:
	s_or_b32 exec_lo, exec_lo, s36
	s_ashr_i32 s49, s48, 31
	s_mov_b32 s4, exec_lo
	s_lshl_b64 s[0:1], s[48:49], 3
	s_delay_alu instid0(SALU_CYCLE_1) | instskip(SKIP_4) | instid1(SALU_CYCLE_1)
	s_add_u32 s0, s42, s0
	s_addc_u32 s1, s43, s1
	s_load_b128 s[0:3], s[0:1], 0x0
	s_waitcnt lgkmcnt(0)
	s_sub_i32 s3, s2, s0
	v_cmpx_gt_i32_e64 s3, v0
	s_cbranch_execz .LBB170_122
; %bb.113:
	s_sub_u32 s4, s0, s46
	s_subb_u32 s5, s1, 0
	s_sub_i32 s0, s0, s2
	s_and_b32 s1, s3, 7
	s_cmp_lt_u32 s0, -7
	s_mov_b32 s8, 0
	s_cselect_b32 s2, -1, 0
	s_and_b32 s6, s3, -8
	s_cmp_lg_u32 s1, 0
	s_cselect_b32 s7, -1, 0
	s_branch .LBB170_115
.LBB170_114:                            ;   in Loop: Header=BB170_115 Depth=1
	s_delay_alu instid0(VALU_DEP_1) | instskip(SKIP_1) | instid1(VALU_DEP_1)
	v_lshlrev_b64 v[3:4], 2, v[3:4]
	v_add_nc_u32_e32 v0, 0x400, v0
	v_cmp_le_i32_e32 vcc_lo, s3, v0
	s_delay_alu instid0(VALU_DEP_3) | instskip(NEXT) | instid1(VALU_DEP_1)
	v_add_co_u32 v3, s0, s34, v3
	v_add_co_ci_u32_e64 v4, s0, s35, v4, s0
	s_or_b32 s8, vcc_lo, s8
	s_waitcnt lgkmcnt(0)
	global_store_b32 v[3:4], v2, off
	s_and_not1_b32 exec_lo, exec_lo, s8
	s_cbranch_execz .LBB170_122
.LBB170_115:                            ; =>This Loop Header: Depth=1
                                        ;     Child Loop BB170_117 Depth 2
                                        ;     Child Loop BB170_121 Depth 2
	v_lshl_add_u32 v1, v0, 2, 0
	v_dual_mov_b32 v3, s4 :: v_dual_mov_b32 v4, s5
	s_and_not1_b32 vcc_lo, exec_lo, s2
	s_mov_b32 s0, 0
	ds_load_2addr_stride64_b32 v[1:2], v1 offset1:64
	s_cbranch_vccnz .LBB170_119
; %bb.116:                              ;   in Loop: Header=BB170_115 Depth=1
	v_dual_mov_b32 v3, s4 :: v_dual_mov_b32 v4, s5
	s_mov_b32 s9, 0
	s_mov_b32 s10, 0
.LBB170_117:                            ;   Parent Loop BB170_115 Depth=1
                                        ; =>  This Inner Loop Header: Depth=2
	s_delay_alu instid0(SALU_CYCLE_1)
	v_mov_b32_e32 v11, s10
	s_add_i32 s9, s9, 8
	s_add_i32 s10, s10, 32
	s_cmp_eq_u32 s6, s9
	ds_load_2addr_b32 v[5:6], v11 offset1:1
	ds_load_2addr_b32 v[7:8], v11 offset0:2 offset1:3
	ds_load_2addr_b32 v[9:10], v11 offset0:4 offset1:5
	;; [unrolled: 1-line block ×3, first 2 shown]
	s_waitcnt lgkmcnt(3)
	v_cmp_gt_i32_e32 vcc_lo, v1, v5
	v_cndmask_b32_e64 v5, 0, 1, vcc_lo
	v_cmp_gt_i32_e32 vcc_lo, v1, v6
	v_cndmask_b32_e64 v6, 0, 1, vcc_lo
	s_waitcnt lgkmcnt(2)
	v_cmp_gt_i32_e32 vcc_lo, v1, v7
	v_cndmask_b32_e64 v7, 0, 1, vcc_lo
	v_cmp_gt_i32_e32 vcc_lo, v1, v8
	v_cndmask_b32_e64 v8, 0, 1, vcc_lo
	s_waitcnt lgkmcnt(1)
	v_cmp_gt_i32_e32 vcc_lo, v1, v9
	v_cndmask_b32_e64 v9, 0, 1, vcc_lo
	v_add_co_u32 v3, vcc_lo, v3, v5
	v_add_co_ci_u32_e32 v4, vcc_lo, 0, v4, vcc_lo
	v_cmp_gt_i32_e32 vcc_lo, v1, v10
	s_delay_alu instid0(VALU_DEP_3) | instskip(NEXT) | instid1(VALU_DEP_1)
	v_add_co_u32 v3, s0, v3, v6
	v_add_co_ci_u32_e64 v4, s0, 0, v4, s0
	v_cndmask_b32_e64 v5, 0, 1, vcc_lo
	s_delay_alu instid0(VALU_DEP_3) | instskip(NEXT) | instid1(VALU_DEP_3)
	v_add_co_u32 v3, vcc_lo, v3, v7
	v_add_co_ci_u32_e32 v4, vcc_lo, 0, v4, vcc_lo
	s_waitcnt lgkmcnt(0)
	v_cmp_gt_i32_e32 vcc_lo, v1, v11
	s_delay_alu instid0(VALU_DEP_3) | instskip(NEXT) | instid1(VALU_DEP_1)
	v_add_co_u32 v3, s0, v3, v8
	v_add_co_ci_u32_e64 v4, s0, 0, v4, s0
	v_cndmask_b32_e64 v6, 0, 1, vcc_lo
	s_delay_alu instid0(VALU_DEP_3) | instskip(NEXT) | instid1(VALU_DEP_3)
	v_add_co_u32 v3, vcc_lo, v3, v9
	v_add_co_ci_u32_e32 v4, vcc_lo, 0, v4, vcc_lo
	v_cmp_gt_i32_e32 vcc_lo, v1, v12
	s_delay_alu instid0(VALU_DEP_3) | instskip(NEXT) | instid1(VALU_DEP_1)
	v_add_co_u32 v3, s0, v3, v5
	v_add_co_ci_u32_e64 v4, s0, 0, v4, s0
	v_cndmask_b32_e64 v5, 0, 1, vcc_lo
	s_delay_alu instid0(VALU_DEP_3) | instskip(NEXT) | instid1(VALU_DEP_3)
	v_add_co_u32 v3, vcc_lo, v3, v6
	v_add_co_ci_u32_e32 v4, vcc_lo, 0, v4, vcc_lo
	s_delay_alu instid0(VALU_DEP_2) | instskip(NEXT) | instid1(VALU_DEP_2)
	v_add_co_u32 v3, vcc_lo, v3, v5
	v_add_co_ci_u32_e32 v4, vcc_lo, 0, v4, vcc_lo
	s_cbranch_scc0 .LBB170_117
; %bb.118:                              ;   in Loop: Header=BB170_115 Depth=1
	s_mov_b32 s0, s6
.LBB170_119:                            ;   in Loop: Header=BB170_115 Depth=1
	s_and_not1_b32 vcc_lo, exec_lo, s7
	s_cbranch_vccnz .LBB170_114
; %bb.120:                              ;   in Loop: Header=BB170_115 Depth=1
	s_lshl_b32 s0, s0, 2
	s_mov_b32 s9, s1
	s_add_i32 s0, s0, 0
.LBB170_121:                            ;   Parent Loop BB170_115 Depth=1
                                        ; =>  This Inner Loop Header: Depth=2
	s_delay_alu instid0(SALU_CYCLE_1)
	v_mov_b32_e32 v5, s0
	s_add_i32 s9, s9, -1
	s_add_i32 s0, s0, 4
	s_cmp_lg_u32 s9, 0
	ds_load_b32 v5, v5
	s_waitcnt lgkmcnt(0)
	v_cmp_gt_i32_e32 vcc_lo, v1, v5
	v_cndmask_b32_e64 v5, 0, 1, vcc_lo
	s_delay_alu instid0(VALU_DEP_1)
	v_add_co_u32 v3, vcc_lo, v3, v5
	v_add_co_ci_u32_e32 v4, vcc_lo, 0, v4, vcc_lo
	s_cbranch_scc1 .LBB170_121
	s_branch .LBB170_114
.LBB170_122:
	s_nop 0
	s_sendmsg sendmsg(MSG_DEALLOC_VGPRS)
	s_endpgm
	.section	.rodata,"a",@progbits
	.p2align	6, 0x0
	.amdhsa_kernel _ZN9rocsparseL41csrgemm_numeric_fill_block_per_row_kernelILj1024ELj64ELj4096ELj137ELj32ElifEEvT5_PKS1_S3_NS_24const_host_device_scalarIT6_EEPKT4_S3_PKS5_S9_S3_SB_S6_S9_S3_SB_S9_S3_PS5_21rocsparse_index_base_SD_SD_SD_bbb
		.amdhsa_group_segment_fixed_size 0
		.amdhsa_private_segment_fixed_size 0
		.amdhsa_kernarg_size 156
		.amdhsa_user_sgpr_count 15
		.amdhsa_user_sgpr_dispatch_ptr 0
		.amdhsa_user_sgpr_queue_ptr 0
		.amdhsa_user_sgpr_kernarg_segment_ptr 1
		.amdhsa_user_sgpr_dispatch_id 0
		.amdhsa_user_sgpr_private_segment_size 0
		.amdhsa_wavefront_size32 1
		.amdhsa_uses_dynamic_stack 0
		.amdhsa_enable_private_segment 0
		.amdhsa_system_sgpr_workgroup_id_x 1
		.amdhsa_system_sgpr_workgroup_id_y 0
		.amdhsa_system_sgpr_workgroup_id_z 0
		.amdhsa_system_sgpr_workgroup_info 0
		.amdhsa_system_vgpr_workitem_id 0
		.amdhsa_next_free_vgpr 19
		.amdhsa_next_free_sgpr 50
		.amdhsa_reserve_vcc 1
		.amdhsa_float_round_mode_32 0
		.amdhsa_float_round_mode_16_64 0
		.amdhsa_float_denorm_mode_32 3
		.amdhsa_float_denorm_mode_16_64 3
		.amdhsa_dx10_clamp 1
		.amdhsa_ieee_mode 1
		.amdhsa_fp16_overflow 0
		.amdhsa_workgroup_processor_mode 1
		.amdhsa_memory_ordered 1
		.amdhsa_forward_progress 0
		.amdhsa_shared_vgpr_count 0
		.amdhsa_exception_fp_ieee_invalid_op 0
		.amdhsa_exception_fp_denorm_src 0
		.amdhsa_exception_fp_ieee_div_zero 0
		.amdhsa_exception_fp_ieee_overflow 0
		.amdhsa_exception_fp_ieee_underflow 0
		.amdhsa_exception_fp_ieee_inexact 0
		.amdhsa_exception_int_div_zero 0
	.end_amdhsa_kernel
	.section	.text._ZN9rocsparseL41csrgemm_numeric_fill_block_per_row_kernelILj1024ELj64ELj4096ELj137ELj32ElifEEvT5_PKS1_S3_NS_24const_host_device_scalarIT6_EEPKT4_S3_PKS5_S9_S3_SB_S6_S9_S3_SB_S9_S3_PS5_21rocsparse_index_base_SD_SD_SD_bbb,"axG",@progbits,_ZN9rocsparseL41csrgemm_numeric_fill_block_per_row_kernelILj1024ELj64ELj4096ELj137ELj32ElifEEvT5_PKS1_S3_NS_24const_host_device_scalarIT6_EEPKT4_S3_PKS5_S9_S3_SB_S6_S9_S3_SB_S9_S3_PS5_21rocsparse_index_base_SD_SD_SD_bbb,comdat
.Lfunc_end170:
	.size	_ZN9rocsparseL41csrgemm_numeric_fill_block_per_row_kernelILj1024ELj64ELj4096ELj137ELj32ElifEEvT5_PKS1_S3_NS_24const_host_device_scalarIT6_EEPKT4_S3_PKS5_S9_S3_SB_S6_S9_S3_SB_S9_S3_PS5_21rocsparse_index_base_SD_SD_SD_bbb, .Lfunc_end170-_ZN9rocsparseL41csrgemm_numeric_fill_block_per_row_kernelILj1024ELj64ELj4096ELj137ELj32ElifEEvT5_PKS1_S3_NS_24const_host_device_scalarIT6_EEPKT4_S3_PKS5_S9_S3_SB_S6_S9_S3_SB_S9_S3_PS5_21rocsparse_index_base_SD_SD_SD_bbb
                                        ; -- End function
	.section	.AMDGPU.csdata,"",@progbits
; Kernel info:
; codeLenInByte = 4100
; NumSgprs: 52
; NumVgprs: 19
; ScratchSize: 0
; MemoryBound: 0
; FloatMode: 240
; IeeeMode: 1
; LDSByteSize: 0 bytes/workgroup (compile time only)
; SGPRBlocks: 6
; VGPRBlocks: 2
; NumSGPRsForWavesPerEU: 52
; NumVGPRsForWavesPerEU: 19
; Occupancy: 16
; WaveLimiterHint : 1
; COMPUTE_PGM_RSRC2:SCRATCH_EN: 0
; COMPUTE_PGM_RSRC2:USER_SGPR: 15
; COMPUTE_PGM_RSRC2:TRAP_HANDLER: 0
; COMPUTE_PGM_RSRC2:TGID_X_EN: 1
; COMPUTE_PGM_RSRC2:TGID_Y_EN: 0
; COMPUTE_PGM_RSRC2:TGID_Z_EN: 0
; COMPUTE_PGM_RSRC2:TIDIG_COMP_CNT: 0
	.section	.text._ZN9rocsparseL41csrgemm_numeric_fill_block_per_row_kernelILj1024ELj64ELj4096ELj137ELj64ElifEEvT5_PKS1_S3_NS_24const_host_device_scalarIT6_EEPKT4_S3_PKS5_S9_S3_SB_S6_S9_S3_SB_S9_S3_PS5_21rocsparse_index_base_SD_SD_SD_bbb,"axG",@progbits,_ZN9rocsparseL41csrgemm_numeric_fill_block_per_row_kernelILj1024ELj64ELj4096ELj137ELj64ElifEEvT5_PKS1_S3_NS_24const_host_device_scalarIT6_EEPKT4_S3_PKS5_S9_S3_SB_S6_S9_S3_SB_S9_S3_PS5_21rocsparse_index_base_SD_SD_SD_bbb,comdat
	.globl	_ZN9rocsparseL41csrgemm_numeric_fill_block_per_row_kernelILj1024ELj64ELj4096ELj137ELj64ElifEEvT5_PKS1_S3_NS_24const_host_device_scalarIT6_EEPKT4_S3_PKS5_S9_S3_SB_S6_S9_S3_SB_S9_S3_PS5_21rocsparse_index_base_SD_SD_SD_bbb ; -- Begin function _ZN9rocsparseL41csrgemm_numeric_fill_block_per_row_kernelILj1024ELj64ELj4096ELj137ELj64ElifEEvT5_PKS1_S3_NS_24const_host_device_scalarIT6_EEPKT4_S3_PKS5_S9_S3_SB_S6_S9_S3_SB_S9_S3_PS5_21rocsparse_index_base_SD_SD_SD_bbb
	.p2align	8
	.type	_ZN9rocsparseL41csrgemm_numeric_fill_block_per_row_kernelILj1024ELj64ELj4096ELj137ELj64ElifEEvT5_PKS1_S3_NS_24const_host_device_scalarIT6_EEPKT4_S3_PKS5_S9_S3_SB_S6_S9_S3_SB_S9_S3_PS5_21rocsparse_index_base_SD_SD_SD_bbb,@function
_ZN9rocsparseL41csrgemm_numeric_fill_block_per_row_kernelILj1024ELj64ELj4096ELj137ELj64ElifEEvT5_PKS1_S3_NS_24const_host_device_scalarIT6_EEPKT4_S3_PKS5_S9_S3_SB_S6_S9_S3_SB_S9_S3_PS5_21rocsparse_index_base_SD_SD_SD_bbb: ; @_ZN9rocsparseL41csrgemm_numeric_fill_block_per_row_kernelILj1024ELj64ELj4096ELj137ELj64ElifEEvT5_PKS1_S3_NS_24const_host_device_scalarIT6_EEPKT4_S3_PKS5_S9_S3_SB_S6_S9_S3_SB_S9_S3_PS5_21rocsparse_index_base_SD_SD_SD_bbb
; %bb.0:
	s_clause 0x3
	s_load_b32 s12, s[0:1], 0x98
	s_load_b128 s[24:27], s[0:1], 0x88
	s_load_b64 s[4:5], s[0:1], 0x18
	s_load_b64 s[2:3], s[0:1], 0x50
	s_waitcnt lgkmcnt(0)
	s_bitcmp1_b32 s12, 0
	s_cselect_b32 s13, -1, 0
	s_bitcmp1_b32 s12, 16
	s_cselect_b32 s14, -1, 0
	s_xor_b32 s6, s13, -1
	s_delay_alu instid0(SALU_CYCLE_1) | instskip(NEXT) | instid1(SALU_CYCLE_1)
	s_or_b32 s6, s6, s14
	s_and_b32 vcc_lo, exec_lo, s6
	s_cbranch_vccnz .LBB171_2
; %bb.1:
	s_load_b32 s4, s[4:5], 0x0
	s_waitcnt lgkmcnt(0)
	v_mov_b32_e32 v13, s4
	s_branch .LBB171_3
.LBB171_2:
	v_cndmask_b32_e64 v13, 0, s4, s13
.LBB171_3:
	s_clause 0x4
	s_load_b64 s[34:35], s[0:1], 0x80
	s_load_b256 s[16:23], s[0:1], 0x58
	s_load_b128 s[28:31], s[0:1], 0x40
	s_load_b128 s[36:39], s[0:1], 0x8
	s_load_b256 s[4:11], s[0:1], 0x20
	s_bitcmp1_b32 s12, 8
	s_cselect_b32 s12, -1, 0
	s_delay_alu instid0(SALU_CYCLE_1) | instskip(NEXT) | instid1(SALU_CYCLE_1)
	s_xor_b32 s33, s12, -1
	s_or_b32 s14, s33, s14
	s_delay_alu instid0(SALU_CYCLE_1)
	s_and_b32 vcc_lo, exec_lo, s14
	s_cbranch_vccnz .LBB171_5
; %bb.4:
	s_load_b32 s2, s[2:3], 0x0
	s_waitcnt lgkmcnt(0)
	v_mov_b32_e32 v11, s2
	s_branch .LBB171_6
.LBB171_5:
	v_cndmask_b32_e64 v11, 0, s2, s12
.LBB171_6:
	s_load_b32 s33, s[0:1], 0x0
	v_lshl_add_u32 v9, v0, 2, 0
	v_or_b32_e32 v10, 0xfffffc00, v0
	v_mov_b32_e32 v1, 0
	s_mov_b32 s0, 0
	s_delay_alu instid0(VALU_DEP_3)
	v_mov_b32_e32 v2, v9
	s_waitcnt lgkmcnt(0)
	v_dual_mov_b32 v4, v10 :: v_dual_mov_b32 v3, s33
.LBB171_7:                              ; =>This Inner Loop Header: Depth=1
	s_delay_alu instid0(VALU_DEP_1) | instskip(SKIP_4) | instid1(SALU_CYCLE_1)
	v_add_nc_u32_e32 v4, 0x400, v4
	ds_store_2addr_stride64_b32 v2, v3, v1 offset1:64
	v_add_nc_u32_e32 v2, 0x1000, v2
	v_cmp_lt_u32_e32 vcc_lo, 0xbff, v4
	s_or_b32 s0, vcc_lo, s0
	s_and_not1_b32 exec_lo, exec_lo, s0
	s_cbranch_execnz .LBB171_7
; %bb.8:
	s_or_b32 exec_lo, exec_lo, s0
	s_waitcnt lgkmcnt(0)
	s_barrier
	buffer_gl0_inv
	s_load_b32 s0, s[36:37], 0x0
	s_mov_b32 s1, 0
	v_lshrrev_b32_e32 v12, 6, v0
	s_waitcnt lgkmcnt(0)
	s_add_i32 s0, s0, s15
	s_delay_alu instid0(SALU_CYCLE_1) | instskip(NEXT) | instid1(SALU_CYCLE_1)
	s_lshl_b64 s[0:1], s[0:1], 2
	s_add_u32 s0, s38, s0
	s_addc_u32 s1, s39, s1
	s_and_b32 vcc_lo, exec_lo, s13
	s_load_b32 s36, s[0:1], 0x0
	s_cbranch_vccz .LBB171_28
; %bb.9:
	s_waitcnt lgkmcnt(0)
	s_ashr_i32 s37, s36, 31
	s_delay_alu instid0(SALU_CYCLE_1) | instskip(NEXT) | instid1(SALU_CYCLE_1)
	s_lshl_b64 s[0:1], s[36:37], 3
	s_add_u32 s0, s4, s0
	s_addc_u32 s1, s5, s1
	v_sub_co_u32 v1, s4, v12, s24
	s_load_b128 s[0:3], s[0:1], 0x0
	v_sub_co_ci_u32_e64 v2, null, 0, 0, s4
	s_waitcnt lgkmcnt(0)
	s_delay_alu instid0(VALU_DEP_2) | instskip(NEXT) | instid1(VALU_DEP_2)
	v_add_co_u32 v1, vcc_lo, s0, v1
	v_add_co_ci_u32_e32 v2, vcc_lo, s1, v2, vcc_lo
	s_sub_u32 s0, s2, s24
	s_subb_u32 s1, s3, 0
	s_mov_b32 s2, exec_lo
	s_delay_alu instid0(VALU_DEP_1)
	v_cmpx_gt_i64_e64 s[0:1], v[1:2]
	s_cbranch_execz .LBB171_27
; %bb.10:
	v_and_b32_e32 v3, 63, v0
	s_mov_b32 s4, s25
	s_delay_alu instid0(VALU_DEP_1) | instskip(NEXT) | instid1(VALU_DEP_1)
	v_sub_co_u32 v14, s3, v3, s25
	v_sub_co_ci_u32_e64 v15, null, 0, 0, s3
	s_mov_b32 s3, 0
	s_branch .LBB171_12
.LBB171_11:                             ;   in Loop: Header=BB171_12 Depth=1
	s_or_b32 exec_lo, exec_lo, s5
	v_add_co_u32 v1, vcc_lo, v1, 16
	v_add_co_ci_u32_e32 v2, vcc_lo, 0, v2, vcc_lo
	s_delay_alu instid0(VALU_DEP_1) | instskip(SKIP_1) | instid1(SALU_CYCLE_1)
	v_cmp_le_i64_e32 vcc_lo, s[0:1], v[1:2]
	s_or_b32 s3, vcc_lo, s3
	s_and_not1_b32 exec_lo, exec_lo, s3
	s_cbranch_execz .LBB171_27
.LBB171_12:                             ; =>This Loop Header: Depth=1
                                        ;     Child Loop BB171_15 Depth 2
                                        ;       Child Loop BB171_17 Depth 3
	v_lshlrev_b64 v[7:8], 2, v[1:2]
	s_mov_b32 s5, exec_lo
	s_delay_alu instid0(VALU_DEP_1) | instskip(NEXT) | instid1(VALU_DEP_2)
	v_add_co_u32 v3, vcc_lo, s6, v7
	v_add_co_ci_u32_e32 v4, vcc_lo, s7, v8, vcc_lo
	global_load_b32 v3, v[3:4], off
	s_waitcnt vmcnt(0)
	v_subrev_nc_u32_e32 v3, s24, v3
	s_delay_alu instid0(VALU_DEP_1) | instskip(NEXT) | instid1(VALU_DEP_1)
	v_ashrrev_i32_e32 v4, 31, v3
	v_lshlrev_b64 v[3:4], 3, v[3:4]
	s_delay_alu instid0(VALU_DEP_1) | instskip(NEXT) | instid1(VALU_DEP_2)
	v_add_co_u32 v3, vcc_lo, s10, v3
	v_add_co_ci_u32_e32 v4, vcc_lo, s11, v4, vcc_lo
	global_load_b128 v[16:19], v[3:4], off
	s_waitcnt vmcnt(0)
	v_sub_co_u32 v3, vcc_lo, v18, s4
	v_subrev_co_ci_u32_e32 v4, vcc_lo, 0, v19, vcc_lo
	v_add_co_u32 v5, vcc_lo, v16, v14
	v_add_co_ci_u32_e32 v6, vcc_lo, v17, v15, vcc_lo
	s_delay_alu instid0(VALU_DEP_1)
	v_cmpx_lt_i64_e64 v[5:6], v[3:4]
	s_cbranch_execz .LBB171_11
; %bb.13:                               ;   in Loop: Header=BB171_12 Depth=1
	v_add_co_u32 v7, vcc_lo, s8, v7
	v_add_co_ci_u32_e32 v8, vcc_lo, s9, v8, vcc_lo
	s_mov_b32 s13, 0
	global_load_b32 v7, v[7:8], off
	s_waitcnt vmcnt(0)
	v_mul_f32_e32 v7, v13, v7
	s_branch .LBB171_15
.LBB171_14:                             ;   in Loop: Header=BB171_15 Depth=2
	s_or_b32 exec_lo, exec_lo, s14
	v_add_co_u32 v5, vcc_lo, v5, 64
	v_add_co_ci_u32_e32 v6, vcc_lo, 0, v6, vcc_lo
	s_delay_alu instid0(VALU_DEP_1) | instskip(SKIP_1) | instid1(SALU_CYCLE_1)
	v_cmp_ge_i64_e32 vcc_lo, v[5:6], v[3:4]
	s_or_b32 s13, vcc_lo, s13
	s_and_not1_b32 exec_lo, exec_lo, s13
	s_cbranch_execz .LBB171_11
.LBB171_15:                             ;   Parent Loop BB171_12 Depth=1
                                        ; =>  This Loop Header: Depth=2
                                        ;       Child Loop BB171_17 Depth 3
	v_lshlrev_b64 v[16:17], 2, v[5:6]
	s_mov_b32 s14, 0
	s_delay_alu instid0(VALU_DEP_1) | instskip(NEXT) | instid1(VALU_DEP_2)
	v_add_co_u32 v18, vcc_lo, s28, v16
	v_add_co_ci_u32_e32 v19, vcc_lo, s29, v17, vcc_lo
	v_add_co_u32 v16, vcc_lo, s30, v16
	v_add_co_ci_u32_e32 v17, vcc_lo, s31, v17, vcc_lo
	global_load_b32 v8, v[18:19], off
	global_load_b32 v16, v[16:17], off
	s_waitcnt vmcnt(1)
	v_subrev_nc_u32_e32 v8, s25, v8
	s_delay_alu instid0(VALU_DEP_1) | instskip(SKIP_1) | instid1(VALU_DEP_1)
	v_mul_lo_u32 v17, 0x89, v8
	s_waitcnt vmcnt(0)
	v_dual_mul_f32 v16, v7, v16 :: v_dual_and_b32 v17, 0xfff, v17
	s_branch .LBB171_17
.LBB171_16:                             ;   in Loop: Header=BB171_17 Depth=3
	s_or_b32 exec_lo, exec_lo, s15
	s_xor_b32 s15, s37, -1
	s_delay_alu instid0(SALU_CYCLE_1) | instskip(NEXT) | instid1(SALU_CYCLE_1)
	s_and_b32 s15, exec_lo, s15
	s_or_b32 s14, s15, s14
	s_delay_alu instid0(SALU_CYCLE_1)
	s_and_not1_b32 exec_lo, exec_lo, s14
	s_cbranch_execz .LBB171_14
.LBB171_17:                             ;   Parent Loop BB171_12 Depth=1
                                        ;     Parent Loop BB171_15 Depth=2
                                        ; =>    This Inner Loop Header: Depth=3
	s_delay_alu instid0(VALU_DEP_1)
	v_lshl_add_u32 v18, v17, 2, 0
	s_mov_b32 s15, exec_lo
                                        ; implicit-def: $sgpr37
	ds_load_b32 v19, v18
	s_waitcnt lgkmcnt(0)
	v_cmpx_ne_u32_e64 v19, v8
	s_xor_b32 s15, exec_lo, s15
	s_cbranch_execz .LBB171_25
; %bb.18:                               ;   in Loop: Header=BB171_17 Depth=3
	s_mov_b32 s38, exec_lo
                                        ; implicit-def: $sgpr37
	v_cmpx_ne_u32_e64 s33, v19
	s_xor_b32 s38, exec_lo, s38
; %bb.19:                               ;   in Loop: Header=BB171_17 Depth=3
	v_add_nc_u32_e32 v17, 1, v17
	s_mov_b32 s37, -1
                                        ; implicit-def: $vgpr18
	s_delay_alu instid0(VALU_DEP_1)
	v_and_b32_e32 v17, 0xfff, v17
; %bb.20:                               ;   in Loop: Header=BB171_17 Depth=3
	s_and_not1_saveexec_b32 s38, s38
	s_cbranch_execz .LBB171_24
; %bb.21:                               ;   in Loop: Header=BB171_17 Depth=3
	v_mov_b32_e32 v19, s33
	s_mov_b32 s39, -1
	s_mov_b32 s40, exec_lo
	ds_cmpstore_rtn_b32 v19, v18, v8, v19
	s_waitcnt lgkmcnt(0)
	v_cmpx_eq_u32_e64 s33, v19
	s_cbranch_execz .LBB171_23
; %bb.22:                               ;   in Loop: Header=BB171_17 Depth=3
	ds_add_f32 v18, v16 offset:16384
	s_xor_b32 s39, exec_lo, -1
.LBB171_23:                             ;   in Loop: Header=BB171_17 Depth=3
	s_or_b32 exec_lo, exec_lo, s40
	s_delay_alu instid0(SALU_CYCLE_1) | instskip(SKIP_1) | instid1(SALU_CYCLE_1)
	s_and_not1_b32 s37, s37, exec_lo
	s_and_b32 s39, s39, exec_lo
	s_or_b32 s37, s37, s39
.LBB171_24:                             ;   in Loop: Header=BB171_17 Depth=3
	s_or_b32 exec_lo, exec_lo, s38
	s_delay_alu instid0(SALU_CYCLE_1)
	s_and_b32 s37, s37, exec_lo
                                        ; implicit-def: $vgpr18
.LBB171_25:                             ;   in Loop: Header=BB171_17 Depth=3
	s_and_not1_saveexec_b32 s15, s15
	s_cbranch_execz .LBB171_16
; %bb.26:                               ;   in Loop: Header=BB171_17 Depth=3
	ds_add_f32 v18, v16 offset:16384
	s_and_not1_b32 s37, s37, exec_lo
	s_branch .LBB171_16
.LBB171_27:
	s_or_b32 exec_lo, exec_lo, s2
.LBB171_28:
	s_delay_alu instid0(SALU_CYCLE_1)
	s_and_not1_b32 vcc_lo, exec_lo, s12
	s_cbranch_vccnz .LBB171_31
; %bb.29:
	s_waitcnt lgkmcnt(0)
	s_ashr_i32 s37, s36, 31
	v_sub_co_u32 v1, s4, v0, s27
	s_lshl_b64 s[0:1], s[36:37], 3
	v_sub_co_ci_u32_e64 v2, null, 0, 0, s4
	s_add_u32 s0, s16, s0
	s_addc_u32 s1, s17, s1
	s_load_b128 s[0:3], s[0:1], 0x0
	s_waitcnt lgkmcnt(0)
	v_add_co_u32 v1, vcc_lo, s0, v1
	v_add_co_ci_u32_e32 v2, vcc_lo, s1, v2, vcc_lo
	s_sub_u32 s0, s2, s27
	s_subb_u32 s1, s3, 0
	s_mov_b32 s3, 0
	s_mov_b32 s2, exec_lo
	v_cmpx_gt_i64_e64 s[0:1], v[1:2]
	s_cbranch_execnz .LBB171_68
.LBB171_30:
	s_or_b32 exec_lo, exec_lo, s2
.LBB171_31:
	v_mbcnt_lo_u32_b32 v1, -1, 0
	v_lshl_add_u32 v4, v12, 2, 0
	v_cmp_eq_u32_e32 vcc_lo, 0x3ff, v0
	v_cmp_lt_u32_e64 s0, 63, v0
	v_cmp_lt_u32_e64 s1, 0x7f, v0
	v_xor_b32_e32 v1, 63, v1
	v_cmp_lt_u32_e64 s2, 0xbf, v0
	v_cmp_lt_u32_e64 s3, 0xff, v0
	;; [unrolled: 1-line block ×4, first 2 shown]
	v_lshrrev_b64 v[1:2], v1, -1
	v_cmp_lt_u32_e64 s6, 0x1bf, v0
	v_cmp_lt_u32_e64 s7, 0x1ff, v0
	;; [unrolled: 1-line block ×9, first 2 shown]
	v_dual_mov_b32 v5, 0 :: v_dual_mov_b32 v6, 0
	s_mov_b32 s16, 0
	s_waitcnt lgkmcnt(0)
	s_barrier
	buffer_gl0_inv
	s_branch .LBB171_33
.LBB171_32:                             ;   in Loop: Header=BB171_33 Depth=1
	s_or_b32 exec_lo, exec_lo, s15
	s_waitcnt lgkmcnt(0)
	s_barrier
	buffer_gl0_inv
	ds_load_b32 v2, v5 offset:32828
	v_add_nc_u32_e32 v10, 0x400, v10
	v_add_nc_u32_e32 v9, 0x1000, v9
	s_delay_alu instid0(VALU_DEP_2) | instskip(NEXT) | instid1(VALU_DEP_1)
	v_cmp_lt_u32_e64 s15, 0xbff, v10
	s_or_b32 s16, s15, s16
	s_waitcnt lgkmcnt(0)
	v_add_nc_u32_e32 v6, v2, v6
	s_and_not1_b32 exec_lo, exec_lo, s16
	s_cbranch_execz .LBB171_80
.LBB171_33:                             ; =>This Inner Loop Header: Depth=1
	ds_load_2addr_stride64_b32 v[2:3], v9 offset1:64
	s_waitcnt lgkmcnt(0)
	s_barrier
	buffer_gl0_inv
	v_cmp_gt_i32_e64 s15, s33, v2
	s_delay_alu instid0(VALU_DEP_1) | instskip(NEXT) | instid1(SALU_CYCLE_1)
	s_bcnt1_i32_b32 s17, s15
	v_dual_mov_b32 v8, s17 :: v_dual_and_b32 v7, s15, v1
	s_delay_alu instid0(VALU_DEP_1)
	v_bcnt_u32_b32 v7, v7, 0
	ds_store_b32 v4, v8 offset:32768
	s_waitcnt lgkmcnt(0)
	s_barrier
	buffer_gl0_inv
	s_and_saveexec_b32 s17, s0
	s_cbranch_execnz .LBB171_50
; %bb.34:                               ;   in Loop: Header=BB171_33 Depth=1
	s_or_b32 exec_lo, exec_lo, s17
	s_and_saveexec_b32 s17, s1
	s_cbranch_execnz .LBB171_51
.LBB171_35:                             ;   in Loop: Header=BB171_33 Depth=1
	s_or_b32 exec_lo, exec_lo, s17
	s_and_saveexec_b32 s17, s2
	s_cbranch_execnz .LBB171_52
.LBB171_36:                             ;   in Loop: Header=BB171_33 Depth=1
	s_or_b32 exec_lo, exec_lo, s17
	s_and_saveexec_b32 s17, s3
	s_cbranch_execnz .LBB171_53
.LBB171_37:                             ;   in Loop: Header=BB171_33 Depth=1
	s_or_b32 exec_lo, exec_lo, s17
	s_and_saveexec_b32 s17, s4
	s_cbranch_execnz .LBB171_54
.LBB171_38:                             ;   in Loop: Header=BB171_33 Depth=1
	s_or_b32 exec_lo, exec_lo, s17
	s_and_saveexec_b32 s17, s5
	s_cbranch_execnz .LBB171_55
.LBB171_39:                             ;   in Loop: Header=BB171_33 Depth=1
	s_or_b32 exec_lo, exec_lo, s17
	s_and_saveexec_b32 s17, s6
	s_cbranch_execnz .LBB171_56
.LBB171_40:                             ;   in Loop: Header=BB171_33 Depth=1
	s_or_b32 exec_lo, exec_lo, s17
	s_and_saveexec_b32 s17, s7
	s_cbranch_execnz .LBB171_57
.LBB171_41:                             ;   in Loop: Header=BB171_33 Depth=1
	s_or_b32 exec_lo, exec_lo, s17
	s_and_saveexec_b32 s17, s8
	s_cbranch_execnz .LBB171_58
.LBB171_42:                             ;   in Loop: Header=BB171_33 Depth=1
	s_or_b32 exec_lo, exec_lo, s17
	s_and_saveexec_b32 s17, s9
	s_cbranch_execnz .LBB171_59
.LBB171_43:                             ;   in Loop: Header=BB171_33 Depth=1
	s_or_b32 exec_lo, exec_lo, s17
	s_and_saveexec_b32 s17, s10
	s_cbranch_execnz .LBB171_60
.LBB171_44:                             ;   in Loop: Header=BB171_33 Depth=1
	s_or_b32 exec_lo, exec_lo, s17
	s_and_saveexec_b32 s17, s11
	s_cbranch_execnz .LBB171_61
.LBB171_45:                             ;   in Loop: Header=BB171_33 Depth=1
	s_or_b32 exec_lo, exec_lo, s17
	s_and_saveexec_b32 s17, s12
	s_cbranch_execnz .LBB171_62
.LBB171_46:                             ;   in Loop: Header=BB171_33 Depth=1
	s_or_b32 exec_lo, exec_lo, s17
	s_and_saveexec_b32 s17, s13
	s_cbranch_execnz .LBB171_63
.LBB171_47:                             ;   in Loop: Header=BB171_33 Depth=1
	s_or_b32 exec_lo, exec_lo, s17
	s_and_saveexec_b32 s17, s14
	s_cbranch_execnz .LBB171_64
.LBB171_48:                             ;   in Loop: Header=BB171_33 Depth=1
	s_or_b32 exec_lo, exec_lo, s17
	s_and_saveexec_b32 s17, s15
	s_cbranch_execnz .LBB171_65
.LBB171_49:                             ;   in Loop: Header=BB171_33 Depth=1
	s_or_b32 exec_lo, exec_lo, s17
	s_and_saveexec_b32 s15, vcc_lo
	s_cbranch_execz .LBB171_32
	s_branch .LBB171_66
.LBB171_50:                             ;   in Loop: Header=BB171_33 Depth=1
	ds_load_b32 v8, v5 offset:32768
	s_waitcnt lgkmcnt(0)
	v_add_nc_u32_e32 v7, v8, v7
	s_or_b32 exec_lo, exec_lo, s17
	s_and_saveexec_b32 s17, s1
	s_cbranch_execz .LBB171_35
.LBB171_51:                             ;   in Loop: Header=BB171_33 Depth=1
	ds_load_b32 v8, v5 offset:32772
	s_waitcnt lgkmcnt(0)
	v_add_nc_u32_e32 v7, v8, v7
	s_or_b32 exec_lo, exec_lo, s17
	s_and_saveexec_b32 s17, s2
	s_cbranch_execz .LBB171_36
.LBB171_52:                             ;   in Loop: Header=BB171_33 Depth=1
	ds_load_b32 v8, v5 offset:32776
	s_waitcnt lgkmcnt(0)
	v_add_nc_u32_e32 v7, v8, v7
	s_or_b32 exec_lo, exec_lo, s17
	s_and_saveexec_b32 s17, s3
	s_cbranch_execz .LBB171_37
.LBB171_53:                             ;   in Loop: Header=BB171_33 Depth=1
	ds_load_b32 v8, v5 offset:32780
	s_waitcnt lgkmcnt(0)
	v_add_nc_u32_e32 v7, v8, v7
	s_or_b32 exec_lo, exec_lo, s17
	s_and_saveexec_b32 s17, s4
	s_cbranch_execz .LBB171_38
.LBB171_54:                             ;   in Loop: Header=BB171_33 Depth=1
	ds_load_b32 v8, v5 offset:32784
	s_waitcnt lgkmcnt(0)
	v_add_nc_u32_e32 v7, v8, v7
	s_or_b32 exec_lo, exec_lo, s17
	s_and_saveexec_b32 s17, s5
	s_cbranch_execz .LBB171_39
.LBB171_55:                             ;   in Loop: Header=BB171_33 Depth=1
	ds_load_b32 v8, v5 offset:32788
	s_waitcnt lgkmcnt(0)
	v_add_nc_u32_e32 v7, v8, v7
	s_or_b32 exec_lo, exec_lo, s17
	s_and_saveexec_b32 s17, s6
	s_cbranch_execz .LBB171_40
.LBB171_56:                             ;   in Loop: Header=BB171_33 Depth=1
	ds_load_b32 v8, v5 offset:32792
	s_waitcnt lgkmcnt(0)
	v_add_nc_u32_e32 v7, v8, v7
	s_or_b32 exec_lo, exec_lo, s17
	s_and_saveexec_b32 s17, s7
	s_cbranch_execz .LBB171_41
.LBB171_57:                             ;   in Loop: Header=BB171_33 Depth=1
	ds_load_b32 v8, v5 offset:32796
	s_waitcnt lgkmcnt(0)
	v_add_nc_u32_e32 v7, v8, v7
	s_or_b32 exec_lo, exec_lo, s17
	s_and_saveexec_b32 s17, s8
	s_cbranch_execz .LBB171_42
.LBB171_58:                             ;   in Loop: Header=BB171_33 Depth=1
	ds_load_b32 v8, v5 offset:32800
	s_waitcnt lgkmcnt(0)
	v_add_nc_u32_e32 v7, v8, v7
	s_or_b32 exec_lo, exec_lo, s17
	s_and_saveexec_b32 s17, s9
	s_cbranch_execz .LBB171_43
.LBB171_59:                             ;   in Loop: Header=BB171_33 Depth=1
	ds_load_b32 v8, v5 offset:32804
	s_waitcnt lgkmcnt(0)
	v_add_nc_u32_e32 v7, v8, v7
	s_or_b32 exec_lo, exec_lo, s17
	s_and_saveexec_b32 s17, s10
	s_cbranch_execz .LBB171_44
.LBB171_60:                             ;   in Loop: Header=BB171_33 Depth=1
	ds_load_b32 v8, v5 offset:32808
	s_waitcnt lgkmcnt(0)
	v_add_nc_u32_e32 v7, v8, v7
	s_or_b32 exec_lo, exec_lo, s17
	s_and_saveexec_b32 s17, s11
	s_cbranch_execz .LBB171_45
.LBB171_61:                             ;   in Loop: Header=BB171_33 Depth=1
	ds_load_b32 v8, v5 offset:32812
	s_waitcnt lgkmcnt(0)
	v_add_nc_u32_e32 v7, v8, v7
	s_or_b32 exec_lo, exec_lo, s17
	s_and_saveexec_b32 s17, s12
	s_cbranch_execz .LBB171_46
.LBB171_62:                             ;   in Loop: Header=BB171_33 Depth=1
	ds_load_b32 v8, v5 offset:32816
	s_waitcnt lgkmcnt(0)
	v_add_nc_u32_e32 v7, v8, v7
	s_or_b32 exec_lo, exec_lo, s17
	s_and_saveexec_b32 s17, s13
	s_cbranch_execz .LBB171_47
.LBB171_63:                             ;   in Loop: Header=BB171_33 Depth=1
	ds_load_b32 v8, v5 offset:32820
	s_waitcnt lgkmcnt(0)
	v_add_nc_u32_e32 v7, v8, v7
	s_or_b32 exec_lo, exec_lo, s17
	s_and_saveexec_b32 s17, s14
	s_cbranch_execz .LBB171_48
.LBB171_64:                             ;   in Loop: Header=BB171_33 Depth=1
	ds_load_b32 v8, v5 offset:32824
	s_waitcnt lgkmcnt(0)
	v_add_nc_u32_e32 v7, v8, v7
	s_or_b32 exec_lo, exec_lo, s17
	s_and_saveexec_b32 s17, s15
	s_cbranch_execz .LBB171_49
.LBB171_65:                             ;   in Loop: Header=BB171_33 Depth=1
	s_delay_alu instid0(VALU_DEP_1) | instskip(NEXT) | instid1(VALU_DEP_1)
	v_add3_u32 v8, v6, -1, v7
	v_lshl_add_u32 v8, v8, 2, 0
	ds_store_2addr_stride64_b32 v8, v2, v3 offset1:64
	s_or_b32 exec_lo, exec_lo, s17
	s_and_saveexec_b32 s15, vcc_lo
	s_cbranch_execz .LBB171_32
.LBB171_66:                             ;   in Loop: Header=BB171_33 Depth=1
	ds_store_b32 v5, v7 offset:32828
	s_branch .LBB171_32
.LBB171_67:                             ;   in Loop: Header=BB171_68 Depth=1
	s_or_b32 exec_lo, exec_lo, s4
	v_add_co_u32 v1, vcc_lo, 0x400, v1
	v_add_co_ci_u32_e32 v2, vcc_lo, 0, v2, vcc_lo
	s_delay_alu instid0(VALU_DEP_1) | instskip(SKIP_1) | instid1(SALU_CYCLE_1)
	v_cmp_le_i64_e32 vcc_lo, s[0:1], v[1:2]
	s_or_b32 s3, vcc_lo, s3
	s_and_not1_b32 exec_lo, exec_lo, s3
	s_cbranch_execz .LBB171_30
.LBB171_68:                             ; =>This Loop Header: Depth=1
                                        ;     Child Loop BB171_70 Depth 2
	v_lshlrev_b64 v[3:4], 2, v[1:2]
	s_mov_b32 s4, 0
	s_delay_alu instid0(VALU_DEP_1) | instskip(NEXT) | instid1(VALU_DEP_2)
	v_add_co_u32 v5, vcc_lo, s18, v3
	v_add_co_ci_u32_e32 v6, vcc_lo, s19, v4, vcc_lo
	v_add_co_u32 v3, vcc_lo, s20, v3
	v_add_co_ci_u32_e32 v4, vcc_lo, s21, v4, vcc_lo
	global_load_b32 v5, v[5:6], off
	global_load_b32 v4, v[3:4], off
	s_waitcnt vmcnt(1)
	v_subrev_nc_u32_e32 v3, s27, v5
	s_delay_alu instid0(VALU_DEP_1) | instskip(SKIP_1) | instid1(VALU_DEP_1)
	v_mul_lo_u32 v5, 0x89, v3
	s_waitcnt vmcnt(0)
	v_dual_mul_f32 v4, v11, v4 :: v_dual_and_b32 v5, 0xfff, v5
	s_branch .LBB171_70
.LBB171_69:                             ;   in Loop: Header=BB171_70 Depth=2
	s_or_b32 exec_lo, exec_lo, s5
	s_xor_b32 s5, s6, -1
	s_delay_alu instid0(SALU_CYCLE_1) | instskip(NEXT) | instid1(SALU_CYCLE_1)
	s_and_b32 s5, exec_lo, s5
	s_or_b32 s4, s5, s4
	s_delay_alu instid0(SALU_CYCLE_1)
	s_and_not1_b32 exec_lo, exec_lo, s4
	s_cbranch_execz .LBB171_67
.LBB171_70:                             ;   Parent Loop BB171_68 Depth=1
                                        ; =>  This Inner Loop Header: Depth=2
	s_delay_alu instid0(VALU_DEP_1)
	v_lshl_add_u32 v6, v5, 2, 0
	s_mov_b32 s5, exec_lo
                                        ; implicit-def: $sgpr6
	ds_load_b32 v7, v6
	s_waitcnt lgkmcnt(0)
	v_cmpx_ne_u32_e64 v7, v3
	s_xor_b32 s5, exec_lo, s5
	s_cbranch_execz .LBB171_78
; %bb.71:                               ;   in Loop: Header=BB171_70 Depth=2
	s_mov_b32 s7, exec_lo
                                        ; implicit-def: $sgpr6
	v_cmpx_ne_u32_e64 s33, v7
	s_xor_b32 s7, exec_lo, s7
; %bb.72:                               ;   in Loop: Header=BB171_70 Depth=2
	v_add_nc_u32_e32 v5, 1, v5
	s_mov_b32 s6, -1
                                        ; implicit-def: $vgpr6
	s_delay_alu instid0(VALU_DEP_1)
	v_and_b32_e32 v5, 0xfff, v5
; %bb.73:                               ;   in Loop: Header=BB171_70 Depth=2
	s_and_not1_saveexec_b32 s7, s7
	s_cbranch_execz .LBB171_77
; %bb.74:                               ;   in Loop: Header=BB171_70 Depth=2
	v_mov_b32_e32 v7, s33
	s_mov_b32 s8, -1
	s_mov_b32 s9, exec_lo
	ds_cmpstore_rtn_b32 v7, v6, v3, v7
	s_waitcnt lgkmcnt(0)
	v_cmpx_eq_u32_e64 s33, v7
	s_cbranch_execz .LBB171_76
; %bb.75:                               ;   in Loop: Header=BB171_70 Depth=2
	ds_add_f32 v6, v4 offset:16384
	s_xor_b32 s8, exec_lo, -1
.LBB171_76:                             ;   in Loop: Header=BB171_70 Depth=2
	s_or_b32 exec_lo, exec_lo, s9
	s_delay_alu instid0(SALU_CYCLE_1) | instskip(SKIP_1) | instid1(SALU_CYCLE_1)
	s_and_not1_b32 s6, s6, exec_lo
	s_and_b32 s8, s8, exec_lo
	s_or_b32 s6, s6, s8
.LBB171_77:                             ;   in Loop: Header=BB171_70 Depth=2
	s_or_b32 exec_lo, exec_lo, s7
	s_delay_alu instid0(SALU_CYCLE_1)
	s_and_b32 s6, s6, exec_lo
                                        ; implicit-def: $vgpr6
.LBB171_78:                             ;   in Loop: Header=BB171_70 Depth=2
	s_and_not1_saveexec_b32 s5, s5
	s_cbranch_execz .LBB171_69
; %bb.79:                               ;   in Loop: Header=BB171_70 Depth=2
	ds_add_f32 v6, v4 offset:16384
	s_and_not1_b32 s6, s6, exec_lo
	s_branch .LBB171_69
.LBB171_80:
	s_or_b32 exec_lo, exec_lo, s16
	s_ashr_i32 s37, s36, 31
	s_mov_b32 s4, exec_lo
	s_lshl_b64 s[0:1], s[36:37], 3
	s_delay_alu instid0(SALU_CYCLE_1) | instskip(SKIP_4) | instid1(SALU_CYCLE_1)
	s_add_u32 s0, s22, s0
	s_addc_u32 s1, s23, s1
	s_load_b128 s[0:3], s[0:1], 0x0
	s_waitcnt lgkmcnt(0)
	s_sub_i32 s3, s2, s0
	v_cmpx_gt_i32_e64 s3, v0
	s_cbranch_execz .LBB171_90
; %bb.81:
	s_sub_u32 s4, s0, s26
	s_subb_u32 s5, s1, 0
	s_sub_i32 s0, s0, s2
	s_and_b32 s1, s3, 7
	s_cmp_lt_u32 s0, -7
	s_mov_b32 s8, 0
	s_cselect_b32 s2, -1, 0
	s_and_b32 s6, s3, -8
	s_cmp_lg_u32 s1, 0
	s_cselect_b32 s7, -1, 0
	s_branch .LBB171_83
.LBB171_82:                             ;   in Loop: Header=BB171_83 Depth=1
	s_delay_alu instid0(VALU_DEP_1) | instskip(SKIP_1) | instid1(VALU_DEP_1)
	v_lshlrev_b64 v[3:4], 2, v[3:4]
	v_add_nc_u32_e32 v0, 0x400, v0
	v_cmp_le_i32_e32 vcc_lo, s3, v0
	s_delay_alu instid0(VALU_DEP_3) | instskip(NEXT) | instid1(VALU_DEP_1)
	v_add_co_u32 v3, s0, s34, v3
	v_add_co_ci_u32_e64 v4, s0, s35, v4, s0
	s_or_b32 s8, vcc_lo, s8
	s_waitcnt lgkmcnt(0)
	global_store_b32 v[3:4], v2, off
	s_and_not1_b32 exec_lo, exec_lo, s8
	s_cbranch_execz .LBB171_90
.LBB171_83:                             ; =>This Loop Header: Depth=1
                                        ;     Child Loop BB171_85 Depth 2
                                        ;     Child Loop BB171_89 Depth 2
	v_lshl_add_u32 v1, v0, 2, 0
	v_dual_mov_b32 v3, s4 :: v_dual_mov_b32 v4, s5
	s_and_not1_b32 vcc_lo, exec_lo, s2
	s_mov_b32 s0, 0
	ds_load_2addr_stride64_b32 v[1:2], v1 offset1:64
	s_cbranch_vccnz .LBB171_87
; %bb.84:                               ;   in Loop: Header=BB171_83 Depth=1
	v_dual_mov_b32 v3, s4 :: v_dual_mov_b32 v4, s5
	s_mov_b32 s9, 0
	s_mov_b32 s10, 0
.LBB171_85:                             ;   Parent Loop BB171_83 Depth=1
                                        ; =>  This Inner Loop Header: Depth=2
	s_delay_alu instid0(SALU_CYCLE_1)
	v_mov_b32_e32 v11, s10
	s_add_i32 s9, s9, 8
	s_add_i32 s10, s10, 32
	s_cmp_eq_u32 s6, s9
	ds_load_2addr_b32 v[5:6], v11 offset1:1
	ds_load_2addr_b32 v[7:8], v11 offset0:2 offset1:3
	ds_load_2addr_b32 v[9:10], v11 offset0:4 offset1:5
	;; [unrolled: 1-line block ×3, first 2 shown]
	s_waitcnt lgkmcnt(3)
	v_cmp_gt_i32_e32 vcc_lo, v1, v5
	v_cndmask_b32_e64 v5, 0, 1, vcc_lo
	v_cmp_gt_i32_e32 vcc_lo, v1, v6
	v_cndmask_b32_e64 v6, 0, 1, vcc_lo
	s_waitcnt lgkmcnt(2)
	v_cmp_gt_i32_e32 vcc_lo, v1, v7
	v_cndmask_b32_e64 v7, 0, 1, vcc_lo
	v_cmp_gt_i32_e32 vcc_lo, v1, v8
	v_cndmask_b32_e64 v8, 0, 1, vcc_lo
	s_waitcnt lgkmcnt(1)
	v_cmp_gt_i32_e32 vcc_lo, v1, v9
	v_cndmask_b32_e64 v9, 0, 1, vcc_lo
	v_add_co_u32 v3, vcc_lo, v3, v5
	v_add_co_ci_u32_e32 v4, vcc_lo, 0, v4, vcc_lo
	v_cmp_gt_i32_e32 vcc_lo, v1, v10
	s_delay_alu instid0(VALU_DEP_3) | instskip(NEXT) | instid1(VALU_DEP_1)
	v_add_co_u32 v3, s0, v3, v6
	v_add_co_ci_u32_e64 v4, s0, 0, v4, s0
	v_cndmask_b32_e64 v5, 0, 1, vcc_lo
	s_delay_alu instid0(VALU_DEP_3) | instskip(NEXT) | instid1(VALU_DEP_3)
	v_add_co_u32 v3, vcc_lo, v3, v7
	v_add_co_ci_u32_e32 v4, vcc_lo, 0, v4, vcc_lo
	s_waitcnt lgkmcnt(0)
	v_cmp_gt_i32_e32 vcc_lo, v1, v11
	s_delay_alu instid0(VALU_DEP_3) | instskip(NEXT) | instid1(VALU_DEP_1)
	v_add_co_u32 v3, s0, v3, v8
	v_add_co_ci_u32_e64 v4, s0, 0, v4, s0
	v_cndmask_b32_e64 v6, 0, 1, vcc_lo
	s_delay_alu instid0(VALU_DEP_3) | instskip(NEXT) | instid1(VALU_DEP_3)
	v_add_co_u32 v3, vcc_lo, v3, v9
	v_add_co_ci_u32_e32 v4, vcc_lo, 0, v4, vcc_lo
	v_cmp_gt_i32_e32 vcc_lo, v1, v12
	s_delay_alu instid0(VALU_DEP_3) | instskip(NEXT) | instid1(VALU_DEP_1)
	v_add_co_u32 v3, s0, v3, v5
	v_add_co_ci_u32_e64 v4, s0, 0, v4, s0
	v_cndmask_b32_e64 v5, 0, 1, vcc_lo
	s_delay_alu instid0(VALU_DEP_3) | instskip(NEXT) | instid1(VALU_DEP_3)
	v_add_co_u32 v3, vcc_lo, v3, v6
	v_add_co_ci_u32_e32 v4, vcc_lo, 0, v4, vcc_lo
	s_delay_alu instid0(VALU_DEP_2) | instskip(NEXT) | instid1(VALU_DEP_2)
	v_add_co_u32 v3, vcc_lo, v3, v5
	v_add_co_ci_u32_e32 v4, vcc_lo, 0, v4, vcc_lo
	s_cbranch_scc0 .LBB171_85
; %bb.86:                               ;   in Loop: Header=BB171_83 Depth=1
	s_mov_b32 s0, s6
.LBB171_87:                             ;   in Loop: Header=BB171_83 Depth=1
	s_and_not1_b32 vcc_lo, exec_lo, s7
	s_cbranch_vccnz .LBB171_82
; %bb.88:                               ;   in Loop: Header=BB171_83 Depth=1
	s_lshl_b32 s0, s0, 2
	s_mov_b32 s9, s1
	s_add_i32 s0, s0, 0
.LBB171_89:                             ;   Parent Loop BB171_83 Depth=1
                                        ; =>  This Inner Loop Header: Depth=2
	s_delay_alu instid0(SALU_CYCLE_1)
	v_mov_b32_e32 v5, s0
	s_add_i32 s9, s9, -1
	s_add_i32 s0, s0, 4
	s_cmp_lg_u32 s9, 0
	ds_load_b32 v5, v5
	s_waitcnt lgkmcnt(0)
	v_cmp_gt_i32_e32 vcc_lo, v1, v5
	v_cndmask_b32_e64 v5, 0, 1, vcc_lo
	s_delay_alu instid0(VALU_DEP_1)
	v_add_co_u32 v3, vcc_lo, v3, v5
	v_add_co_ci_u32_e32 v4, vcc_lo, 0, v4, vcc_lo
	s_cbranch_scc1 .LBB171_89
	s_branch .LBB171_82
.LBB171_90:
	s_nop 0
	s_sendmsg sendmsg(MSG_DEALLOC_VGPRS)
	s_endpgm
	.section	.rodata,"a",@progbits
	.p2align	6, 0x0
	.amdhsa_kernel _ZN9rocsparseL41csrgemm_numeric_fill_block_per_row_kernelILj1024ELj64ELj4096ELj137ELj64ElifEEvT5_PKS1_S3_NS_24const_host_device_scalarIT6_EEPKT4_S3_PKS5_S9_S3_SB_S6_S9_S3_SB_S9_S3_PS5_21rocsparse_index_base_SD_SD_SD_bbb
		.amdhsa_group_segment_fixed_size 0
		.amdhsa_private_segment_fixed_size 0
		.amdhsa_kernarg_size 156
		.amdhsa_user_sgpr_count 15
		.amdhsa_user_sgpr_dispatch_ptr 0
		.amdhsa_user_sgpr_queue_ptr 0
		.amdhsa_user_sgpr_kernarg_segment_ptr 1
		.amdhsa_user_sgpr_dispatch_id 0
		.amdhsa_user_sgpr_private_segment_size 0
		.amdhsa_wavefront_size32 1
		.amdhsa_uses_dynamic_stack 0
		.amdhsa_enable_private_segment 0
		.amdhsa_system_sgpr_workgroup_id_x 1
		.amdhsa_system_sgpr_workgroup_id_y 0
		.amdhsa_system_sgpr_workgroup_id_z 0
		.amdhsa_system_sgpr_workgroup_info 0
		.amdhsa_system_vgpr_workitem_id 0
		.amdhsa_next_free_vgpr 20
		.amdhsa_next_free_sgpr 41
		.amdhsa_reserve_vcc 1
		.amdhsa_float_round_mode_32 0
		.amdhsa_float_round_mode_16_64 0
		.amdhsa_float_denorm_mode_32 3
		.amdhsa_float_denorm_mode_16_64 3
		.amdhsa_dx10_clamp 1
		.amdhsa_ieee_mode 1
		.amdhsa_fp16_overflow 0
		.amdhsa_workgroup_processor_mode 1
		.amdhsa_memory_ordered 1
		.amdhsa_forward_progress 0
		.amdhsa_shared_vgpr_count 0
		.amdhsa_exception_fp_ieee_invalid_op 0
		.amdhsa_exception_fp_denorm_src 0
		.amdhsa_exception_fp_ieee_div_zero 0
		.amdhsa_exception_fp_ieee_overflow 0
		.amdhsa_exception_fp_ieee_underflow 0
		.amdhsa_exception_fp_ieee_inexact 0
		.amdhsa_exception_int_div_zero 0
	.end_amdhsa_kernel
	.section	.text._ZN9rocsparseL41csrgemm_numeric_fill_block_per_row_kernelILj1024ELj64ELj4096ELj137ELj64ElifEEvT5_PKS1_S3_NS_24const_host_device_scalarIT6_EEPKT4_S3_PKS5_S9_S3_SB_S6_S9_S3_SB_S9_S3_PS5_21rocsparse_index_base_SD_SD_SD_bbb,"axG",@progbits,_ZN9rocsparseL41csrgemm_numeric_fill_block_per_row_kernelILj1024ELj64ELj4096ELj137ELj64ElifEEvT5_PKS1_S3_NS_24const_host_device_scalarIT6_EEPKT4_S3_PKS5_S9_S3_SB_S6_S9_S3_SB_S9_S3_PS5_21rocsparse_index_base_SD_SD_SD_bbb,comdat
.Lfunc_end171:
	.size	_ZN9rocsparseL41csrgemm_numeric_fill_block_per_row_kernelILj1024ELj64ELj4096ELj137ELj64ElifEEvT5_PKS1_S3_NS_24const_host_device_scalarIT6_EEPKT4_S3_PKS5_S9_S3_SB_S6_S9_S3_SB_S9_S3_PS5_21rocsparse_index_base_SD_SD_SD_bbb, .Lfunc_end171-_ZN9rocsparseL41csrgemm_numeric_fill_block_per_row_kernelILj1024ELj64ELj4096ELj137ELj64ElifEEvT5_PKS1_S3_NS_24const_host_device_scalarIT6_EEPKT4_S3_PKS5_S9_S3_SB_S6_S9_S3_SB_S9_S3_PS5_21rocsparse_index_base_SD_SD_SD_bbb
                                        ; -- End function
	.section	.AMDGPU.csdata,"",@progbits
; Kernel info:
; codeLenInByte = 3260
; NumSgprs: 43
; NumVgprs: 20
; ScratchSize: 0
; MemoryBound: 0
; FloatMode: 240
; IeeeMode: 1
; LDSByteSize: 0 bytes/workgroup (compile time only)
; SGPRBlocks: 5
; VGPRBlocks: 2
; NumSGPRsForWavesPerEU: 43
; NumVGPRsForWavesPerEU: 20
; Occupancy: 16
; WaveLimiterHint : 1
; COMPUTE_PGM_RSRC2:SCRATCH_EN: 0
; COMPUTE_PGM_RSRC2:USER_SGPR: 15
; COMPUTE_PGM_RSRC2:TRAP_HANDLER: 0
; COMPUTE_PGM_RSRC2:TGID_X_EN: 1
; COMPUTE_PGM_RSRC2:TGID_Y_EN: 0
; COMPUTE_PGM_RSRC2:TGID_Z_EN: 0
; COMPUTE_PGM_RSRC2:TIDIG_COMP_CNT: 0
	.section	.text._ZN9rocsparseL41csrgemm_numeric_fill_block_per_row_kernelILj1024ELj64ELj8192ELj137ELj32ElifEEvT5_PKS1_S3_NS_24const_host_device_scalarIT6_EEPKT4_S3_PKS5_S9_S3_SB_S6_S9_S3_SB_S9_S3_PS5_21rocsparse_index_base_SD_SD_SD_bbb,"axG",@progbits,_ZN9rocsparseL41csrgemm_numeric_fill_block_per_row_kernelILj1024ELj64ELj8192ELj137ELj32ElifEEvT5_PKS1_S3_NS_24const_host_device_scalarIT6_EEPKT4_S3_PKS5_S9_S3_SB_S6_S9_S3_SB_S9_S3_PS5_21rocsparse_index_base_SD_SD_SD_bbb,comdat
	.globl	_ZN9rocsparseL41csrgemm_numeric_fill_block_per_row_kernelILj1024ELj64ELj8192ELj137ELj32ElifEEvT5_PKS1_S3_NS_24const_host_device_scalarIT6_EEPKT4_S3_PKS5_S9_S3_SB_S6_S9_S3_SB_S9_S3_PS5_21rocsparse_index_base_SD_SD_SD_bbb ; -- Begin function _ZN9rocsparseL41csrgemm_numeric_fill_block_per_row_kernelILj1024ELj64ELj8192ELj137ELj32ElifEEvT5_PKS1_S3_NS_24const_host_device_scalarIT6_EEPKT4_S3_PKS5_S9_S3_SB_S6_S9_S3_SB_S9_S3_PS5_21rocsparse_index_base_SD_SD_SD_bbb
	.p2align	8
	.type	_ZN9rocsparseL41csrgemm_numeric_fill_block_per_row_kernelILj1024ELj64ELj8192ELj137ELj32ElifEEvT5_PKS1_S3_NS_24const_host_device_scalarIT6_EEPKT4_S3_PKS5_S9_S3_SB_S6_S9_S3_SB_S9_S3_PS5_21rocsparse_index_base_SD_SD_SD_bbb,@function
_ZN9rocsparseL41csrgemm_numeric_fill_block_per_row_kernelILj1024ELj64ELj8192ELj137ELj32ElifEEvT5_PKS1_S3_NS_24const_host_device_scalarIT6_EEPKT4_S3_PKS5_S9_S3_SB_S6_S9_S3_SB_S9_S3_PS5_21rocsparse_index_base_SD_SD_SD_bbb: ; @_ZN9rocsparseL41csrgemm_numeric_fill_block_per_row_kernelILj1024ELj64ELj8192ELj137ELj32ElifEEvT5_PKS1_S3_NS_24const_host_device_scalarIT6_EEPKT4_S3_PKS5_S9_S3_SB_S6_S9_S3_SB_S9_S3_PS5_21rocsparse_index_base_SD_SD_SD_bbb
; %bb.0:
	s_clause 0x4
	s_load_b32 s11, s[0:1], 0x98
	s_load_b128 s[4:7], s[0:1], 0x8
	s_load_b64 s[8:9], s[0:1], 0x18
	s_load_b128 s[36:39], s[0:1], 0x88
	s_load_b64 s[2:3], s[0:1], 0x50
	s_waitcnt lgkmcnt(0)
	s_bitcmp1_b32 s11, 0
	s_cselect_b32 s10, -1, 0
	s_bitcmp1_b32 s11, 16
	s_cselect_b32 s12, -1, 0
	s_xor_b32 s13, s10, -1
	s_delay_alu instid0(SALU_CYCLE_1) | instskip(NEXT) | instid1(SALU_CYCLE_1)
	s_or_b32 s13, s13, s12
	s_and_b32 vcc_lo, exec_lo, s13
	s_cbranch_vccnz .LBB172_2
; %bb.1:
	s_load_b32 s8, s[8:9], 0x0
	s_waitcnt lgkmcnt(0)
	v_mov_b32_e32 v10, s8
	s_branch .LBB172_3
.LBB172_2:
	v_cndmask_b32_e64 v10, 0, s8, s10
.LBB172_3:
	s_bitcmp1_b32 s11, 8
	s_cselect_b32 s14, -1, 0
	s_delay_alu instid0(SALU_CYCLE_1) | instskip(NEXT) | instid1(SALU_CYCLE_1)
	s_xor_b32 s8, s14, -1
	s_or_b32 s8, s8, s12
	s_delay_alu instid0(SALU_CYCLE_1)
	s_and_b32 vcc_lo, exec_lo, s8
	s_cbranch_vccnz .LBB172_5
; %bb.4:
	s_load_b32 s2, s[2:3], 0x0
	s_waitcnt lgkmcnt(0)
	v_mov_b32_e32 v9, s2
	s_branch .LBB172_6
.LBB172_5:
	v_cndmask_b32_e64 v9, 0, s2, s14
.LBB172_6:
	s_load_b32 s33, s[0:1], 0x0
	v_dual_mov_b32 v2, 0 :: v_dual_lshlrev_b32 v1, 2, v0
	s_mov_b32 s3, 0
	s_delay_alu instid0(VALU_DEP_1)
	v_add3_u32 v3, 0, 0x8000, v1
	v_add_nc_u32_e32 v1, 0, v1
	ds_store_2addr_stride64_b32 v3, v2, v2 offset0:16 offset1:32
	ds_store_2addr_stride64_b32 v3, v2, v2 offset0:48 offset1:64
	;; [unrolled: 1-line block ×3, first 2 shown]
	s_waitcnt lgkmcnt(0)
	v_dual_mov_b32 v4, s33 :: v_dual_mov_b32 v5, s33
	v_dual_mov_b32 v6, s33 :: v_dual_mov_b32 v7, s33
	;; [unrolled: 1-line block ×4, first 2 shown]
	ds_store_b32 v1, v2 offset:32768
	ds_store_b32 v3, v2 offset:28672
	ds_store_2addr_stride64_b32 v1, v4, v5 offset1:16
	ds_store_2addr_stride64_b32 v1, v6, v7 offset0:32 offset1:48
	ds_store_2addr_stride64_b32 v1, v8, v11 offset0:64 offset1:80
	;; [unrolled: 1-line block ×3, first 2 shown]
	s_waitcnt lgkmcnt(0)
	s_barrier
	buffer_gl0_inv
	s_load_b32 s2, s[4:5], 0x0
	s_waitcnt lgkmcnt(0)
	s_add_i32 s2, s2, s15
	s_delay_alu instid0(SALU_CYCLE_1) | instskip(NEXT) | instid1(SALU_CYCLE_1)
	s_lshl_b64 s[2:3], s[2:3], 2
	s_add_u32 s2, s6, s2
	s_addc_u32 s3, s7, s3
	s_and_not1_b32 vcc_lo, exec_lo, s10
	s_load_b32 s34, s[2:3], 0x0
	s_cbranch_vccnz .LBB172_26
; %bb.7:
	s_load_b64 s[2:3], s[0:1], 0x20
	s_waitcnt lgkmcnt(0)
	s_ashr_i32 s35, s34, 31
	v_lshrrev_b32_e32 v1, 6, v0
	s_lshl_b64 s[4:5], s[34:35], 3
	s_mov_b32 s15, exec_lo
	s_add_u32 s2, s2, s4
	s_addc_u32 s3, s3, s5
	s_load_b128 s[4:7], s[2:3], 0x0
	v_sub_co_u32 v1, s2, v1, s36
	s_delay_alu instid0(VALU_DEP_1) | instskip(SKIP_1) | instid1(VALU_DEP_2)
	v_sub_co_ci_u32_e64 v2, null, 0, 0, s2
	s_waitcnt lgkmcnt(0)
	v_add_co_u32 v1, vcc_lo, s4, v1
	s_delay_alu instid0(VALU_DEP_2)
	v_add_co_ci_u32_e32 v2, vcc_lo, s5, v2, vcc_lo
	s_sub_u32 s2, s6, s36
	s_subb_u32 s3, s7, 0
	s_delay_alu instid0(VALU_DEP_1) | instid1(SALU_CYCLE_1)
	v_cmpx_gt_i64_e64 s[2:3], v[1:2]
	s_cbranch_execz .LBB172_25
; %bb.8:
	s_clause 0x1
	s_load_b64 s[12:13], s[0:1], 0x48
	s_load_b256 s[4:11], s[0:1], 0x28
	v_and_b32_e32 v3, 63, v0
	s_mov_b32 s17, s37
	s_delay_alu instid0(VALU_DEP_1) | instskip(NEXT) | instid1(VALU_DEP_1)
	v_sub_co_u32 v11, s16, v3, s37
	v_sub_co_ci_u32_e64 v12, null, 0, 0, s16
	s_mov_b32 s16, 0
	s_branch .LBB172_10
.LBB172_9:                              ;   in Loop: Header=BB172_10 Depth=1
	s_or_b32 exec_lo, exec_lo, s18
	v_add_co_u32 v1, vcc_lo, v1, 16
	v_add_co_ci_u32_e32 v2, vcc_lo, 0, v2, vcc_lo
	s_delay_alu instid0(VALU_DEP_1) | instskip(SKIP_1) | instid1(SALU_CYCLE_1)
	v_cmp_le_i64_e32 vcc_lo, s[2:3], v[1:2]
	s_or_b32 s16, vcc_lo, s16
	s_and_not1_b32 exec_lo, exec_lo, s16
	s_cbranch_execz .LBB172_25
.LBB172_10:                             ; =>This Loop Header: Depth=1
                                        ;     Child Loop BB172_13 Depth 2
                                        ;       Child Loop BB172_15 Depth 3
	v_lshlrev_b64 v[7:8], 2, v[1:2]
	s_mov_b32 s18, exec_lo
	s_waitcnt lgkmcnt(0)
	s_delay_alu instid0(VALU_DEP_1) | instskip(NEXT) | instid1(VALU_DEP_2)
	v_add_co_u32 v3, vcc_lo, s4, v7
	v_add_co_ci_u32_e32 v4, vcc_lo, s5, v8, vcc_lo
	global_load_b32 v3, v[3:4], off
	s_waitcnt vmcnt(0)
	v_subrev_nc_u32_e32 v3, s36, v3
	s_delay_alu instid0(VALU_DEP_1) | instskip(NEXT) | instid1(VALU_DEP_1)
	v_ashrrev_i32_e32 v4, 31, v3
	v_lshlrev_b64 v[3:4], 3, v[3:4]
	s_delay_alu instid0(VALU_DEP_1) | instskip(NEXT) | instid1(VALU_DEP_2)
	v_add_co_u32 v3, vcc_lo, s8, v3
	v_add_co_ci_u32_e32 v4, vcc_lo, s9, v4, vcc_lo
	global_load_b128 v[13:16], v[3:4], off
	s_waitcnt vmcnt(0)
	v_sub_co_u32 v3, vcc_lo, v15, s17
	v_subrev_co_ci_u32_e32 v4, vcc_lo, 0, v16, vcc_lo
	v_add_co_u32 v5, vcc_lo, v13, v11
	v_add_co_ci_u32_e32 v6, vcc_lo, v14, v12, vcc_lo
	s_delay_alu instid0(VALU_DEP_1)
	v_cmpx_lt_i64_e64 v[5:6], v[3:4]
	s_cbranch_execz .LBB172_9
; %bb.11:                               ;   in Loop: Header=BB172_10 Depth=1
	v_add_co_u32 v7, vcc_lo, s6, v7
	v_add_co_ci_u32_e32 v8, vcc_lo, s7, v8, vcc_lo
	s_mov_b32 s19, 0
	global_load_b32 v7, v[7:8], off
	s_waitcnt vmcnt(0)
	v_mul_f32_e32 v7, v10, v7
	s_branch .LBB172_13
.LBB172_12:                             ;   in Loop: Header=BB172_13 Depth=2
	s_or_b32 exec_lo, exec_lo, s20
	v_add_co_u32 v5, vcc_lo, v5, 64
	v_add_co_ci_u32_e32 v6, vcc_lo, 0, v6, vcc_lo
	s_delay_alu instid0(VALU_DEP_1) | instskip(SKIP_1) | instid1(SALU_CYCLE_1)
	v_cmp_ge_i64_e32 vcc_lo, v[5:6], v[3:4]
	s_or_b32 s19, vcc_lo, s19
	s_and_not1_b32 exec_lo, exec_lo, s19
	s_cbranch_execz .LBB172_9
.LBB172_13:                             ;   Parent Loop BB172_10 Depth=1
                                        ; =>  This Loop Header: Depth=2
                                        ;       Child Loop BB172_15 Depth 3
	v_lshlrev_b64 v[13:14], 2, v[5:6]
	s_mov_b32 s20, 0
	s_delay_alu instid0(VALU_DEP_1) | instskip(NEXT) | instid1(VALU_DEP_2)
	v_add_co_u32 v15, vcc_lo, s10, v13
	v_add_co_ci_u32_e32 v16, vcc_lo, s11, v14, vcc_lo
	v_add_co_u32 v13, vcc_lo, s12, v13
	v_add_co_ci_u32_e32 v14, vcc_lo, s13, v14, vcc_lo
	global_load_b32 v8, v[15:16], off
	global_load_b32 v13, v[13:14], off
	s_waitcnt vmcnt(1)
	v_subrev_nc_u32_e32 v8, s37, v8
	s_delay_alu instid0(VALU_DEP_1) | instskip(SKIP_1) | instid1(VALU_DEP_1)
	v_mul_lo_u32 v14, 0x89, v8
	s_waitcnt vmcnt(0)
	v_dual_mul_f32 v13, v7, v13 :: v_dual_and_b32 v14, 0x1fff, v14
	s_branch .LBB172_15
.LBB172_14:                             ;   in Loop: Header=BB172_15 Depth=3
	s_or_b32 exec_lo, exec_lo, s21
	s_xor_b32 s21, s22, -1
	s_delay_alu instid0(SALU_CYCLE_1) | instskip(NEXT) | instid1(SALU_CYCLE_1)
	s_and_b32 s21, exec_lo, s21
	s_or_b32 s20, s21, s20
	s_delay_alu instid0(SALU_CYCLE_1)
	s_and_not1_b32 exec_lo, exec_lo, s20
	s_cbranch_execz .LBB172_12
.LBB172_15:                             ;   Parent Loop BB172_10 Depth=1
                                        ;     Parent Loop BB172_13 Depth=2
                                        ; =>    This Inner Loop Header: Depth=3
	s_delay_alu instid0(VALU_DEP_1)
	v_lshl_add_u32 v15, v14, 2, 0
	s_mov_b32 s21, exec_lo
                                        ; implicit-def: $sgpr22
	ds_load_b32 v16, v15
	s_waitcnt lgkmcnt(0)
	v_cmpx_ne_u32_e64 v16, v8
	s_xor_b32 s21, exec_lo, s21
	s_cbranch_execz .LBB172_23
; %bb.16:                               ;   in Loop: Header=BB172_15 Depth=3
	s_mov_b32 s23, exec_lo
                                        ; implicit-def: $sgpr22
	v_cmpx_ne_u32_e64 s33, v16
	s_xor_b32 s23, exec_lo, s23
; %bb.17:                               ;   in Loop: Header=BB172_15 Depth=3
	v_add_nc_u32_e32 v14, 1, v14
	s_mov_b32 s22, -1
                                        ; implicit-def: $vgpr15
	s_delay_alu instid0(VALU_DEP_1)
	v_and_b32_e32 v14, 0x1fff, v14
; %bb.18:                               ;   in Loop: Header=BB172_15 Depth=3
	s_and_not1_saveexec_b32 s23, s23
	s_cbranch_execz .LBB172_22
; %bb.19:                               ;   in Loop: Header=BB172_15 Depth=3
	v_mov_b32_e32 v16, s33
	s_mov_b32 s24, -1
	s_mov_b32 s25, exec_lo
	ds_cmpstore_rtn_b32 v16, v15, v8, v16
	s_waitcnt lgkmcnt(0)
	v_cmpx_eq_u32_e64 s33, v16
	s_cbranch_execz .LBB172_21
; %bb.20:                               ;   in Loop: Header=BB172_15 Depth=3
	ds_add_f32 v15, v13 offset:32768
	s_xor_b32 s24, exec_lo, -1
.LBB172_21:                             ;   in Loop: Header=BB172_15 Depth=3
	s_or_b32 exec_lo, exec_lo, s25
	s_delay_alu instid0(SALU_CYCLE_1) | instskip(SKIP_1) | instid1(SALU_CYCLE_1)
	s_and_not1_b32 s22, s22, exec_lo
	s_and_b32 s24, s24, exec_lo
	s_or_b32 s22, s22, s24
.LBB172_22:                             ;   in Loop: Header=BB172_15 Depth=3
	s_or_b32 exec_lo, exec_lo, s23
	s_delay_alu instid0(SALU_CYCLE_1)
	s_and_b32 s22, s22, exec_lo
                                        ; implicit-def: $vgpr15
.LBB172_23:                             ;   in Loop: Header=BB172_15 Depth=3
	s_and_not1_saveexec_b32 s21, s21
	s_cbranch_execz .LBB172_14
; %bb.24:                               ;   in Loop: Header=BB172_15 Depth=3
	ds_add_f32 v15, v13 offset:32768
	s_and_not1_b32 s22, s22, exec_lo
	s_branch .LBB172_14
.LBB172_25:
	s_or_b32 exec_lo, exec_lo, s15
.LBB172_26:
	s_clause 0x1
	s_load_b64 s[36:37], s[0:1], 0x80
	s_load_b64 s[40:41], s[0:1], 0x70
	s_and_not1_b32 vcc_lo, exec_lo, s14
	s_cbranch_vccnz .LBB172_43
; %bb.27:
	s_load_b64 s[2:3], s[0:1], 0x58
	s_waitcnt lgkmcnt(0)
	s_ashr_i32 s35, s34, 31
	s_delay_alu instid0(SALU_CYCLE_1) | instskip(NEXT) | instid1(SALU_CYCLE_1)
	s_lshl_b64 s[4:5], s[34:35], 3
	s_add_u32 s2, s2, s4
	s_addc_u32 s3, s3, s5
	s_load_b128 s[4:7], s[2:3], 0x0
	v_sub_co_u32 v1, s2, v0, s39
	s_delay_alu instid0(VALU_DEP_1) | instskip(SKIP_1) | instid1(VALU_DEP_2)
	v_sub_co_ci_u32_e64 v2, null, 0, 0, s2
	s_waitcnt lgkmcnt(0)
	v_add_co_u32 v1, vcc_lo, s4, v1
	s_delay_alu instid0(VALU_DEP_2)
	v_add_co_ci_u32_e32 v2, vcc_lo, s5, v2, vcc_lo
	s_sub_u32 s4, s6, s39
	s_subb_u32 s5, s7, 0
	s_mov_b32 s7, 0
	s_mov_b32 s6, exec_lo
	v_cmpx_gt_i64_e64 s[4:5], v[1:2]
	s_cbranch_execz .LBB172_42
; %bb.28:
	s_load_b128 s[0:3], s[0:1], 0x60
	s_branch .LBB172_30
.LBB172_29:                             ;   in Loop: Header=BB172_30 Depth=1
	s_or_b32 exec_lo, exec_lo, s8
	v_add_co_u32 v1, vcc_lo, 0x400, v1
	v_add_co_ci_u32_e32 v2, vcc_lo, 0, v2, vcc_lo
	s_delay_alu instid0(VALU_DEP_1) | instskip(SKIP_1) | instid1(SALU_CYCLE_1)
	v_cmp_le_i64_e32 vcc_lo, s[4:5], v[1:2]
	s_or_b32 s7, vcc_lo, s7
	s_and_not1_b32 exec_lo, exec_lo, s7
	s_cbranch_execz .LBB172_42
.LBB172_30:                             ; =>This Loop Header: Depth=1
                                        ;     Child Loop BB172_32 Depth 2
	v_lshlrev_b64 v[3:4], 2, v[1:2]
	s_mov_b32 s8, 0
	s_waitcnt lgkmcnt(0)
	s_delay_alu instid0(VALU_DEP_1) | instskip(NEXT) | instid1(VALU_DEP_2)
	v_add_co_u32 v5, vcc_lo, s0, v3
	v_add_co_ci_u32_e32 v6, vcc_lo, s1, v4, vcc_lo
	v_add_co_u32 v3, vcc_lo, s2, v3
	v_add_co_ci_u32_e32 v4, vcc_lo, s3, v4, vcc_lo
	global_load_b32 v5, v[5:6], off
	global_load_b32 v4, v[3:4], off
	s_waitcnt vmcnt(1)
	v_subrev_nc_u32_e32 v3, s39, v5
	s_delay_alu instid0(VALU_DEP_1) | instskip(SKIP_1) | instid1(VALU_DEP_1)
	v_mul_lo_u32 v5, 0x89, v3
	s_waitcnt vmcnt(0)
	v_dual_mul_f32 v4, v9, v4 :: v_dual_and_b32 v5, 0x1fff, v5
	s_branch .LBB172_32
.LBB172_31:                             ;   in Loop: Header=BB172_32 Depth=2
	s_or_b32 exec_lo, exec_lo, s9
	s_xor_b32 s9, s10, -1
	s_delay_alu instid0(SALU_CYCLE_1) | instskip(NEXT) | instid1(SALU_CYCLE_1)
	s_and_b32 s9, exec_lo, s9
	s_or_b32 s8, s9, s8
	s_delay_alu instid0(SALU_CYCLE_1)
	s_and_not1_b32 exec_lo, exec_lo, s8
	s_cbranch_execz .LBB172_29
.LBB172_32:                             ;   Parent Loop BB172_30 Depth=1
                                        ; =>  This Inner Loop Header: Depth=2
	s_delay_alu instid0(VALU_DEP_1)
	v_lshl_add_u32 v6, v5, 2, 0
	s_mov_b32 s9, exec_lo
                                        ; implicit-def: $sgpr10
	ds_load_b32 v7, v6
	s_waitcnt lgkmcnt(0)
	v_cmpx_ne_u32_e64 v7, v3
	s_xor_b32 s9, exec_lo, s9
	s_cbranch_execz .LBB172_40
; %bb.33:                               ;   in Loop: Header=BB172_32 Depth=2
	s_mov_b32 s11, exec_lo
                                        ; implicit-def: $sgpr10
	v_cmpx_ne_u32_e64 s33, v7
	s_xor_b32 s11, exec_lo, s11
; %bb.34:                               ;   in Loop: Header=BB172_32 Depth=2
	v_add_nc_u32_e32 v5, 1, v5
	s_mov_b32 s10, -1
                                        ; implicit-def: $vgpr6
	s_delay_alu instid0(VALU_DEP_1)
	v_and_b32_e32 v5, 0x1fff, v5
; %bb.35:                               ;   in Loop: Header=BB172_32 Depth=2
	s_and_not1_saveexec_b32 s11, s11
	s_cbranch_execz .LBB172_39
; %bb.36:                               ;   in Loop: Header=BB172_32 Depth=2
	v_mov_b32_e32 v7, s33
	s_mov_b32 s12, -1
	s_mov_b32 s13, exec_lo
	ds_cmpstore_rtn_b32 v7, v6, v3, v7
	s_waitcnt lgkmcnt(0)
	v_cmpx_eq_u32_e64 s33, v7
	s_cbranch_execz .LBB172_38
; %bb.37:                               ;   in Loop: Header=BB172_32 Depth=2
	ds_add_f32 v6, v4 offset:32768
	s_xor_b32 s12, exec_lo, -1
.LBB172_38:                             ;   in Loop: Header=BB172_32 Depth=2
	s_or_b32 exec_lo, exec_lo, s13
	s_delay_alu instid0(SALU_CYCLE_1) | instskip(SKIP_1) | instid1(SALU_CYCLE_1)
	s_and_not1_b32 s10, s10, exec_lo
	s_and_b32 s12, s12, exec_lo
	s_or_b32 s10, s10, s12
.LBB172_39:                             ;   in Loop: Header=BB172_32 Depth=2
	s_or_b32 exec_lo, exec_lo, s11
	s_delay_alu instid0(SALU_CYCLE_1)
	s_and_b32 s10, s10, exec_lo
                                        ; implicit-def: $vgpr6
.LBB172_40:                             ;   in Loop: Header=BB172_32 Depth=2
	s_and_not1_saveexec_b32 s9, s9
	s_cbranch_execz .LBB172_31
; %bb.41:                               ;   in Loop: Header=BB172_32 Depth=2
	ds_add_f32 v6, v4 offset:32768
	s_and_not1_b32 s10, s10, exec_lo
	s_branch .LBB172_31
.LBB172_42:
	s_or_b32 exec_lo, exec_lo, s6
.LBB172_43:
	v_mbcnt_lo_u32_b32 v1, -1, 0
	v_lshrrev_b32_e32 v2, 3, v0
	s_add_i32 s68, 0, 0x1007c
	v_cmp_eq_u32_e32 vcc_lo, 0x3ff, v0
	v_cmp_lt_u32_e64 s0, 31, v0
	v_xor_b32_e32 v1, 63, v1
	v_dual_mov_b32 v8, s68 :: v_dual_and_b32 v3, 0x7c, v2
	v_cmp_lt_u32_e64 s1, 63, v0
	v_cmp_lt_u32_e64 s2, 0x5f, v0
	s_delay_alu instid0(VALU_DEP_4) | instskip(NEXT) | instid1(VALU_DEP_4)
	v_lshrrev_b64 v[1:2], v1, -1
	v_add3_u32 v4, 0, 0x10000, v3
	v_cmp_lt_u32_e64 s3, 0x7f, v0
	v_cmp_lt_u32_e64 s4, 0x9f, v0
	;; [unrolled: 1-line block ×28, first 2 shown]
	v_or_b32_e32 v5, 0xfffffc00, v0
	v_lshl_add_u32 v6, v0, 2, 0
	v_mov_b32_e32 v7, 0
	s_mov_b32 s35, 0
	s_add_i32 s39, 0, 0x10000
	s_add_i32 s42, 0, 0x10004
	;; [unrolled: 1-line block ×31, first 2 shown]
	s_waitcnt lgkmcnt(0)
	s_barrier
	buffer_gl0_inv
	s_branch .LBB172_45
.LBB172_44:                             ;   in Loop: Header=BB172_45 Depth=1
	s_or_b32 exec_lo, exec_lo, s31
	s_waitcnt lgkmcnt(0)
	s_barrier
	buffer_gl0_inv
	ds_load_b32 v2, v8
	v_add_nc_u32_e32 v5, 0x400, v5
	v_add_nc_u32_e32 v6, 0x1000, v6
	s_delay_alu instid0(VALU_DEP_2) | instskip(NEXT) | instid1(VALU_DEP_1)
	v_cmp_lt_u32_e64 s31, 0x1bff, v5
	s_or_b32 s35, s31, s35
	s_waitcnt lgkmcnt(0)
	v_add_nc_u32_e32 v7, v2, v7
	s_and_not1_b32 exec_lo, exec_lo, s35
	s_cbranch_execz .LBB172_111
.LBB172_45:                             ; =>This Inner Loop Header: Depth=1
	ds_load_2addr_stride64_b32 v[2:3], v6 offset1:128
	s_waitcnt lgkmcnt(0)
	s_barrier
	buffer_gl0_inv
	v_cmp_gt_i32_e64 s31, s33, v2
	s_delay_alu instid0(VALU_DEP_1) | instskip(NEXT) | instid1(SALU_CYCLE_1)
	s_bcnt1_i32_b32 s73, s31
	v_dual_mov_b32 v10, s73 :: v_dual_and_b32 v9, s31, v1
	s_delay_alu instid0(VALU_DEP_1)
	v_bcnt_u32_b32 v9, v9, 0
	ds_store_b32 v4, v10
	s_waitcnt lgkmcnt(0)
	s_barrier
	buffer_gl0_inv
	s_and_saveexec_b32 s73, s0
	s_cbranch_execnz .LBB172_78
; %bb.46:                               ;   in Loop: Header=BB172_45 Depth=1
	s_or_b32 exec_lo, exec_lo, s73
	s_and_saveexec_b32 s73, s1
	s_cbranch_execnz .LBB172_79
.LBB172_47:                             ;   in Loop: Header=BB172_45 Depth=1
	s_or_b32 exec_lo, exec_lo, s73
	s_and_saveexec_b32 s73, s2
	s_cbranch_execnz .LBB172_80
.LBB172_48:                             ;   in Loop: Header=BB172_45 Depth=1
	s_or_b32 exec_lo, exec_lo, s73
	s_and_saveexec_b32 s73, s3
	s_cbranch_execnz .LBB172_81
.LBB172_49:                             ;   in Loop: Header=BB172_45 Depth=1
	s_or_b32 exec_lo, exec_lo, s73
	s_and_saveexec_b32 s73, s4
	s_cbranch_execnz .LBB172_82
.LBB172_50:                             ;   in Loop: Header=BB172_45 Depth=1
	s_or_b32 exec_lo, exec_lo, s73
	s_and_saveexec_b32 s73, s5
	s_cbranch_execnz .LBB172_83
.LBB172_51:                             ;   in Loop: Header=BB172_45 Depth=1
	s_or_b32 exec_lo, exec_lo, s73
	s_and_saveexec_b32 s73, s6
	s_cbranch_execnz .LBB172_84
.LBB172_52:                             ;   in Loop: Header=BB172_45 Depth=1
	s_or_b32 exec_lo, exec_lo, s73
	s_and_saveexec_b32 s73, s7
	s_cbranch_execnz .LBB172_85
.LBB172_53:                             ;   in Loop: Header=BB172_45 Depth=1
	s_or_b32 exec_lo, exec_lo, s73
	s_and_saveexec_b32 s73, s8
	s_cbranch_execnz .LBB172_86
.LBB172_54:                             ;   in Loop: Header=BB172_45 Depth=1
	s_or_b32 exec_lo, exec_lo, s73
	s_and_saveexec_b32 s73, s9
	s_cbranch_execnz .LBB172_87
.LBB172_55:                             ;   in Loop: Header=BB172_45 Depth=1
	s_or_b32 exec_lo, exec_lo, s73
	s_and_saveexec_b32 s73, s10
	s_cbranch_execnz .LBB172_88
.LBB172_56:                             ;   in Loop: Header=BB172_45 Depth=1
	s_or_b32 exec_lo, exec_lo, s73
	s_and_saveexec_b32 s73, s11
	s_cbranch_execnz .LBB172_89
.LBB172_57:                             ;   in Loop: Header=BB172_45 Depth=1
	s_or_b32 exec_lo, exec_lo, s73
	s_and_saveexec_b32 s73, s12
	s_cbranch_execnz .LBB172_90
.LBB172_58:                             ;   in Loop: Header=BB172_45 Depth=1
	s_or_b32 exec_lo, exec_lo, s73
	s_and_saveexec_b32 s73, s13
	s_cbranch_execnz .LBB172_91
.LBB172_59:                             ;   in Loop: Header=BB172_45 Depth=1
	s_or_b32 exec_lo, exec_lo, s73
	s_and_saveexec_b32 s73, s14
	s_cbranch_execnz .LBB172_92
.LBB172_60:                             ;   in Loop: Header=BB172_45 Depth=1
	s_or_b32 exec_lo, exec_lo, s73
	s_and_saveexec_b32 s73, s15
	s_cbranch_execnz .LBB172_93
.LBB172_61:                             ;   in Loop: Header=BB172_45 Depth=1
	s_or_b32 exec_lo, exec_lo, s73
	s_and_saveexec_b32 s73, s16
	s_cbranch_execnz .LBB172_94
.LBB172_62:                             ;   in Loop: Header=BB172_45 Depth=1
	s_or_b32 exec_lo, exec_lo, s73
	s_and_saveexec_b32 s73, s17
	s_cbranch_execnz .LBB172_95
.LBB172_63:                             ;   in Loop: Header=BB172_45 Depth=1
	s_or_b32 exec_lo, exec_lo, s73
	s_and_saveexec_b32 s73, s18
	s_cbranch_execnz .LBB172_96
.LBB172_64:                             ;   in Loop: Header=BB172_45 Depth=1
	s_or_b32 exec_lo, exec_lo, s73
	s_and_saveexec_b32 s73, s19
	s_cbranch_execnz .LBB172_97
.LBB172_65:                             ;   in Loop: Header=BB172_45 Depth=1
	s_or_b32 exec_lo, exec_lo, s73
	s_and_saveexec_b32 s73, s20
	s_cbranch_execnz .LBB172_98
.LBB172_66:                             ;   in Loop: Header=BB172_45 Depth=1
	s_or_b32 exec_lo, exec_lo, s73
	s_and_saveexec_b32 s73, s21
	s_cbranch_execnz .LBB172_99
.LBB172_67:                             ;   in Loop: Header=BB172_45 Depth=1
	s_or_b32 exec_lo, exec_lo, s73
	s_and_saveexec_b32 s73, s22
	s_cbranch_execnz .LBB172_100
.LBB172_68:                             ;   in Loop: Header=BB172_45 Depth=1
	s_or_b32 exec_lo, exec_lo, s73
	s_and_saveexec_b32 s73, s23
	s_cbranch_execnz .LBB172_101
.LBB172_69:                             ;   in Loop: Header=BB172_45 Depth=1
	s_or_b32 exec_lo, exec_lo, s73
	s_and_saveexec_b32 s73, s24
	s_cbranch_execnz .LBB172_102
.LBB172_70:                             ;   in Loop: Header=BB172_45 Depth=1
	s_or_b32 exec_lo, exec_lo, s73
	s_and_saveexec_b32 s73, s25
	s_cbranch_execnz .LBB172_103
.LBB172_71:                             ;   in Loop: Header=BB172_45 Depth=1
	s_or_b32 exec_lo, exec_lo, s73
	s_and_saveexec_b32 s73, s26
	s_cbranch_execnz .LBB172_104
.LBB172_72:                             ;   in Loop: Header=BB172_45 Depth=1
	s_or_b32 exec_lo, exec_lo, s73
	s_and_saveexec_b32 s73, s27
	s_cbranch_execnz .LBB172_105
.LBB172_73:                             ;   in Loop: Header=BB172_45 Depth=1
	s_or_b32 exec_lo, exec_lo, s73
	s_and_saveexec_b32 s73, s28
	s_cbranch_execnz .LBB172_106
.LBB172_74:                             ;   in Loop: Header=BB172_45 Depth=1
	s_or_b32 exec_lo, exec_lo, s73
	s_and_saveexec_b32 s73, s29
	s_cbranch_execnz .LBB172_107
.LBB172_75:                             ;   in Loop: Header=BB172_45 Depth=1
	s_or_b32 exec_lo, exec_lo, s73
	s_and_saveexec_b32 s73, s30
	s_cbranch_execnz .LBB172_108
.LBB172_76:                             ;   in Loop: Header=BB172_45 Depth=1
	s_or_b32 exec_lo, exec_lo, s73
	s_and_saveexec_b32 s73, s31
	s_cbranch_execnz .LBB172_109
.LBB172_77:                             ;   in Loop: Header=BB172_45 Depth=1
	s_or_b32 exec_lo, exec_lo, s73
	s_and_saveexec_b32 s31, vcc_lo
	s_cbranch_execz .LBB172_44
	s_branch .LBB172_110
.LBB172_78:                             ;   in Loop: Header=BB172_45 Depth=1
	v_mov_b32_e32 v10, s39
	ds_load_b32 v10, v10
	s_waitcnt lgkmcnt(0)
	v_add_nc_u32_e32 v9, v10, v9
	s_or_b32 exec_lo, exec_lo, s73
	s_and_saveexec_b32 s73, s1
	s_cbranch_execz .LBB172_47
.LBB172_79:                             ;   in Loop: Header=BB172_45 Depth=1
	v_mov_b32_e32 v10, s42
	ds_load_b32 v10, v10
	s_waitcnt lgkmcnt(0)
	v_add_nc_u32_e32 v9, v10, v9
	s_or_b32 exec_lo, exec_lo, s73
	s_and_saveexec_b32 s73, s2
	s_cbranch_execz .LBB172_48
.LBB172_80:                             ;   in Loop: Header=BB172_45 Depth=1
	v_mov_b32_e32 v10, s43
	ds_load_b32 v10, v10
	s_waitcnt lgkmcnt(0)
	v_add_nc_u32_e32 v9, v10, v9
	s_or_b32 exec_lo, exec_lo, s73
	s_and_saveexec_b32 s73, s3
	s_cbranch_execz .LBB172_49
.LBB172_81:                             ;   in Loop: Header=BB172_45 Depth=1
	v_mov_b32_e32 v10, s44
	ds_load_b32 v10, v10
	s_waitcnt lgkmcnt(0)
	v_add_nc_u32_e32 v9, v10, v9
	s_or_b32 exec_lo, exec_lo, s73
	s_and_saveexec_b32 s73, s4
	s_cbranch_execz .LBB172_50
.LBB172_82:                             ;   in Loop: Header=BB172_45 Depth=1
	v_mov_b32_e32 v10, s45
	ds_load_b32 v10, v10
	s_waitcnt lgkmcnt(0)
	v_add_nc_u32_e32 v9, v10, v9
	s_or_b32 exec_lo, exec_lo, s73
	s_and_saveexec_b32 s73, s5
	s_cbranch_execz .LBB172_51
.LBB172_83:                             ;   in Loop: Header=BB172_45 Depth=1
	v_mov_b32_e32 v10, s46
	ds_load_b32 v10, v10
	s_waitcnt lgkmcnt(0)
	v_add_nc_u32_e32 v9, v10, v9
	s_or_b32 exec_lo, exec_lo, s73
	s_and_saveexec_b32 s73, s6
	s_cbranch_execz .LBB172_52
.LBB172_84:                             ;   in Loop: Header=BB172_45 Depth=1
	v_mov_b32_e32 v10, s47
	ds_load_b32 v10, v10
	s_waitcnt lgkmcnt(0)
	v_add_nc_u32_e32 v9, v10, v9
	s_or_b32 exec_lo, exec_lo, s73
	s_and_saveexec_b32 s73, s7
	s_cbranch_execz .LBB172_53
.LBB172_85:                             ;   in Loop: Header=BB172_45 Depth=1
	v_mov_b32_e32 v10, s48
	ds_load_b32 v10, v10
	s_waitcnt lgkmcnt(0)
	v_add_nc_u32_e32 v9, v10, v9
	s_or_b32 exec_lo, exec_lo, s73
	s_and_saveexec_b32 s73, s8
	s_cbranch_execz .LBB172_54
.LBB172_86:                             ;   in Loop: Header=BB172_45 Depth=1
	v_mov_b32_e32 v10, s49
	ds_load_b32 v10, v10
	s_waitcnt lgkmcnt(0)
	v_add_nc_u32_e32 v9, v10, v9
	s_or_b32 exec_lo, exec_lo, s73
	s_and_saveexec_b32 s73, s9
	s_cbranch_execz .LBB172_55
.LBB172_87:                             ;   in Loop: Header=BB172_45 Depth=1
	v_mov_b32_e32 v10, s50
	ds_load_b32 v10, v10
	s_waitcnt lgkmcnt(0)
	v_add_nc_u32_e32 v9, v10, v9
	s_or_b32 exec_lo, exec_lo, s73
	s_and_saveexec_b32 s73, s10
	s_cbranch_execz .LBB172_56
.LBB172_88:                             ;   in Loop: Header=BB172_45 Depth=1
	v_mov_b32_e32 v10, s51
	ds_load_b32 v10, v10
	s_waitcnt lgkmcnt(0)
	v_add_nc_u32_e32 v9, v10, v9
	s_or_b32 exec_lo, exec_lo, s73
	s_and_saveexec_b32 s73, s11
	s_cbranch_execz .LBB172_57
.LBB172_89:                             ;   in Loop: Header=BB172_45 Depth=1
	v_mov_b32_e32 v10, s52
	ds_load_b32 v10, v10
	s_waitcnt lgkmcnt(0)
	v_add_nc_u32_e32 v9, v10, v9
	s_or_b32 exec_lo, exec_lo, s73
	s_and_saveexec_b32 s73, s12
	s_cbranch_execz .LBB172_58
.LBB172_90:                             ;   in Loop: Header=BB172_45 Depth=1
	v_mov_b32_e32 v10, s53
	ds_load_b32 v10, v10
	s_waitcnt lgkmcnt(0)
	v_add_nc_u32_e32 v9, v10, v9
	s_or_b32 exec_lo, exec_lo, s73
	s_and_saveexec_b32 s73, s13
	s_cbranch_execz .LBB172_59
.LBB172_91:                             ;   in Loop: Header=BB172_45 Depth=1
	v_mov_b32_e32 v10, s54
	ds_load_b32 v10, v10
	s_waitcnt lgkmcnt(0)
	v_add_nc_u32_e32 v9, v10, v9
	s_or_b32 exec_lo, exec_lo, s73
	s_and_saveexec_b32 s73, s14
	s_cbranch_execz .LBB172_60
.LBB172_92:                             ;   in Loop: Header=BB172_45 Depth=1
	v_mov_b32_e32 v10, s55
	ds_load_b32 v10, v10
	s_waitcnt lgkmcnt(0)
	v_add_nc_u32_e32 v9, v10, v9
	s_or_b32 exec_lo, exec_lo, s73
	s_and_saveexec_b32 s73, s15
	s_cbranch_execz .LBB172_61
.LBB172_93:                             ;   in Loop: Header=BB172_45 Depth=1
	v_mov_b32_e32 v10, s56
	ds_load_b32 v10, v10
	s_waitcnt lgkmcnt(0)
	v_add_nc_u32_e32 v9, v10, v9
	s_or_b32 exec_lo, exec_lo, s73
	s_and_saveexec_b32 s73, s16
	s_cbranch_execz .LBB172_62
.LBB172_94:                             ;   in Loop: Header=BB172_45 Depth=1
	v_mov_b32_e32 v10, s57
	ds_load_b32 v10, v10
	s_waitcnt lgkmcnt(0)
	v_add_nc_u32_e32 v9, v10, v9
	s_or_b32 exec_lo, exec_lo, s73
	s_and_saveexec_b32 s73, s17
	s_cbranch_execz .LBB172_63
.LBB172_95:                             ;   in Loop: Header=BB172_45 Depth=1
	v_mov_b32_e32 v10, s58
	ds_load_b32 v10, v10
	s_waitcnt lgkmcnt(0)
	v_add_nc_u32_e32 v9, v10, v9
	s_or_b32 exec_lo, exec_lo, s73
	s_and_saveexec_b32 s73, s18
	s_cbranch_execz .LBB172_64
.LBB172_96:                             ;   in Loop: Header=BB172_45 Depth=1
	v_mov_b32_e32 v10, s59
	ds_load_b32 v10, v10
	s_waitcnt lgkmcnt(0)
	v_add_nc_u32_e32 v9, v10, v9
	s_or_b32 exec_lo, exec_lo, s73
	s_and_saveexec_b32 s73, s19
	s_cbranch_execz .LBB172_65
.LBB172_97:                             ;   in Loop: Header=BB172_45 Depth=1
	v_mov_b32_e32 v10, s60
	ds_load_b32 v10, v10
	s_waitcnt lgkmcnt(0)
	v_add_nc_u32_e32 v9, v10, v9
	s_or_b32 exec_lo, exec_lo, s73
	s_and_saveexec_b32 s73, s20
	s_cbranch_execz .LBB172_66
.LBB172_98:                             ;   in Loop: Header=BB172_45 Depth=1
	v_mov_b32_e32 v10, s61
	ds_load_b32 v10, v10
	s_waitcnt lgkmcnt(0)
	v_add_nc_u32_e32 v9, v10, v9
	s_or_b32 exec_lo, exec_lo, s73
	s_and_saveexec_b32 s73, s21
	s_cbranch_execz .LBB172_67
.LBB172_99:                             ;   in Loop: Header=BB172_45 Depth=1
	v_mov_b32_e32 v10, s62
	ds_load_b32 v10, v10
	s_waitcnt lgkmcnt(0)
	v_add_nc_u32_e32 v9, v10, v9
	s_or_b32 exec_lo, exec_lo, s73
	s_and_saveexec_b32 s73, s22
	s_cbranch_execz .LBB172_68
.LBB172_100:                            ;   in Loop: Header=BB172_45 Depth=1
	v_mov_b32_e32 v10, s63
	ds_load_b32 v10, v10
	s_waitcnt lgkmcnt(0)
	v_add_nc_u32_e32 v9, v10, v9
	s_or_b32 exec_lo, exec_lo, s73
	s_and_saveexec_b32 s73, s23
	s_cbranch_execz .LBB172_69
.LBB172_101:                            ;   in Loop: Header=BB172_45 Depth=1
	v_mov_b32_e32 v10, s64
	ds_load_b32 v10, v10
	s_waitcnt lgkmcnt(0)
	v_add_nc_u32_e32 v9, v10, v9
	s_or_b32 exec_lo, exec_lo, s73
	s_and_saveexec_b32 s73, s24
	s_cbranch_execz .LBB172_70
.LBB172_102:                            ;   in Loop: Header=BB172_45 Depth=1
	v_mov_b32_e32 v10, s65
	ds_load_b32 v10, v10
	s_waitcnt lgkmcnt(0)
	v_add_nc_u32_e32 v9, v10, v9
	s_or_b32 exec_lo, exec_lo, s73
	s_and_saveexec_b32 s73, s25
	s_cbranch_execz .LBB172_71
.LBB172_103:                            ;   in Loop: Header=BB172_45 Depth=1
	v_mov_b32_e32 v10, s66
	ds_load_b32 v10, v10
	s_waitcnt lgkmcnt(0)
	v_add_nc_u32_e32 v9, v10, v9
	s_or_b32 exec_lo, exec_lo, s73
	s_and_saveexec_b32 s73, s26
	s_cbranch_execz .LBB172_72
.LBB172_104:                            ;   in Loop: Header=BB172_45 Depth=1
	v_mov_b32_e32 v10, s67
	ds_load_b32 v10, v10
	s_waitcnt lgkmcnt(0)
	v_add_nc_u32_e32 v9, v10, v9
	s_or_b32 exec_lo, exec_lo, s73
	s_and_saveexec_b32 s73, s27
	s_cbranch_execz .LBB172_73
.LBB172_105:                            ;   in Loop: Header=BB172_45 Depth=1
	v_mov_b32_e32 v10, s69
	ds_load_b32 v10, v10
	s_waitcnt lgkmcnt(0)
	v_add_nc_u32_e32 v9, v10, v9
	s_or_b32 exec_lo, exec_lo, s73
	s_and_saveexec_b32 s73, s28
	s_cbranch_execz .LBB172_74
.LBB172_106:                            ;   in Loop: Header=BB172_45 Depth=1
	v_mov_b32_e32 v10, s70
	ds_load_b32 v10, v10
	s_waitcnt lgkmcnt(0)
	v_add_nc_u32_e32 v9, v10, v9
	s_or_b32 exec_lo, exec_lo, s73
	s_and_saveexec_b32 s73, s29
	s_cbranch_execz .LBB172_75
.LBB172_107:                            ;   in Loop: Header=BB172_45 Depth=1
	v_mov_b32_e32 v10, s71
	ds_load_b32 v10, v10
	s_waitcnt lgkmcnt(0)
	v_add_nc_u32_e32 v9, v10, v9
	s_or_b32 exec_lo, exec_lo, s73
	s_and_saveexec_b32 s73, s30
	s_cbranch_execz .LBB172_76
.LBB172_108:                            ;   in Loop: Header=BB172_45 Depth=1
	v_mov_b32_e32 v10, s72
	ds_load_b32 v10, v10
	s_waitcnt lgkmcnt(0)
	v_add_nc_u32_e32 v9, v10, v9
	s_or_b32 exec_lo, exec_lo, s73
	s_and_saveexec_b32 s73, s31
	s_cbranch_execz .LBB172_77
.LBB172_109:                            ;   in Loop: Header=BB172_45 Depth=1
	s_delay_alu instid0(VALU_DEP_1) | instskip(NEXT) | instid1(VALU_DEP_1)
	v_add3_u32 v10, v7, -1, v9
	v_lshl_add_u32 v10, v10, 2, 0
	ds_store_2addr_stride64_b32 v10, v2, v3 offset1:128
	s_or_b32 exec_lo, exec_lo, s73
	s_and_saveexec_b32 s31, vcc_lo
	s_cbranch_execz .LBB172_44
.LBB172_110:                            ;   in Loop: Header=BB172_45 Depth=1
	v_mov_b32_e32 v2, s68
	ds_store_b32 v2, v9
	s_branch .LBB172_44
.LBB172_111:
	s_or_b32 exec_lo, exec_lo, s35
	s_ashr_i32 s35, s34, 31
	s_mov_b32 s4, exec_lo
	s_lshl_b64 s[0:1], s[34:35], 3
	s_delay_alu instid0(SALU_CYCLE_1) | instskip(SKIP_4) | instid1(SALU_CYCLE_1)
	s_add_u32 s0, s40, s0
	s_addc_u32 s1, s41, s1
	s_load_b128 s[0:3], s[0:1], 0x0
	s_waitcnt lgkmcnt(0)
	s_sub_i32 s3, s2, s0
	v_cmpx_gt_i32_e64 s3, v0
	s_cbranch_execz .LBB172_121
; %bb.112:
	s_sub_u32 s4, s0, s38
	s_subb_u32 s5, s1, 0
	s_sub_i32 s0, s0, s2
	s_and_b32 s1, s3, 7
	s_cmp_lt_u32 s0, -7
	s_mov_b32 s8, 0
	s_cselect_b32 s2, -1, 0
	s_and_b32 s6, s3, -8
	s_cmp_lg_u32 s1, 0
	s_cselect_b32 s7, -1, 0
	s_branch .LBB172_114
.LBB172_113:                            ;   in Loop: Header=BB172_114 Depth=1
	s_delay_alu instid0(VALU_DEP_1) | instskip(SKIP_1) | instid1(VALU_DEP_1)
	v_lshlrev_b64 v[3:4], 2, v[3:4]
	v_add_nc_u32_e32 v0, 0x400, v0
	v_cmp_le_i32_e32 vcc_lo, s3, v0
	s_delay_alu instid0(VALU_DEP_3) | instskip(NEXT) | instid1(VALU_DEP_1)
	v_add_co_u32 v3, s0, s36, v3
	v_add_co_ci_u32_e64 v4, s0, s37, v4, s0
	s_or_b32 s8, vcc_lo, s8
	s_waitcnt lgkmcnt(0)
	global_store_b32 v[3:4], v2, off
	s_and_not1_b32 exec_lo, exec_lo, s8
	s_cbranch_execz .LBB172_121
.LBB172_114:                            ; =>This Loop Header: Depth=1
                                        ;     Child Loop BB172_116 Depth 2
                                        ;     Child Loop BB172_120 Depth 2
	v_lshl_add_u32 v1, v0, 2, 0
	v_dual_mov_b32 v3, s4 :: v_dual_mov_b32 v4, s5
	s_and_not1_b32 vcc_lo, exec_lo, s2
	s_mov_b32 s0, 0
	ds_load_2addr_stride64_b32 v[1:2], v1 offset1:128
	s_cbranch_vccnz .LBB172_118
; %bb.115:                              ;   in Loop: Header=BB172_114 Depth=1
	v_dual_mov_b32 v3, s4 :: v_dual_mov_b32 v4, s5
	s_mov_b32 s9, 0
	s_mov_b32 s10, 0
.LBB172_116:                            ;   Parent Loop BB172_114 Depth=1
                                        ; =>  This Inner Loop Header: Depth=2
	s_delay_alu instid0(SALU_CYCLE_1)
	v_mov_b32_e32 v11, s10
	s_add_i32 s9, s9, 8
	s_add_i32 s10, s10, 32
	s_cmp_eq_u32 s6, s9
	ds_load_2addr_b32 v[5:6], v11 offset1:1
	ds_load_2addr_b32 v[7:8], v11 offset0:2 offset1:3
	ds_load_2addr_b32 v[9:10], v11 offset0:4 offset1:5
	;; [unrolled: 1-line block ×3, first 2 shown]
	s_waitcnt lgkmcnt(3)
	v_cmp_gt_i32_e32 vcc_lo, v1, v5
	v_cndmask_b32_e64 v5, 0, 1, vcc_lo
	v_cmp_gt_i32_e32 vcc_lo, v1, v6
	v_cndmask_b32_e64 v6, 0, 1, vcc_lo
	s_waitcnt lgkmcnt(2)
	v_cmp_gt_i32_e32 vcc_lo, v1, v7
	v_cndmask_b32_e64 v7, 0, 1, vcc_lo
	v_cmp_gt_i32_e32 vcc_lo, v1, v8
	v_cndmask_b32_e64 v8, 0, 1, vcc_lo
	s_waitcnt lgkmcnt(1)
	v_cmp_gt_i32_e32 vcc_lo, v1, v9
	v_cndmask_b32_e64 v9, 0, 1, vcc_lo
	v_add_co_u32 v3, vcc_lo, v3, v5
	v_add_co_ci_u32_e32 v4, vcc_lo, 0, v4, vcc_lo
	v_cmp_gt_i32_e32 vcc_lo, v1, v10
	s_delay_alu instid0(VALU_DEP_3) | instskip(NEXT) | instid1(VALU_DEP_1)
	v_add_co_u32 v3, s0, v3, v6
	v_add_co_ci_u32_e64 v4, s0, 0, v4, s0
	v_cndmask_b32_e64 v5, 0, 1, vcc_lo
	s_delay_alu instid0(VALU_DEP_3) | instskip(NEXT) | instid1(VALU_DEP_3)
	v_add_co_u32 v3, vcc_lo, v3, v7
	v_add_co_ci_u32_e32 v4, vcc_lo, 0, v4, vcc_lo
	s_waitcnt lgkmcnt(0)
	v_cmp_gt_i32_e32 vcc_lo, v1, v11
	s_delay_alu instid0(VALU_DEP_3) | instskip(NEXT) | instid1(VALU_DEP_1)
	v_add_co_u32 v3, s0, v3, v8
	v_add_co_ci_u32_e64 v4, s0, 0, v4, s0
	v_cndmask_b32_e64 v6, 0, 1, vcc_lo
	s_delay_alu instid0(VALU_DEP_3) | instskip(NEXT) | instid1(VALU_DEP_3)
	v_add_co_u32 v3, vcc_lo, v3, v9
	v_add_co_ci_u32_e32 v4, vcc_lo, 0, v4, vcc_lo
	v_cmp_gt_i32_e32 vcc_lo, v1, v12
	s_delay_alu instid0(VALU_DEP_3) | instskip(NEXT) | instid1(VALU_DEP_1)
	v_add_co_u32 v3, s0, v3, v5
	v_add_co_ci_u32_e64 v4, s0, 0, v4, s0
	v_cndmask_b32_e64 v5, 0, 1, vcc_lo
	s_delay_alu instid0(VALU_DEP_3) | instskip(NEXT) | instid1(VALU_DEP_3)
	v_add_co_u32 v3, vcc_lo, v3, v6
	v_add_co_ci_u32_e32 v4, vcc_lo, 0, v4, vcc_lo
	s_delay_alu instid0(VALU_DEP_2) | instskip(NEXT) | instid1(VALU_DEP_2)
	v_add_co_u32 v3, vcc_lo, v3, v5
	v_add_co_ci_u32_e32 v4, vcc_lo, 0, v4, vcc_lo
	s_cbranch_scc0 .LBB172_116
; %bb.117:                              ;   in Loop: Header=BB172_114 Depth=1
	s_mov_b32 s0, s6
.LBB172_118:                            ;   in Loop: Header=BB172_114 Depth=1
	s_and_not1_b32 vcc_lo, exec_lo, s7
	s_cbranch_vccnz .LBB172_113
; %bb.119:                              ;   in Loop: Header=BB172_114 Depth=1
	s_lshl_b32 s0, s0, 2
	s_mov_b32 s9, s1
	s_add_i32 s0, s0, 0
.LBB172_120:                            ;   Parent Loop BB172_114 Depth=1
                                        ; =>  This Inner Loop Header: Depth=2
	s_delay_alu instid0(SALU_CYCLE_1)
	v_mov_b32_e32 v5, s0
	s_add_i32 s9, s9, -1
	s_add_i32 s0, s0, 4
	s_cmp_lg_u32 s9, 0
	ds_load_b32 v5, v5
	s_waitcnt lgkmcnt(0)
	v_cmp_gt_i32_e32 vcc_lo, v1, v5
	v_cndmask_b32_e64 v5, 0, 1, vcc_lo
	s_delay_alu instid0(VALU_DEP_1)
	v_add_co_u32 v3, vcc_lo, v3, v5
	v_add_co_ci_u32_e32 v4, vcc_lo, 0, v4, vcc_lo
	s_cbranch_scc1 .LBB172_120
	s_branch .LBB172_113
.LBB172_121:
	s_nop 0
	s_sendmsg sendmsg(MSG_DEALLOC_VGPRS)
	s_endpgm
	.section	.rodata,"a",@progbits
	.p2align	6, 0x0
	.amdhsa_kernel _ZN9rocsparseL41csrgemm_numeric_fill_block_per_row_kernelILj1024ELj64ELj8192ELj137ELj32ElifEEvT5_PKS1_S3_NS_24const_host_device_scalarIT6_EEPKT4_S3_PKS5_S9_S3_SB_S6_S9_S3_SB_S9_S3_PS5_21rocsparse_index_base_SD_SD_SD_bbb
		.amdhsa_group_segment_fixed_size 0
		.amdhsa_private_segment_fixed_size 0
		.amdhsa_kernarg_size 156
		.amdhsa_user_sgpr_count 15
		.amdhsa_user_sgpr_dispatch_ptr 0
		.amdhsa_user_sgpr_queue_ptr 0
		.amdhsa_user_sgpr_kernarg_segment_ptr 1
		.amdhsa_user_sgpr_dispatch_id 0
		.amdhsa_user_sgpr_private_segment_size 0
		.amdhsa_wavefront_size32 1
		.amdhsa_uses_dynamic_stack 0
		.amdhsa_enable_private_segment 0
		.amdhsa_system_sgpr_workgroup_id_x 1
		.amdhsa_system_sgpr_workgroup_id_y 0
		.amdhsa_system_sgpr_workgroup_id_z 0
		.amdhsa_system_sgpr_workgroup_info 0
		.amdhsa_system_vgpr_workitem_id 0
		.amdhsa_next_free_vgpr 17
		.amdhsa_next_free_sgpr 74
		.amdhsa_reserve_vcc 1
		.amdhsa_float_round_mode_32 0
		.amdhsa_float_round_mode_16_64 0
		.amdhsa_float_denorm_mode_32 3
		.amdhsa_float_denorm_mode_16_64 3
		.amdhsa_dx10_clamp 1
		.amdhsa_ieee_mode 1
		.amdhsa_fp16_overflow 0
		.amdhsa_workgroup_processor_mode 1
		.amdhsa_memory_ordered 1
		.amdhsa_forward_progress 0
		.amdhsa_shared_vgpr_count 0
		.amdhsa_exception_fp_ieee_invalid_op 0
		.amdhsa_exception_fp_denorm_src 0
		.amdhsa_exception_fp_ieee_div_zero 0
		.amdhsa_exception_fp_ieee_overflow 0
		.amdhsa_exception_fp_ieee_underflow 0
		.amdhsa_exception_fp_ieee_inexact 0
		.amdhsa_exception_int_div_zero 0
	.end_amdhsa_kernel
	.section	.text._ZN9rocsparseL41csrgemm_numeric_fill_block_per_row_kernelILj1024ELj64ELj8192ELj137ELj32ElifEEvT5_PKS1_S3_NS_24const_host_device_scalarIT6_EEPKT4_S3_PKS5_S9_S3_SB_S6_S9_S3_SB_S9_S3_PS5_21rocsparse_index_base_SD_SD_SD_bbb,"axG",@progbits,_ZN9rocsparseL41csrgemm_numeric_fill_block_per_row_kernelILj1024ELj64ELj8192ELj137ELj32ElifEEvT5_PKS1_S3_NS_24const_host_device_scalarIT6_EEPKT4_S3_PKS5_S9_S3_SB_S6_S9_S3_SB_S9_S3_PS5_21rocsparse_index_base_SD_SD_SD_bbb,comdat
.Lfunc_end172:
	.size	_ZN9rocsparseL41csrgemm_numeric_fill_block_per_row_kernelILj1024ELj64ELj8192ELj137ELj32ElifEEvT5_PKS1_S3_NS_24const_host_device_scalarIT6_EEPKT4_S3_PKS5_S9_S3_SB_S6_S9_S3_SB_S9_S3_PS5_21rocsparse_index_base_SD_SD_SD_bbb, .Lfunc_end172-_ZN9rocsparseL41csrgemm_numeric_fill_block_per_row_kernelILj1024ELj64ELj8192ELj137ELj32ElifEEvT5_PKS1_S3_NS_24const_host_device_scalarIT6_EEPKT4_S3_PKS5_S9_S3_SB_S6_S9_S3_SB_S9_S3_PS5_21rocsparse_index_base_SD_SD_SD_bbb
                                        ; -- End function
	.section	.AMDGPU.csdata,"",@progbits
; Kernel info:
; codeLenInByte = 4596
; NumSgprs: 76
; NumVgprs: 17
; ScratchSize: 0
; MemoryBound: 0
; FloatMode: 240
; IeeeMode: 1
; LDSByteSize: 0 bytes/workgroup (compile time only)
; SGPRBlocks: 9
; VGPRBlocks: 2
; NumSGPRsForWavesPerEU: 76
; NumVGPRsForWavesPerEU: 17
; Occupancy: 16
; WaveLimiterHint : 1
; COMPUTE_PGM_RSRC2:SCRATCH_EN: 0
; COMPUTE_PGM_RSRC2:USER_SGPR: 15
; COMPUTE_PGM_RSRC2:TRAP_HANDLER: 0
; COMPUTE_PGM_RSRC2:TGID_X_EN: 1
; COMPUTE_PGM_RSRC2:TGID_Y_EN: 0
; COMPUTE_PGM_RSRC2:TGID_Z_EN: 0
; COMPUTE_PGM_RSRC2:TIDIG_COMP_CNT: 0
	.section	.text._ZN9rocsparseL41csrgemm_numeric_fill_block_per_row_kernelILj1024ELj64ELj8192ELj137ELj64ElifEEvT5_PKS1_S3_NS_24const_host_device_scalarIT6_EEPKT4_S3_PKS5_S9_S3_SB_S6_S9_S3_SB_S9_S3_PS5_21rocsparse_index_base_SD_SD_SD_bbb,"axG",@progbits,_ZN9rocsparseL41csrgemm_numeric_fill_block_per_row_kernelILj1024ELj64ELj8192ELj137ELj64ElifEEvT5_PKS1_S3_NS_24const_host_device_scalarIT6_EEPKT4_S3_PKS5_S9_S3_SB_S6_S9_S3_SB_S9_S3_PS5_21rocsparse_index_base_SD_SD_SD_bbb,comdat
	.globl	_ZN9rocsparseL41csrgemm_numeric_fill_block_per_row_kernelILj1024ELj64ELj8192ELj137ELj64ElifEEvT5_PKS1_S3_NS_24const_host_device_scalarIT6_EEPKT4_S3_PKS5_S9_S3_SB_S6_S9_S3_SB_S9_S3_PS5_21rocsparse_index_base_SD_SD_SD_bbb ; -- Begin function _ZN9rocsparseL41csrgemm_numeric_fill_block_per_row_kernelILj1024ELj64ELj8192ELj137ELj64ElifEEvT5_PKS1_S3_NS_24const_host_device_scalarIT6_EEPKT4_S3_PKS5_S9_S3_SB_S6_S9_S3_SB_S9_S3_PS5_21rocsparse_index_base_SD_SD_SD_bbb
	.p2align	8
	.type	_ZN9rocsparseL41csrgemm_numeric_fill_block_per_row_kernelILj1024ELj64ELj8192ELj137ELj64ElifEEvT5_PKS1_S3_NS_24const_host_device_scalarIT6_EEPKT4_S3_PKS5_S9_S3_SB_S6_S9_S3_SB_S9_S3_PS5_21rocsparse_index_base_SD_SD_SD_bbb,@function
_ZN9rocsparseL41csrgemm_numeric_fill_block_per_row_kernelILj1024ELj64ELj8192ELj137ELj64ElifEEvT5_PKS1_S3_NS_24const_host_device_scalarIT6_EEPKT4_S3_PKS5_S9_S3_SB_S6_S9_S3_SB_S9_S3_PS5_21rocsparse_index_base_SD_SD_SD_bbb: ; @_ZN9rocsparseL41csrgemm_numeric_fill_block_per_row_kernelILj1024ELj64ELj8192ELj137ELj64ElifEEvT5_PKS1_S3_NS_24const_host_device_scalarIT6_EEPKT4_S3_PKS5_S9_S3_SB_S6_S9_S3_SB_S9_S3_PS5_21rocsparse_index_base_SD_SD_SD_bbb
; %bb.0:
	s_clause 0x4
	s_load_b32 s11, s[0:1], 0x98
	s_load_b128 s[4:7], s[0:1], 0x8
	s_load_b64 s[8:9], s[0:1], 0x18
	s_load_b128 s[16:19], s[0:1], 0x88
	s_load_b64 s[2:3], s[0:1], 0x50
	s_waitcnt lgkmcnt(0)
	s_bitcmp1_b32 s11, 0
	s_cselect_b32 s10, -1, 0
	s_bitcmp1_b32 s11, 16
	s_cselect_b32 s12, -1, 0
	s_xor_b32 s13, s10, -1
	s_delay_alu instid0(SALU_CYCLE_1) | instskip(NEXT) | instid1(SALU_CYCLE_1)
	s_or_b32 s13, s13, s12
	s_and_b32 vcc_lo, exec_lo, s13
	s_cbranch_vccnz .LBB173_2
; %bb.1:
	s_load_b32 s8, s[8:9], 0x0
	s_waitcnt lgkmcnt(0)
	v_mov_b32_e32 v11, s8
	s_branch .LBB173_3
.LBB173_2:
	v_cndmask_b32_e64 v11, 0, s8, s10
.LBB173_3:
	s_bitcmp1_b32 s11, 8
	s_cselect_b32 s14, -1, 0
	s_delay_alu instid0(SALU_CYCLE_1) | instskip(NEXT) | instid1(SALU_CYCLE_1)
	s_xor_b32 s8, s14, -1
	s_or_b32 s8, s8, s12
	s_delay_alu instid0(SALU_CYCLE_1)
	s_and_b32 vcc_lo, exec_lo, s8
	s_cbranch_vccnz .LBB173_5
; %bb.4:
	s_load_b32 s2, s[2:3], 0x0
	s_waitcnt lgkmcnt(0)
	v_mov_b32_e32 v9, s2
	s_branch .LBB173_6
.LBB173_5:
	v_cndmask_b32_e64 v9, 0, s2, s14
.LBB173_6:
	s_load_b32 s24, s[0:1], 0x0
	v_dual_mov_b32 v2, 0 :: v_dual_lshlrev_b32 v1, 2, v0
	s_mov_b32 s3, 0
	s_delay_alu instid0(VALU_DEP_1)
	v_add3_u32 v3, 0, 0x8000, v1
	v_add_nc_u32_e32 v1, 0, v1
	ds_store_2addr_stride64_b32 v3, v2, v2 offset0:16 offset1:32
	ds_store_2addr_stride64_b32 v3, v2, v2 offset0:48 offset1:64
	;; [unrolled: 1-line block ×3, first 2 shown]
	s_waitcnt lgkmcnt(0)
	v_dual_mov_b32 v4, s24 :: v_dual_mov_b32 v5, s24
	v_dual_mov_b32 v6, s24 :: v_dual_mov_b32 v7, s24
	v_mov_b32_e32 v8, s24
	v_dual_mov_b32 v10, s24 :: v_dual_mov_b32 v13, s24
	v_mov_b32_e32 v12, s24
	ds_store_b32 v1, v2 offset:32768
	ds_store_b32 v3, v2 offset:28672
	ds_store_2addr_stride64_b32 v1, v4, v5 offset1:16
	ds_store_2addr_stride64_b32 v1, v6, v7 offset0:32 offset1:48
	ds_store_2addr_stride64_b32 v1, v8, v10 offset0:64 offset1:80
	;; [unrolled: 1-line block ×3, first 2 shown]
	s_waitcnt lgkmcnt(0)
	s_barrier
	buffer_gl0_inv
	s_load_b32 s2, s[4:5], 0x0
	v_lshrrev_b32_e32 v10, 6, v0
	s_waitcnt lgkmcnt(0)
	s_add_i32 s2, s2, s15
	s_delay_alu instid0(SALU_CYCLE_1) | instskip(NEXT) | instid1(SALU_CYCLE_1)
	s_lshl_b64 s[2:3], s[2:3], 2
	s_add_u32 s2, s6, s2
	s_addc_u32 s3, s7, s3
	s_and_not1_b32 vcc_lo, exec_lo, s10
	s_load_b32 s20, s[2:3], 0x0
	s_cbranch_vccnz .LBB173_26
; %bb.7:
	s_load_b64 s[2:3], s[0:1], 0x20
	s_waitcnt lgkmcnt(0)
	s_ashr_i32 s21, s20, 31
	s_mov_b32 s15, exec_lo
	s_lshl_b64 s[4:5], s[20:21], 3
	s_delay_alu instid0(SALU_CYCLE_1) | instskip(SKIP_3) | instid1(VALU_DEP_1)
	s_add_u32 s2, s2, s4
	s_addc_u32 s3, s3, s5
	s_load_b128 s[4:7], s[2:3], 0x0
	v_sub_co_u32 v1, s2, v10, s16
	v_sub_co_ci_u32_e64 v2, null, 0, 0, s2
	s_waitcnt lgkmcnt(0)
	s_delay_alu instid0(VALU_DEP_2) | instskip(NEXT) | instid1(VALU_DEP_2)
	v_add_co_u32 v1, vcc_lo, s4, v1
	v_add_co_ci_u32_e32 v2, vcc_lo, s5, v2, vcc_lo
	s_sub_u32 s2, s6, s16
	s_subb_u32 s3, s7, 0
	s_delay_alu instid0(VALU_DEP_1) | instid1(SALU_CYCLE_1)
	v_cmpx_gt_i64_e64 s[2:3], v[1:2]
	s_cbranch_execz .LBB173_25
; %bb.8:
	s_clause 0x1
	s_load_b64 s[12:13], s[0:1], 0x48
	s_load_b256 s[4:11], s[0:1], 0x28
	v_and_b32_e32 v3, 63, v0
	s_mov_b32 s22, s17
	s_delay_alu instid0(VALU_DEP_1) | instskip(NEXT) | instid1(VALU_DEP_1)
	v_sub_co_u32 v12, s21, v3, s17
	v_sub_co_ci_u32_e64 v13, null, 0, 0, s21
	s_mov_b32 s21, 0
	s_branch .LBB173_10
.LBB173_9:                              ;   in Loop: Header=BB173_10 Depth=1
	s_or_b32 exec_lo, exec_lo, s23
	v_add_co_u32 v1, vcc_lo, v1, 16
	v_add_co_ci_u32_e32 v2, vcc_lo, 0, v2, vcc_lo
	s_delay_alu instid0(VALU_DEP_1) | instskip(SKIP_1) | instid1(SALU_CYCLE_1)
	v_cmp_le_i64_e32 vcc_lo, s[2:3], v[1:2]
	s_or_b32 s21, vcc_lo, s21
	s_and_not1_b32 exec_lo, exec_lo, s21
	s_cbranch_execz .LBB173_25
.LBB173_10:                             ; =>This Loop Header: Depth=1
                                        ;     Child Loop BB173_13 Depth 2
                                        ;       Child Loop BB173_15 Depth 3
	v_lshlrev_b64 v[7:8], 2, v[1:2]
	s_mov_b32 s23, exec_lo
	s_waitcnt lgkmcnt(0)
	s_delay_alu instid0(VALU_DEP_1) | instskip(NEXT) | instid1(VALU_DEP_2)
	v_add_co_u32 v3, vcc_lo, s4, v7
	v_add_co_ci_u32_e32 v4, vcc_lo, s5, v8, vcc_lo
	global_load_b32 v3, v[3:4], off
	s_waitcnt vmcnt(0)
	v_subrev_nc_u32_e32 v3, s16, v3
	s_delay_alu instid0(VALU_DEP_1) | instskip(NEXT) | instid1(VALU_DEP_1)
	v_ashrrev_i32_e32 v4, 31, v3
	v_lshlrev_b64 v[3:4], 3, v[3:4]
	s_delay_alu instid0(VALU_DEP_1) | instskip(NEXT) | instid1(VALU_DEP_2)
	v_add_co_u32 v3, vcc_lo, s8, v3
	v_add_co_ci_u32_e32 v4, vcc_lo, s9, v4, vcc_lo
	global_load_b128 v[14:17], v[3:4], off
	s_waitcnt vmcnt(0)
	v_sub_co_u32 v3, vcc_lo, v16, s22
	v_subrev_co_ci_u32_e32 v4, vcc_lo, 0, v17, vcc_lo
	v_add_co_u32 v5, vcc_lo, v14, v12
	v_add_co_ci_u32_e32 v6, vcc_lo, v15, v13, vcc_lo
	s_delay_alu instid0(VALU_DEP_1)
	v_cmpx_lt_i64_e64 v[5:6], v[3:4]
	s_cbranch_execz .LBB173_9
; %bb.11:                               ;   in Loop: Header=BB173_10 Depth=1
	v_add_co_u32 v7, vcc_lo, s6, v7
	v_add_co_ci_u32_e32 v8, vcc_lo, s7, v8, vcc_lo
	s_mov_b32 s25, 0
	global_load_b32 v7, v[7:8], off
	s_waitcnt vmcnt(0)
	v_mul_f32_e32 v7, v11, v7
	s_branch .LBB173_13
.LBB173_12:                             ;   in Loop: Header=BB173_13 Depth=2
	s_or_b32 exec_lo, exec_lo, s26
	v_add_co_u32 v5, vcc_lo, v5, 64
	v_add_co_ci_u32_e32 v6, vcc_lo, 0, v6, vcc_lo
	s_delay_alu instid0(VALU_DEP_1) | instskip(SKIP_1) | instid1(SALU_CYCLE_1)
	v_cmp_ge_i64_e32 vcc_lo, v[5:6], v[3:4]
	s_or_b32 s25, vcc_lo, s25
	s_and_not1_b32 exec_lo, exec_lo, s25
	s_cbranch_execz .LBB173_9
.LBB173_13:                             ;   Parent Loop BB173_10 Depth=1
                                        ; =>  This Loop Header: Depth=2
                                        ;       Child Loop BB173_15 Depth 3
	v_lshlrev_b64 v[14:15], 2, v[5:6]
	s_mov_b32 s26, 0
	s_delay_alu instid0(VALU_DEP_1) | instskip(NEXT) | instid1(VALU_DEP_2)
	v_add_co_u32 v16, vcc_lo, s10, v14
	v_add_co_ci_u32_e32 v17, vcc_lo, s11, v15, vcc_lo
	v_add_co_u32 v14, vcc_lo, s12, v14
	v_add_co_ci_u32_e32 v15, vcc_lo, s13, v15, vcc_lo
	global_load_b32 v8, v[16:17], off
	global_load_b32 v14, v[14:15], off
	s_waitcnt vmcnt(1)
	v_subrev_nc_u32_e32 v8, s17, v8
	s_delay_alu instid0(VALU_DEP_1) | instskip(SKIP_1) | instid1(VALU_DEP_1)
	v_mul_lo_u32 v15, 0x89, v8
	s_waitcnt vmcnt(0)
	v_dual_mul_f32 v14, v7, v14 :: v_dual_and_b32 v15, 0x1fff, v15
	s_branch .LBB173_15
.LBB173_14:                             ;   in Loop: Header=BB173_15 Depth=3
	s_or_b32 exec_lo, exec_lo, s27
	s_xor_b32 s27, s28, -1
	s_delay_alu instid0(SALU_CYCLE_1) | instskip(NEXT) | instid1(SALU_CYCLE_1)
	s_and_b32 s27, exec_lo, s27
	s_or_b32 s26, s27, s26
	s_delay_alu instid0(SALU_CYCLE_1)
	s_and_not1_b32 exec_lo, exec_lo, s26
	s_cbranch_execz .LBB173_12
.LBB173_15:                             ;   Parent Loop BB173_10 Depth=1
                                        ;     Parent Loop BB173_13 Depth=2
                                        ; =>    This Inner Loop Header: Depth=3
	s_delay_alu instid0(VALU_DEP_1)
	v_lshl_add_u32 v16, v15, 2, 0
	s_mov_b32 s27, exec_lo
                                        ; implicit-def: $sgpr28
	ds_load_b32 v17, v16
	s_waitcnt lgkmcnt(0)
	v_cmpx_ne_u32_e64 v17, v8
	s_xor_b32 s27, exec_lo, s27
	s_cbranch_execz .LBB173_23
; %bb.16:                               ;   in Loop: Header=BB173_15 Depth=3
	s_mov_b32 s29, exec_lo
                                        ; implicit-def: $sgpr28
	v_cmpx_ne_u32_e64 s24, v17
	s_xor_b32 s29, exec_lo, s29
; %bb.17:                               ;   in Loop: Header=BB173_15 Depth=3
	v_add_nc_u32_e32 v15, 1, v15
	s_mov_b32 s28, -1
                                        ; implicit-def: $vgpr16
	s_delay_alu instid0(VALU_DEP_1)
	v_and_b32_e32 v15, 0x1fff, v15
; %bb.18:                               ;   in Loop: Header=BB173_15 Depth=3
	s_and_not1_saveexec_b32 s29, s29
	s_cbranch_execz .LBB173_22
; %bb.19:                               ;   in Loop: Header=BB173_15 Depth=3
	v_mov_b32_e32 v17, s24
	s_mov_b32 s30, -1
	s_mov_b32 s31, exec_lo
	ds_cmpstore_rtn_b32 v17, v16, v8, v17
	s_waitcnt lgkmcnt(0)
	v_cmpx_eq_u32_e64 s24, v17
	s_cbranch_execz .LBB173_21
; %bb.20:                               ;   in Loop: Header=BB173_15 Depth=3
	ds_add_f32 v16, v14 offset:32768
	s_xor_b32 s30, exec_lo, -1
.LBB173_21:                             ;   in Loop: Header=BB173_15 Depth=3
	s_or_b32 exec_lo, exec_lo, s31
	s_delay_alu instid0(SALU_CYCLE_1) | instskip(SKIP_1) | instid1(SALU_CYCLE_1)
	s_and_not1_b32 s28, s28, exec_lo
	s_and_b32 s30, s30, exec_lo
	s_or_b32 s28, s28, s30
.LBB173_22:                             ;   in Loop: Header=BB173_15 Depth=3
	s_or_b32 exec_lo, exec_lo, s29
	s_delay_alu instid0(SALU_CYCLE_1)
	s_and_b32 s28, s28, exec_lo
                                        ; implicit-def: $vgpr16
.LBB173_23:                             ;   in Loop: Header=BB173_15 Depth=3
	s_and_not1_saveexec_b32 s27, s27
	s_cbranch_execz .LBB173_14
; %bb.24:                               ;   in Loop: Header=BB173_15 Depth=3
	ds_add_f32 v16, v14 offset:32768
	s_and_not1_b32 s28, s28, exec_lo
	s_branch .LBB173_14
.LBB173_25:
	s_or_b32 exec_lo, exec_lo, s15
.LBB173_26:
	s_clause 0x1
	s_load_b64 s[16:17], s[0:1], 0x80
	s_load_b64 s[22:23], s[0:1], 0x70
	s_and_not1_b32 vcc_lo, exec_lo, s14
	s_cbranch_vccnz .LBB173_43
; %bb.27:
	s_load_b64 s[2:3], s[0:1], 0x58
	s_waitcnt lgkmcnt(0)
	s_ashr_i32 s21, s20, 31
	s_delay_alu instid0(SALU_CYCLE_1) | instskip(NEXT) | instid1(SALU_CYCLE_1)
	s_lshl_b64 s[4:5], s[20:21], 3
	s_add_u32 s2, s2, s4
	s_addc_u32 s3, s3, s5
	s_load_b128 s[4:7], s[2:3], 0x0
	v_sub_co_u32 v1, s2, v0, s19
	s_delay_alu instid0(VALU_DEP_1) | instskip(SKIP_1) | instid1(VALU_DEP_2)
	v_sub_co_ci_u32_e64 v2, null, 0, 0, s2
	s_waitcnt lgkmcnt(0)
	v_add_co_u32 v1, vcc_lo, s4, v1
	s_delay_alu instid0(VALU_DEP_2)
	v_add_co_ci_u32_e32 v2, vcc_lo, s5, v2, vcc_lo
	s_sub_u32 s4, s6, s19
	s_subb_u32 s5, s7, 0
	s_mov_b32 s7, 0
	s_mov_b32 s6, exec_lo
	v_cmpx_gt_i64_e64 s[4:5], v[1:2]
	s_cbranch_execz .LBB173_42
; %bb.28:
	s_load_b128 s[0:3], s[0:1], 0x60
	s_branch .LBB173_30
.LBB173_29:                             ;   in Loop: Header=BB173_30 Depth=1
	s_or_b32 exec_lo, exec_lo, s8
	v_add_co_u32 v1, vcc_lo, 0x400, v1
	v_add_co_ci_u32_e32 v2, vcc_lo, 0, v2, vcc_lo
	s_delay_alu instid0(VALU_DEP_1) | instskip(SKIP_1) | instid1(SALU_CYCLE_1)
	v_cmp_le_i64_e32 vcc_lo, s[4:5], v[1:2]
	s_or_b32 s7, vcc_lo, s7
	s_and_not1_b32 exec_lo, exec_lo, s7
	s_cbranch_execz .LBB173_42
.LBB173_30:                             ; =>This Loop Header: Depth=1
                                        ;     Child Loop BB173_32 Depth 2
	v_lshlrev_b64 v[3:4], 2, v[1:2]
	s_mov_b32 s8, 0
	s_waitcnt lgkmcnt(0)
	s_delay_alu instid0(VALU_DEP_1) | instskip(NEXT) | instid1(VALU_DEP_2)
	v_add_co_u32 v5, vcc_lo, s0, v3
	v_add_co_ci_u32_e32 v6, vcc_lo, s1, v4, vcc_lo
	v_add_co_u32 v3, vcc_lo, s2, v3
	v_add_co_ci_u32_e32 v4, vcc_lo, s3, v4, vcc_lo
	global_load_b32 v5, v[5:6], off
	global_load_b32 v4, v[3:4], off
	s_waitcnt vmcnt(1)
	v_subrev_nc_u32_e32 v3, s19, v5
	s_delay_alu instid0(VALU_DEP_1) | instskip(SKIP_1) | instid1(VALU_DEP_1)
	v_mul_lo_u32 v5, 0x89, v3
	s_waitcnt vmcnt(0)
	v_dual_mul_f32 v4, v9, v4 :: v_dual_and_b32 v5, 0x1fff, v5
	s_branch .LBB173_32
.LBB173_31:                             ;   in Loop: Header=BB173_32 Depth=2
	s_or_b32 exec_lo, exec_lo, s9
	s_xor_b32 s9, s10, -1
	s_delay_alu instid0(SALU_CYCLE_1) | instskip(NEXT) | instid1(SALU_CYCLE_1)
	s_and_b32 s9, exec_lo, s9
	s_or_b32 s8, s9, s8
	s_delay_alu instid0(SALU_CYCLE_1)
	s_and_not1_b32 exec_lo, exec_lo, s8
	s_cbranch_execz .LBB173_29
.LBB173_32:                             ;   Parent Loop BB173_30 Depth=1
                                        ; =>  This Inner Loop Header: Depth=2
	s_delay_alu instid0(VALU_DEP_1)
	v_lshl_add_u32 v6, v5, 2, 0
	s_mov_b32 s9, exec_lo
                                        ; implicit-def: $sgpr10
	ds_load_b32 v7, v6
	s_waitcnt lgkmcnt(0)
	v_cmpx_ne_u32_e64 v7, v3
	s_xor_b32 s9, exec_lo, s9
	s_cbranch_execz .LBB173_40
; %bb.33:                               ;   in Loop: Header=BB173_32 Depth=2
	s_mov_b32 s11, exec_lo
                                        ; implicit-def: $sgpr10
	v_cmpx_ne_u32_e64 s24, v7
	s_xor_b32 s11, exec_lo, s11
; %bb.34:                               ;   in Loop: Header=BB173_32 Depth=2
	v_add_nc_u32_e32 v5, 1, v5
	s_mov_b32 s10, -1
                                        ; implicit-def: $vgpr6
	s_delay_alu instid0(VALU_DEP_1)
	v_and_b32_e32 v5, 0x1fff, v5
; %bb.35:                               ;   in Loop: Header=BB173_32 Depth=2
	s_and_not1_saveexec_b32 s11, s11
	s_cbranch_execz .LBB173_39
; %bb.36:                               ;   in Loop: Header=BB173_32 Depth=2
	v_mov_b32_e32 v7, s24
	s_mov_b32 s12, -1
	s_mov_b32 s13, exec_lo
	ds_cmpstore_rtn_b32 v7, v6, v3, v7
	s_waitcnt lgkmcnt(0)
	v_cmpx_eq_u32_e64 s24, v7
	s_cbranch_execz .LBB173_38
; %bb.37:                               ;   in Loop: Header=BB173_32 Depth=2
	ds_add_f32 v6, v4 offset:32768
	s_xor_b32 s12, exec_lo, -1
.LBB173_38:                             ;   in Loop: Header=BB173_32 Depth=2
	s_or_b32 exec_lo, exec_lo, s13
	s_delay_alu instid0(SALU_CYCLE_1) | instskip(SKIP_1) | instid1(SALU_CYCLE_1)
	s_and_not1_b32 s10, s10, exec_lo
	s_and_b32 s12, s12, exec_lo
	s_or_b32 s10, s10, s12
.LBB173_39:                             ;   in Loop: Header=BB173_32 Depth=2
	s_or_b32 exec_lo, exec_lo, s11
	s_delay_alu instid0(SALU_CYCLE_1)
	s_and_b32 s10, s10, exec_lo
                                        ; implicit-def: $vgpr6
.LBB173_40:                             ;   in Loop: Header=BB173_32 Depth=2
	s_and_not1_saveexec_b32 s9, s9
	s_cbranch_execz .LBB173_31
; %bb.41:                               ;   in Loop: Header=BB173_32 Depth=2
	ds_add_f32 v6, v4 offset:32768
	s_and_not1_b32 s10, s10, exec_lo
	s_branch .LBB173_31
.LBB173_42:
	s_or_b32 exec_lo, exec_lo, s6
.LBB173_43:
	v_mbcnt_lo_u32_b32 v1, -1, 0
	v_dual_mov_b32 v7, 0 :: v_dual_lshlrev_b32 v2, 2, v10
	s_add_i32 s36, 0, 0x1003c
	v_cmp_eq_u32_e32 vcc_lo, 0x3ff, v0
	s_delay_alu instid0(VALU_DEP_3) | instskip(NEXT) | instid1(VALU_DEP_3)
	v_xor_b32_e32 v1, 63, v1
	v_add3_u32 v4, 0, 0x10000, v2
	v_cmp_lt_u32_e64 s0, 63, v0
	v_cmp_lt_u32_e64 s1, 0x7f, v0
	;; [unrolled: 1-line block ×3, first 2 shown]
	v_lshrrev_b64 v[1:2], v1, -1
	v_cmp_lt_u32_e64 s3, 0xff, v0
	v_cmp_lt_u32_e64 s4, 0x13f, v0
	;; [unrolled: 1-line block ×12, first 2 shown]
	v_or_b32_e32 v5, 0xfffffc00, v0
	v_lshl_add_u32 v6, v0, 2, 0
	v_mov_b32_e32 v8, s36
	s_mov_b32 s19, 0
	s_add_i32 s21, 0, 0x10000
	s_add_i32 s25, 0, 0x10004
	;; [unrolled: 1-line block ×15, first 2 shown]
	s_waitcnt lgkmcnt(0)
	s_barrier
	buffer_gl0_inv
	s_branch .LBB173_45
.LBB173_44:                             ;   in Loop: Header=BB173_45 Depth=1
	s_or_b32 exec_lo, exec_lo, s15
	s_waitcnt lgkmcnt(0)
	s_barrier
	buffer_gl0_inv
	ds_load_b32 v2, v8
	v_add_nc_u32_e32 v5, 0x400, v5
	v_add_nc_u32_e32 v6, 0x1000, v6
	s_delay_alu instid0(VALU_DEP_2) | instskip(NEXT) | instid1(VALU_DEP_1)
	v_cmp_lt_u32_e64 s15, 0x1bff, v5
	s_or_b32 s19, s15, s19
	s_waitcnt lgkmcnt(0)
	v_add_nc_u32_e32 v7, v2, v7
	s_and_not1_b32 exec_lo, exec_lo, s19
	s_cbranch_execz .LBB173_79
.LBB173_45:                             ; =>This Inner Loop Header: Depth=1
	ds_load_2addr_stride64_b32 v[2:3], v6 offset1:128
	s_waitcnt lgkmcnt(0)
	s_barrier
	buffer_gl0_inv
	v_cmp_gt_i32_e64 s15, s24, v2
	s_delay_alu instid0(VALU_DEP_1) | instskip(NEXT) | instid1(SALU_CYCLE_1)
	s_bcnt1_i32_b32 s41, s15
	v_dual_mov_b32 v10, s41 :: v_dual_and_b32 v9, s15, v1
	s_delay_alu instid0(VALU_DEP_1)
	v_bcnt_u32_b32 v9, v9, 0
	ds_store_b32 v4, v10
	s_waitcnt lgkmcnt(0)
	s_barrier
	buffer_gl0_inv
	s_and_saveexec_b32 s41, s0
	s_cbranch_execnz .LBB173_62
; %bb.46:                               ;   in Loop: Header=BB173_45 Depth=1
	s_or_b32 exec_lo, exec_lo, s41
	s_and_saveexec_b32 s41, s1
	s_cbranch_execnz .LBB173_63
.LBB173_47:                             ;   in Loop: Header=BB173_45 Depth=1
	s_or_b32 exec_lo, exec_lo, s41
	s_and_saveexec_b32 s41, s2
	s_cbranch_execnz .LBB173_64
.LBB173_48:                             ;   in Loop: Header=BB173_45 Depth=1
	s_or_b32 exec_lo, exec_lo, s41
	s_and_saveexec_b32 s41, s3
	s_cbranch_execnz .LBB173_65
.LBB173_49:                             ;   in Loop: Header=BB173_45 Depth=1
	s_or_b32 exec_lo, exec_lo, s41
	s_and_saveexec_b32 s41, s4
	s_cbranch_execnz .LBB173_66
.LBB173_50:                             ;   in Loop: Header=BB173_45 Depth=1
	s_or_b32 exec_lo, exec_lo, s41
	s_and_saveexec_b32 s41, s5
	s_cbranch_execnz .LBB173_67
.LBB173_51:                             ;   in Loop: Header=BB173_45 Depth=1
	s_or_b32 exec_lo, exec_lo, s41
	s_and_saveexec_b32 s41, s6
	s_cbranch_execnz .LBB173_68
.LBB173_52:                             ;   in Loop: Header=BB173_45 Depth=1
	s_or_b32 exec_lo, exec_lo, s41
	s_and_saveexec_b32 s41, s7
	s_cbranch_execnz .LBB173_69
.LBB173_53:                             ;   in Loop: Header=BB173_45 Depth=1
	s_or_b32 exec_lo, exec_lo, s41
	s_and_saveexec_b32 s41, s8
	s_cbranch_execnz .LBB173_70
.LBB173_54:                             ;   in Loop: Header=BB173_45 Depth=1
	s_or_b32 exec_lo, exec_lo, s41
	s_and_saveexec_b32 s41, s9
	s_cbranch_execnz .LBB173_71
.LBB173_55:                             ;   in Loop: Header=BB173_45 Depth=1
	s_or_b32 exec_lo, exec_lo, s41
	s_and_saveexec_b32 s41, s10
	s_cbranch_execnz .LBB173_72
.LBB173_56:                             ;   in Loop: Header=BB173_45 Depth=1
	s_or_b32 exec_lo, exec_lo, s41
	s_and_saveexec_b32 s41, s11
	s_cbranch_execnz .LBB173_73
.LBB173_57:                             ;   in Loop: Header=BB173_45 Depth=1
	s_or_b32 exec_lo, exec_lo, s41
	s_and_saveexec_b32 s41, s12
	s_cbranch_execnz .LBB173_74
.LBB173_58:                             ;   in Loop: Header=BB173_45 Depth=1
	s_or_b32 exec_lo, exec_lo, s41
	s_and_saveexec_b32 s41, s13
	s_cbranch_execnz .LBB173_75
.LBB173_59:                             ;   in Loop: Header=BB173_45 Depth=1
	s_or_b32 exec_lo, exec_lo, s41
	s_and_saveexec_b32 s41, s14
	s_cbranch_execnz .LBB173_76
.LBB173_60:                             ;   in Loop: Header=BB173_45 Depth=1
	s_or_b32 exec_lo, exec_lo, s41
	s_and_saveexec_b32 s41, s15
	s_cbranch_execnz .LBB173_77
.LBB173_61:                             ;   in Loop: Header=BB173_45 Depth=1
	s_or_b32 exec_lo, exec_lo, s41
	s_and_saveexec_b32 s15, vcc_lo
	s_cbranch_execz .LBB173_44
	s_branch .LBB173_78
.LBB173_62:                             ;   in Loop: Header=BB173_45 Depth=1
	v_mov_b32_e32 v10, s21
	ds_load_b32 v10, v10
	s_waitcnt lgkmcnt(0)
	v_add_nc_u32_e32 v9, v10, v9
	s_or_b32 exec_lo, exec_lo, s41
	s_and_saveexec_b32 s41, s1
	s_cbranch_execz .LBB173_47
.LBB173_63:                             ;   in Loop: Header=BB173_45 Depth=1
	v_mov_b32_e32 v10, s25
	ds_load_b32 v10, v10
	s_waitcnt lgkmcnt(0)
	v_add_nc_u32_e32 v9, v10, v9
	s_or_b32 exec_lo, exec_lo, s41
	s_and_saveexec_b32 s41, s2
	s_cbranch_execz .LBB173_48
.LBB173_64:                             ;   in Loop: Header=BB173_45 Depth=1
	v_mov_b32_e32 v10, s26
	ds_load_b32 v10, v10
	s_waitcnt lgkmcnt(0)
	v_add_nc_u32_e32 v9, v10, v9
	s_or_b32 exec_lo, exec_lo, s41
	s_and_saveexec_b32 s41, s3
	s_cbranch_execz .LBB173_49
.LBB173_65:                             ;   in Loop: Header=BB173_45 Depth=1
	v_mov_b32_e32 v10, s27
	ds_load_b32 v10, v10
	s_waitcnt lgkmcnt(0)
	v_add_nc_u32_e32 v9, v10, v9
	s_or_b32 exec_lo, exec_lo, s41
	s_and_saveexec_b32 s41, s4
	s_cbranch_execz .LBB173_50
.LBB173_66:                             ;   in Loop: Header=BB173_45 Depth=1
	v_mov_b32_e32 v10, s28
	ds_load_b32 v10, v10
	s_waitcnt lgkmcnt(0)
	v_add_nc_u32_e32 v9, v10, v9
	s_or_b32 exec_lo, exec_lo, s41
	s_and_saveexec_b32 s41, s5
	s_cbranch_execz .LBB173_51
.LBB173_67:                             ;   in Loop: Header=BB173_45 Depth=1
	v_mov_b32_e32 v10, s29
	ds_load_b32 v10, v10
	s_waitcnt lgkmcnt(0)
	v_add_nc_u32_e32 v9, v10, v9
	s_or_b32 exec_lo, exec_lo, s41
	s_and_saveexec_b32 s41, s6
	s_cbranch_execz .LBB173_52
.LBB173_68:                             ;   in Loop: Header=BB173_45 Depth=1
	v_mov_b32_e32 v10, s30
	ds_load_b32 v10, v10
	s_waitcnt lgkmcnt(0)
	v_add_nc_u32_e32 v9, v10, v9
	s_or_b32 exec_lo, exec_lo, s41
	s_and_saveexec_b32 s41, s7
	s_cbranch_execz .LBB173_53
.LBB173_69:                             ;   in Loop: Header=BB173_45 Depth=1
	v_mov_b32_e32 v10, s31
	ds_load_b32 v10, v10
	s_waitcnt lgkmcnt(0)
	v_add_nc_u32_e32 v9, v10, v9
	s_or_b32 exec_lo, exec_lo, s41
	s_and_saveexec_b32 s41, s8
	s_cbranch_execz .LBB173_54
.LBB173_70:                             ;   in Loop: Header=BB173_45 Depth=1
	v_mov_b32_e32 v10, s33
	ds_load_b32 v10, v10
	s_waitcnt lgkmcnt(0)
	v_add_nc_u32_e32 v9, v10, v9
	s_or_b32 exec_lo, exec_lo, s41
	s_and_saveexec_b32 s41, s9
	s_cbranch_execz .LBB173_55
.LBB173_71:                             ;   in Loop: Header=BB173_45 Depth=1
	v_mov_b32_e32 v10, s34
	ds_load_b32 v10, v10
	s_waitcnt lgkmcnt(0)
	v_add_nc_u32_e32 v9, v10, v9
	s_or_b32 exec_lo, exec_lo, s41
	s_and_saveexec_b32 s41, s10
	s_cbranch_execz .LBB173_56
.LBB173_72:                             ;   in Loop: Header=BB173_45 Depth=1
	v_mov_b32_e32 v10, s35
	ds_load_b32 v10, v10
	s_waitcnt lgkmcnt(0)
	v_add_nc_u32_e32 v9, v10, v9
	s_or_b32 exec_lo, exec_lo, s41
	s_and_saveexec_b32 s41, s11
	s_cbranch_execz .LBB173_57
.LBB173_73:                             ;   in Loop: Header=BB173_45 Depth=1
	v_mov_b32_e32 v10, s37
	ds_load_b32 v10, v10
	s_waitcnt lgkmcnt(0)
	v_add_nc_u32_e32 v9, v10, v9
	s_or_b32 exec_lo, exec_lo, s41
	s_and_saveexec_b32 s41, s12
	s_cbranch_execz .LBB173_58
.LBB173_74:                             ;   in Loop: Header=BB173_45 Depth=1
	v_mov_b32_e32 v10, s38
	ds_load_b32 v10, v10
	s_waitcnt lgkmcnt(0)
	v_add_nc_u32_e32 v9, v10, v9
	s_or_b32 exec_lo, exec_lo, s41
	s_and_saveexec_b32 s41, s13
	s_cbranch_execz .LBB173_59
.LBB173_75:                             ;   in Loop: Header=BB173_45 Depth=1
	v_mov_b32_e32 v10, s39
	ds_load_b32 v10, v10
	s_waitcnt lgkmcnt(0)
	v_add_nc_u32_e32 v9, v10, v9
	s_or_b32 exec_lo, exec_lo, s41
	s_and_saveexec_b32 s41, s14
	s_cbranch_execz .LBB173_60
.LBB173_76:                             ;   in Loop: Header=BB173_45 Depth=1
	v_mov_b32_e32 v10, s40
	ds_load_b32 v10, v10
	s_waitcnt lgkmcnt(0)
	v_add_nc_u32_e32 v9, v10, v9
	s_or_b32 exec_lo, exec_lo, s41
	s_and_saveexec_b32 s41, s15
	s_cbranch_execz .LBB173_61
.LBB173_77:                             ;   in Loop: Header=BB173_45 Depth=1
	s_delay_alu instid0(VALU_DEP_1) | instskip(NEXT) | instid1(VALU_DEP_1)
	v_add3_u32 v10, v7, -1, v9
	v_lshl_add_u32 v10, v10, 2, 0
	ds_store_2addr_stride64_b32 v10, v2, v3 offset1:128
	s_or_b32 exec_lo, exec_lo, s41
	s_and_saveexec_b32 s15, vcc_lo
	s_cbranch_execz .LBB173_44
.LBB173_78:                             ;   in Loop: Header=BB173_45 Depth=1
	v_mov_b32_e32 v2, s36
	ds_store_b32 v2, v9
	s_branch .LBB173_44
.LBB173_79:
	s_or_b32 exec_lo, exec_lo, s19
	s_ashr_i32 s21, s20, 31
	s_mov_b32 s4, exec_lo
	s_lshl_b64 s[0:1], s[20:21], 3
	s_delay_alu instid0(SALU_CYCLE_1) | instskip(SKIP_4) | instid1(SALU_CYCLE_1)
	s_add_u32 s0, s22, s0
	s_addc_u32 s1, s23, s1
	s_load_b128 s[0:3], s[0:1], 0x0
	s_waitcnt lgkmcnt(0)
	s_sub_i32 s3, s2, s0
	v_cmpx_gt_i32_e64 s3, v0
	s_cbranch_execz .LBB173_89
; %bb.80:
	s_sub_u32 s4, s0, s18
	s_subb_u32 s5, s1, 0
	s_sub_i32 s0, s0, s2
	s_and_b32 s1, s3, 7
	s_cmp_lt_u32 s0, -7
	s_mov_b32 s8, 0
	s_cselect_b32 s2, -1, 0
	s_and_b32 s6, s3, -8
	s_cmp_lg_u32 s1, 0
	s_cselect_b32 s7, -1, 0
	s_branch .LBB173_82
.LBB173_81:                             ;   in Loop: Header=BB173_82 Depth=1
	s_delay_alu instid0(VALU_DEP_1) | instskip(SKIP_1) | instid1(VALU_DEP_1)
	v_lshlrev_b64 v[3:4], 2, v[3:4]
	v_add_nc_u32_e32 v0, 0x400, v0
	v_cmp_le_i32_e32 vcc_lo, s3, v0
	s_delay_alu instid0(VALU_DEP_3) | instskip(NEXT) | instid1(VALU_DEP_1)
	v_add_co_u32 v3, s0, s16, v3
	v_add_co_ci_u32_e64 v4, s0, s17, v4, s0
	s_or_b32 s8, vcc_lo, s8
	s_waitcnt lgkmcnt(0)
	global_store_b32 v[3:4], v2, off
	s_and_not1_b32 exec_lo, exec_lo, s8
	s_cbranch_execz .LBB173_89
.LBB173_82:                             ; =>This Loop Header: Depth=1
                                        ;     Child Loop BB173_84 Depth 2
                                        ;     Child Loop BB173_88 Depth 2
	v_lshl_add_u32 v1, v0, 2, 0
	v_dual_mov_b32 v3, s4 :: v_dual_mov_b32 v4, s5
	s_and_not1_b32 vcc_lo, exec_lo, s2
	s_mov_b32 s0, 0
	ds_load_2addr_stride64_b32 v[1:2], v1 offset1:128
	s_cbranch_vccnz .LBB173_86
; %bb.83:                               ;   in Loop: Header=BB173_82 Depth=1
	v_dual_mov_b32 v3, s4 :: v_dual_mov_b32 v4, s5
	s_mov_b32 s9, 0
	s_mov_b32 s10, 0
.LBB173_84:                             ;   Parent Loop BB173_82 Depth=1
                                        ; =>  This Inner Loop Header: Depth=2
	s_delay_alu instid0(SALU_CYCLE_1)
	v_mov_b32_e32 v11, s10
	s_add_i32 s9, s9, 8
	s_add_i32 s10, s10, 32
	s_cmp_eq_u32 s6, s9
	ds_load_2addr_b32 v[5:6], v11 offset1:1
	ds_load_2addr_b32 v[7:8], v11 offset0:2 offset1:3
	ds_load_2addr_b32 v[9:10], v11 offset0:4 offset1:5
	ds_load_2addr_b32 v[11:12], v11 offset0:6 offset1:7
	s_waitcnt lgkmcnt(3)
	v_cmp_gt_i32_e32 vcc_lo, v1, v5
	v_cndmask_b32_e64 v5, 0, 1, vcc_lo
	v_cmp_gt_i32_e32 vcc_lo, v1, v6
	v_cndmask_b32_e64 v6, 0, 1, vcc_lo
	s_waitcnt lgkmcnt(2)
	v_cmp_gt_i32_e32 vcc_lo, v1, v7
	v_cndmask_b32_e64 v7, 0, 1, vcc_lo
	v_cmp_gt_i32_e32 vcc_lo, v1, v8
	v_cndmask_b32_e64 v8, 0, 1, vcc_lo
	s_waitcnt lgkmcnt(1)
	v_cmp_gt_i32_e32 vcc_lo, v1, v9
	v_cndmask_b32_e64 v9, 0, 1, vcc_lo
	v_add_co_u32 v3, vcc_lo, v3, v5
	v_add_co_ci_u32_e32 v4, vcc_lo, 0, v4, vcc_lo
	v_cmp_gt_i32_e32 vcc_lo, v1, v10
	s_delay_alu instid0(VALU_DEP_3) | instskip(NEXT) | instid1(VALU_DEP_1)
	v_add_co_u32 v3, s0, v3, v6
	v_add_co_ci_u32_e64 v4, s0, 0, v4, s0
	v_cndmask_b32_e64 v5, 0, 1, vcc_lo
	s_delay_alu instid0(VALU_DEP_3) | instskip(NEXT) | instid1(VALU_DEP_3)
	v_add_co_u32 v3, vcc_lo, v3, v7
	v_add_co_ci_u32_e32 v4, vcc_lo, 0, v4, vcc_lo
	s_waitcnt lgkmcnt(0)
	v_cmp_gt_i32_e32 vcc_lo, v1, v11
	s_delay_alu instid0(VALU_DEP_3) | instskip(NEXT) | instid1(VALU_DEP_1)
	v_add_co_u32 v3, s0, v3, v8
	v_add_co_ci_u32_e64 v4, s0, 0, v4, s0
	v_cndmask_b32_e64 v6, 0, 1, vcc_lo
	s_delay_alu instid0(VALU_DEP_3) | instskip(NEXT) | instid1(VALU_DEP_3)
	v_add_co_u32 v3, vcc_lo, v3, v9
	v_add_co_ci_u32_e32 v4, vcc_lo, 0, v4, vcc_lo
	v_cmp_gt_i32_e32 vcc_lo, v1, v12
	s_delay_alu instid0(VALU_DEP_3) | instskip(NEXT) | instid1(VALU_DEP_1)
	v_add_co_u32 v3, s0, v3, v5
	v_add_co_ci_u32_e64 v4, s0, 0, v4, s0
	v_cndmask_b32_e64 v5, 0, 1, vcc_lo
	s_delay_alu instid0(VALU_DEP_3) | instskip(NEXT) | instid1(VALU_DEP_3)
	v_add_co_u32 v3, vcc_lo, v3, v6
	v_add_co_ci_u32_e32 v4, vcc_lo, 0, v4, vcc_lo
	s_delay_alu instid0(VALU_DEP_2) | instskip(NEXT) | instid1(VALU_DEP_2)
	v_add_co_u32 v3, vcc_lo, v3, v5
	v_add_co_ci_u32_e32 v4, vcc_lo, 0, v4, vcc_lo
	s_cbranch_scc0 .LBB173_84
; %bb.85:                               ;   in Loop: Header=BB173_82 Depth=1
	s_mov_b32 s0, s6
.LBB173_86:                             ;   in Loop: Header=BB173_82 Depth=1
	s_and_not1_b32 vcc_lo, exec_lo, s7
	s_cbranch_vccnz .LBB173_81
; %bb.87:                               ;   in Loop: Header=BB173_82 Depth=1
	s_lshl_b32 s0, s0, 2
	s_mov_b32 s9, s1
	s_add_i32 s0, s0, 0
.LBB173_88:                             ;   Parent Loop BB173_82 Depth=1
                                        ; =>  This Inner Loop Header: Depth=2
	s_delay_alu instid0(SALU_CYCLE_1)
	v_mov_b32_e32 v5, s0
	s_add_i32 s9, s9, -1
	s_add_i32 s0, s0, 4
	s_cmp_lg_u32 s9, 0
	ds_load_b32 v5, v5
	s_waitcnt lgkmcnt(0)
	v_cmp_gt_i32_e32 vcc_lo, v1, v5
	v_cndmask_b32_e64 v5, 0, 1, vcc_lo
	s_delay_alu instid0(VALU_DEP_1)
	v_add_co_u32 v3, vcc_lo, v3, v5
	v_add_co_ci_u32_e32 v4, vcc_lo, 0, v4, vcc_lo
	s_cbranch_scc1 .LBB173_88
	s_branch .LBB173_81
.LBB173_89:
	s_nop 0
	s_sendmsg sendmsg(MSG_DEALLOC_VGPRS)
	s_endpgm
	.section	.rodata,"a",@progbits
	.p2align	6, 0x0
	.amdhsa_kernel _ZN9rocsparseL41csrgemm_numeric_fill_block_per_row_kernelILj1024ELj64ELj8192ELj137ELj64ElifEEvT5_PKS1_S3_NS_24const_host_device_scalarIT6_EEPKT4_S3_PKS5_S9_S3_SB_S6_S9_S3_SB_S9_S3_PS5_21rocsparse_index_base_SD_SD_SD_bbb
		.amdhsa_group_segment_fixed_size 0
		.amdhsa_private_segment_fixed_size 0
		.amdhsa_kernarg_size 156
		.amdhsa_user_sgpr_count 15
		.amdhsa_user_sgpr_dispatch_ptr 0
		.amdhsa_user_sgpr_queue_ptr 0
		.amdhsa_user_sgpr_kernarg_segment_ptr 1
		.amdhsa_user_sgpr_dispatch_id 0
		.amdhsa_user_sgpr_private_segment_size 0
		.amdhsa_wavefront_size32 1
		.amdhsa_uses_dynamic_stack 0
		.amdhsa_enable_private_segment 0
		.amdhsa_system_sgpr_workgroup_id_x 1
		.amdhsa_system_sgpr_workgroup_id_y 0
		.amdhsa_system_sgpr_workgroup_id_z 0
		.amdhsa_system_sgpr_workgroup_info 0
		.amdhsa_system_vgpr_workitem_id 0
		.amdhsa_next_free_vgpr 18
		.amdhsa_next_free_sgpr 42
		.amdhsa_reserve_vcc 1
		.amdhsa_float_round_mode_32 0
		.amdhsa_float_round_mode_16_64 0
		.amdhsa_float_denorm_mode_32 3
		.amdhsa_float_denorm_mode_16_64 3
		.amdhsa_dx10_clamp 1
		.amdhsa_ieee_mode 1
		.amdhsa_fp16_overflow 0
		.amdhsa_workgroup_processor_mode 1
		.amdhsa_memory_ordered 1
		.amdhsa_forward_progress 0
		.amdhsa_shared_vgpr_count 0
		.amdhsa_exception_fp_ieee_invalid_op 0
		.amdhsa_exception_fp_denorm_src 0
		.amdhsa_exception_fp_ieee_div_zero 0
		.amdhsa_exception_fp_ieee_overflow 0
		.amdhsa_exception_fp_ieee_underflow 0
		.amdhsa_exception_fp_ieee_inexact 0
		.amdhsa_exception_int_div_zero 0
	.end_amdhsa_kernel
	.section	.text._ZN9rocsparseL41csrgemm_numeric_fill_block_per_row_kernelILj1024ELj64ELj8192ELj137ELj64ElifEEvT5_PKS1_S3_NS_24const_host_device_scalarIT6_EEPKT4_S3_PKS5_S9_S3_SB_S6_S9_S3_SB_S9_S3_PS5_21rocsparse_index_base_SD_SD_SD_bbb,"axG",@progbits,_ZN9rocsparseL41csrgemm_numeric_fill_block_per_row_kernelILj1024ELj64ELj8192ELj137ELj64ElifEEvT5_PKS1_S3_NS_24const_host_device_scalarIT6_EEPKT4_S3_PKS5_S9_S3_SB_S6_S9_S3_SB_S9_S3_PS5_21rocsparse_index_base_SD_SD_SD_bbb,comdat
.Lfunc_end173:
	.size	_ZN9rocsparseL41csrgemm_numeric_fill_block_per_row_kernelILj1024ELj64ELj8192ELj137ELj64ElifEEvT5_PKS1_S3_NS_24const_host_device_scalarIT6_EEPKT4_S3_PKS5_S9_S3_SB_S6_S9_S3_SB_S9_S3_PS5_21rocsparse_index_base_SD_SD_SD_bbb, .Lfunc_end173-_ZN9rocsparseL41csrgemm_numeric_fill_block_per_row_kernelILj1024ELj64ELj8192ELj137ELj64ElifEEvT5_PKS1_S3_NS_24const_host_device_scalarIT6_EEPKT4_S3_PKS5_S9_S3_SB_S6_S9_S3_SB_S9_S3_PS5_21rocsparse_index_base_SD_SD_SD_bbb
                                        ; -- End function
	.section	.AMDGPU.csdata,"",@progbits
; Kernel info:
; codeLenInByte = 3568
; NumSgprs: 44
; NumVgprs: 18
; ScratchSize: 0
; MemoryBound: 0
; FloatMode: 240
; IeeeMode: 1
; LDSByteSize: 0 bytes/workgroup (compile time only)
; SGPRBlocks: 5
; VGPRBlocks: 2
; NumSGPRsForWavesPerEU: 44
; NumVGPRsForWavesPerEU: 18
; Occupancy: 16
; WaveLimiterHint : 1
; COMPUTE_PGM_RSRC2:SCRATCH_EN: 0
; COMPUTE_PGM_RSRC2:USER_SGPR: 15
; COMPUTE_PGM_RSRC2:TRAP_HANDLER: 0
; COMPUTE_PGM_RSRC2:TGID_X_EN: 1
; COMPUTE_PGM_RSRC2:TGID_Y_EN: 0
; COMPUTE_PGM_RSRC2:TGID_Z_EN: 0
; COMPUTE_PGM_RSRC2:TIDIG_COMP_CNT: 0
	.section	.text._ZN9rocsparseL41csrgemm_numeric_fill_block_per_row_kernelILj1024ELj64ELj16384ELj137ELj32ElifEEvT5_PKS1_S3_NS_24const_host_device_scalarIT6_EEPKT4_S3_PKS5_S9_S3_SB_S6_S9_S3_SB_S9_S3_PS5_21rocsparse_index_base_SD_SD_SD_bbb,"axG",@progbits,_ZN9rocsparseL41csrgemm_numeric_fill_block_per_row_kernelILj1024ELj64ELj16384ELj137ELj32ElifEEvT5_PKS1_S3_NS_24const_host_device_scalarIT6_EEPKT4_S3_PKS5_S9_S3_SB_S6_S9_S3_SB_S9_S3_PS5_21rocsparse_index_base_SD_SD_SD_bbb,comdat
	.globl	_ZN9rocsparseL41csrgemm_numeric_fill_block_per_row_kernelILj1024ELj64ELj16384ELj137ELj32ElifEEvT5_PKS1_S3_NS_24const_host_device_scalarIT6_EEPKT4_S3_PKS5_S9_S3_SB_S6_S9_S3_SB_S9_S3_PS5_21rocsparse_index_base_SD_SD_SD_bbb ; -- Begin function _ZN9rocsparseL41csrgemm_numeric_fill_block_per_row_kernelILj1024ELj64ELj16384ELj137ELj32ElifEEvT5_PKS1_S3_NS_24const_host_device_scalarIT6_EEPKT4_S3_PKS5_S9_S3_SB_S6_S9_S3_SB_S9_S3_PS5_21rocsparse_index_base_SD_SD_SD_bbb
	.p2align	8
	.type	_ZN9rocsparseL41csrgemm_numeric_fill_block_per_row_kernelILj1024ELj64ELj16384ELj137ELj32ElifEEvT5_PKS1_S3_NS_24const_host_device_scalarIT6_EEPKT4_S3_PKS5_S9_S3_SB_S6_S9_S3_SB_S9_S3_PS5_21rocsparse_index_base_SD_SD_SD_bbb,@function
_ZN9rocsparseL41csrgemm_numeric_fill_block_per_row_kernelILj1024ELj64ELj16384ELj137ELj32ElifEEvT5_PKS1_S3_NS_24const_host_device_scalarIT6_EEPKT4_S3_PKS5_S9_S3_SB_S6_S9_S3_SB_S9_S3_PS5_21rocsparse_index_base_SD_SD_SD_bbb: ; @_ZN9rocsparseL41csrgemm_numeric_fill_block_per_row_kernelILj1024ELj64ELj16384ELj137ELj32ElifEEvT5_PKS1_S3_NS_24const_host_device_scalarIT6_EEPKT4_S3_PKS5_S9_S3_SB_S6_S9_S3_SB_S9_S3_PS5_21rocsparse_index_base_SD_SD_SD_bbb
; %bb.0:
	s_clause 0x3
	s_load_b32 s12, s[0:1], 0x98
	s_load_b128 s[44:47], s[0:1], 0x88
	s_load_b64 s[4:5], s[0:1], 0x18
	s_load_b64 s[2:3], s[0:1], 0x50
	s_waitcnt lgkmcnt(0)
	s_bitcmp1_b32 s12, 0
	s_cselect_b32 s13, -1, 0
	s_bitcmp1_b32 s12, 16
	s_cselect_b32 s14, -1, 0
	s_xor_b32 s6, s13, -1
	s_delay_alu instid0(SALU_CYCLE_1) | instskip(NEXT) | instid1(SALU_CYCLE_1)
	s_or_b32 s6, s6, s14
	s_and_b32 vcc_lo, exec_lo, s6
	s_cbranch_vccnz .LBB174_2
; %bb.1:
	s_load_b32 s4, s[4:5], 0x0
	s_waitcnt lgkmcnt(0)
	v_mov_b32_e32 v12, s4
	s_branch .LBB174_3
.LBB174_2:
	v_cndmask_b32_e64 v12, 0, s4, s13
.LBB174_3:
	s_clause 0x4
	s_load_b64 s[34:35], s[0:1], 0x80
	s_load_b256 s[36:43], s[0:1], 0x58
	s_load_b128 s[16:19], s[0:1], 0x40
	s_load_b128 s[20:23], s[0:1], 0x8
	s_load_b256 s[4:11], s[0:1], 0x20
	s_bitcmp1_b32 s12, 8
	s_cselect_b32 s12, -1, 0
	s_delay_alu instid0(SALU_CYCLE_1) | instskip(NEXT) | instid1(SALU_CYCLE_1)
	s_xor_b32 s24, s12, -1
	s_or_b32 s14, s24, s14
	s_delay_alu instid0(SALU_CYCLE_1)
	s_and_b32 vcc_lo, exec_lo, s14
	s_cbranch_vccnz .LBB174_5
; %bb.4:
	s_load_b32 s2, s[2:3], 0x0
	s_waitcnt lgkmcnt(0)
	v_mov_b32_e32 v11, s2
	s_branch .LBB174_6
.LBB174_5:
	v_cndmask_b32_e64 v11, 0, s2, s12
.LBB174_6:
	s_load_b32 s33, s[0:1], 0x0
	v_lshl_add_u32 v9, v0, 2, 0
	v_or_b32_e32 v10, 0xfffffc00, v0
	v_mov_b32_e32 v1, 0
	s_mov_b32 s0, 0
	s_delay_alu instid0(VALU_DEP_3)
	v_mov_b32_e32 v2, v9
	s_waitcnt lgkmcnt(0)
	v_dual_mov_b32 v4, v10 :: v_dual_mov_b32 v3, s33
.LBB174_7:                              ; =>This Inner Loop Header: Depth=1
	s_delay_alu instid0(VALU_DEP_1) | instskip(NEXT) | instid1(VALU_DEP_3)
	v_add_nc_u32_e32 v4, 0x400, v4
	v_add_nc_u32_e32 v5, 0x10000, v2
	ds_store_b32 v2, v3
	v_add_nc_u32_e32 v2, 0x1000, v2
	v_cmp_lt_u32_e32 vcc_lo, 0x3bff, v4
	ds_store_b32 v5, v1
	s_or_b32 s0, vcc_lo, s0
	s_delay_alu instid0(SALU_CYCLE_1)
	s_and_not1_b32 exec_lo, exec_lo, s0
	s_cbranch_execnz .LBB174_7
; %bb.8:
	s_or_b32 exec_lo, exec_lo, s0
	s_waitcnt lgkmcnt(0)
	s_barrier
	buffer_gl0_inv
	s_load_b32 s0, s[20:21], 0x0
	s_mov_b32 s1, 0
	s_waitcnt lgkmcnt(0)
	s_add_i32 s0, s0, s15
	s_delay_alu instid0(SALU_CYCLE_1) | instskip(NEXT) | instid1(SALU_CYCLE_1)
	s_lshl_b64 s[0:1], s[0:1], 2
	s_add_u32 s0, s22, s0
	s_addc_u32 s1, s23, s1
	s_and_b32 vcc_lo, exec_lo, s13
	s_load_b32 s48, s[0:1], 0x0
	s_cbranch_vccz .LBB174_28
; %bb.9:
	s_waitcnt lgkmcnt(0)
	s_ashr_i32 s49, s48, 31
	v_lshrrev_b32_e32 v1, 6, v0
	s_lshl_b64 s[0:1], s[48:49], 3
	s_delay_alu instid0(SALU_CYCLE_1) | instskip(SKIP_1) | instid1(VALU_DEP_1)
	s_add_u32 s0, s4, s0
	s_addc_u32 s1, s5, s1
	v_sub_co_u32 v1, s4, v1, s44
	s_load_b128 s[0:3], s[0:1], 0x0
	v_sub_co_ci_u32_e64 v2, null, 0, 0, s4
	s_waitcnt lgkmcnt(0)
	s_delay_alu instid0(VALU_DEP_2) | instskip(NEXT) | instid1(VALU_DEP_2)
	v_add_co_u32 v1, vcc_lo, s0, v1
	v_add_co_ci_u32_e32 v2, vcc_lo, s1, v2, vcc_lo
	s_sub_u32 s0, s2, s44
	s_subb_u32 s1, s3, 0
	s_mov_b32 s2, exec_lo
	s_delay_alu instid0(VALU_DEP_1)
	v_cmpx_gt_i64_e64 s[0:1], v[1:2]
	s_cbranch_execz .LBB174_27
; %bb.10:
	v_and_b32_e32 v3, 63, v0
	s_mov_b32 s4, s45
	s_delay_alu instid0(VALU_DEP_1) | instskip(NEXT) | instid1(VALU_DEP_1)
	v_sub_co_u32 v13, s3, v3, s45
	v_sub_co_ci_u32_e64 v14, null, 0, 0, s3
	s_mov_b32 s3, 0
	s_branch .LBB174_12
.LBB174_11:                             ;   in Loop: Header=BB174_12 Depth=1
	s_or_b32 exec_lo, exec_lo, s5
	v_add_co_u32 v1, vcc_lo, v1, 16
	v_add_co_ci_u32_e32 v2, vcc_lo, 0, v2, vcc_lo
	s_delay_alu instid0(VALU_DEP_1) | instskip(SKIP_1) | instid1(SALU_CYCLE_1)
	v_cmp_le_i64_e32 vcc_lo, s[0:1], v[1:2]
	s_or_b32 s3, vcc_lo, s3
	s_and_not1_b32 exec_lo, exec_lo, s3
	s_cbranch_execz .LBB174_27
.LBB174_12:                             ; =>This Loop Header: Depth=1
                                        ;     Child Loop BB174_15 Depth 2
                                        ;       Child Loop BB174_17 Depth 3
	v_lshlrev_b64 v[7:8], 2, v[1:2]
	s_mov_b32 s5, exec_lo
	s_delay_alu instid0(VALU_DEP_1) | instskip(NEXT) | instid1(VALU_DEP_2)
	v_add_co_u32 v3, vcc_lo, s6, v7
	v_add_co_ci_u32_e32 v4, vcc_lo, s7, v8, vcc_lo
	global_load_b32 v3, v[3:4], off
	s_waitcnt vmcnt(0)
	v_subrev_nc_u32_e32 v3, s44, v3
	s_delay_alu instid0(VALU_DEP_1) | instskip(NEXT) | instid1(VALU_DEP_1)
	v_ashrrev_i32_e32 v4, 31, v3
	v_lshlrev_b64 v[3:4], 3, v[3:4]
	s_delay_alu instid0(VALU_DEP_1) | instskip(NEXT) | instid1(VALU_DEP_2)
	v_add_co_u32 v3, vcc_lo, s10, v3
	v_add_co_ci_u32_e32 v4, vcc_lo, s11, v4, vcc_lo
	global_load_b128 v[15:18], v[3:4], off
	s_waitcnt vmcnt(0)
	v_sub_co_u32 v3, vcc_lo, v17, s4
	v_subrev_co_ci_u32_e32 v4, vcc_lo, 0, v18, vcc_lo
	v_add_co_u32 v5, vcc_lo, v15, v13
	v_add_co_ci_u32_e32 v6, vcc_lo, v16, v14, vcc_lo
	s_delay_alu instid0(VALU_DEP_1)
	v_cmpx_lt_i64_e64 v[5:6], v[3:4]
	s_cbranch_execz .LBB174_11
; %bb.13:                               ;   in Loop: Header=BB174_12 Depth=1
	v_add_co_u32 v7, vcc_lo, s8, v7
	v_add_co_ci_u32_e32 v8, vcc_lo, s9, v8, vcc_lo
	s_mov_b32 s13, 0
	global_load_b32 v7, v[7:8], off
	s_waitcnt vmcnt(0)
	v_mul_f32_e32 v7, v12, v7
	s_branch .LBB174_15
.LBB174_14:                             ;   in Loop: Header=BB174_15 Depth=2
	s_or_b32 exec_lo, exec_lo, s14
	v_add_co_u32 v5, vcc_lo, v5, 64
	v_add_co_ci_u32_e32 v6, vcc_lo, 0, v6, vcc_lo
	s_delay_alu instid0(VALU_DEP_1) | instskip(SKIP_1) | instid1(SALU_CYCLE_1)
	v_cmp_ge_i64_e32 vcc_lo, v[5:6], v[3:4]
	s_or_b32 s13, vcc_lo, s13
	s_and_not1_b32 exec_lo, exec_lo, s13
	s_cbranch_execz .LBB174_11
.LBB174_15:                             ;   Parent Loop BB174_12 Depth=1
                                        ; =>  This Loop Header: Depth=2
                                        ;       Child Loop BB174_17 Depth 3
	v_lshlrev_b64 v[15:16], 2, v[5:6]
	s_mov_b32 s14, 0
	s_delay_alu instid0(VALU_DEP_1) | instskip(NEXT) | instid1(VALU_DEP_2)
	v_add_co_u32 v17, vcc_lo, s16, v15
	v_add_co_ci_u32_e32 v18, vcc_lo, s17, v16, vcc_lo
	v_add_co_u32 v15, vcc_lo, s18, v15
	v_add_co_ci_u32_e32 v16, vcc_lo, s19, v16, vcc_lo
	global_load_b32 v8, v[17:18], off
	global_load_b32 v15, v[15:16], off
	s_waitcnt vmcnt(1)
	v_subrev_nc_u32_e32 v8, s45, v8
	s_delay_alu instid0(VALU_DEP_1) | instskip(SKIP_1) | instid1(VALU_DEP_1)
	v_mul_lo_u32 v16, 0x89, v8
	s_waitcnt vmcnt(0)
	v_dual_mul_f32 v15, v7, v15 :: v_dual_and_b32 v16, 0x3fff, v16
	s_branch .LBB174_17
.LBB174_16:                             ;   in Loop: Header=BB174_17 Depth=3
	s_or_b32 exec_lo, exec_lo, s15
	s_xor_b32 s15, s20, -1
	s_delay_alu instid0(SALU_CYCLE_1) | instskip(NEXT) | instid1(SALU_CYCLE_1)
	s_and_b32 s15, exec_lo, s15
	s_or_b32 s14, s15, s14
	s_delay_alu instid0(SALU_CYCLE_1)
	s_and_not1_b32 exec_lo, exec_lo, s14
	s_cbranch_execz .LBB174_14
.LBB174_17:                             ;   Parent Loop BB174_12 Depth=1
                                        ;     Parent Loop BB174_15 Depth=2
                                        ; =>    This Inner Loop Header: Depth=3
	s_delay_alu instid0(VALU_DEP_1)
	v_lshl_add_u32 v17, v16, 2, 0
	s_mov_b32 s15, exec_lo
                                        ; implicit-def: $sgpr20
	ds_load_b32 v18, v17
	s_waitcnt lgkmcnt(0)
	v_cmpx_ne_u32_e64 v18, v8
	s_xor_b32 s15, exec_lo, s15
	s_cbranch_execz .LBB174_25
; %bb.18:                               ;   in Loop: Header=BB174_17 Depth=3
	s_mov_b32 s21, exec_lo
                                        ; implicit-def: $sgpr20
	v_cmpx_ne_u32_e64 s33, v18
	s_xor_b32 s21, exec_lo, s21
; %bb.19:                               ;   in Loop: Header=BB174_17 Depth=3
	v_add_nc_u32_e32 v16, 1, v16
	s_mov_b32 s20, -1
                                        ; implicit-def: $vgpr17
	s_delay_alu instid0(VALU_DEP_1)
	v_and_b32_e32 v16, 0x3fff, v16
; %bb.20:                               ;   in Loop: Header=BB174_17 Depth=3
	s_and_not1_saveexec_b32 s21, s21
	s_cbranch_execz .LBB174_24
; %bb.21:                               ;   in Loop: Header=BB174_17 Depth=3
	v_mov_b32_e32 v18, s33
	s_mov_b32 s22, -1
	s_mov_b32 s23, exec_lo
	ds_cmpstore_rtn_b32 v17, v17, v8, v18
	s_waitcnt lgkmcnt(0)
	v_cmpx_eq_u32_e64 s33, v17
	s_cbranch_execz .LBB174_23
; %bb.22:                               ;   in Loop: Header=BB174_17 Depth=3
	v_lshlrev_b32_e32 v17, 2, v16
	s_xor_b32 s22, exec_lo, -1
	s_delay_alu instid0(VALU_DEP_1)
	v_add3_u32 v17, 0, v17, 0x10000
	ds_add_f32 v17, v15
.LBB174_23:                             ;   in Loop: Header=BB174_17 Depth=3
	s_or_b32 exec_lo, exec_lo, s23
	s_delay_alu instid0(SALU_CYCLE_1) | instskip(SKIP_1) | instid1(SALU_CYCLE_1)
	s_and_not1_b32 s20, s20, exec_lo
	s_and_b32 s22, s22, exec_lo
	s_or_b32 s20, s20, s22
.LBB174_24:                             ;   in Loop: Header=BB174_17 Depth=3
	s_or_b32 exec_lo, exec_lo, s21
	s_delay_alu instid0(SALU_CYCLE_1)
	s_and_b32 s20, s20, exec_lo
.LBB174_25:                             ;   in Loop: Header=BB174_17 Depth=3
	s_and_not1_saveexec_b32 s15, s15
	s_cbranch_execz .LBB174_16
; %bb.26:                               ;   in Loop: Header=BB174_17 Depth=3
	v_lshlrev_b32_e32 v17, 2, v16
	s_and_not1_b32 s20, s20, exec_lo
	s_delay_alu instid0(VALU_DEP_1)
	v_add3_u32 v17, 0, v17, 0x10000
	ds_add_f32 v17, v15
	s_branch .LBB174_16
.LBB174_27:
	s_or_b32 exec_lo, exec_lo, s2
.LBB174_28:
	s_delay_alu instid0(SALU_CYCLE_1)
	s_and_not1_b32 vcc_lo, exec_lo, s12
	s_cbranch_vccnz .LBB174_31
; %bb.29:
	s_waitcnt lgkmcnt(0)
	s_ashr_i32 s49, s48, 31
	v_sub_co_u32 v1, s4, v0, s47
	s_lshl_b64 s[0:1], s[48:49], 3
	v_sub_co_ci_u32_e64 v2, null, 0, 0, s4
	s_add_u32 s0, s36, s0
	s_addc_u32 s1, s37, s1
	s_load_b128 s[0:3], s[0:1], 0x0
	s_waitcnt lgkmcnt(0)
	v_add_co_u32 v1, vcc_lo, s0, v1
	v_add_co_ci_u32_e32 v2, vcc_lo, s1, v2, vcc_lo
	s_sub_u32 s0, s2, s47
	s_subb_u32 s1, s3, 0
	s_mov_b32 s3, 0
	s_mov_b32 s2, exec_lo
	v_cmpx_gt_i64_e64 s[0:1], v[1:2]
	s_cbranch_execnz .LBB174_100
.LBB174_30:
	s_or_b32 exec_lo, exec_lo, s2
.LBB174_31:
	v_mbcnt_lo_u32_b32 v1, -1, 0
	v_lshrrev_b32_e32 v2, 3, v0
	s_add_i32 s68, 0, 0x2007c
	v_cmp_eq_u32_e32 vcc_lo, 0x3ff, v0
	v_cmp_lt_u32_e64 s0, 31, v0
	v_xor_b32_e32 v1, 63, v1
	v_dual_mov_b32 v4, s68 :: v_dual_and_b32 v3, 0x7c, v2
	v_cmp_lt_u32_e64 s1, 63, v0
	v_cmp_lt_u32_e64 s2, 0x5f, v0
	s_delay_alu instid0(VALU_DEP_4) | instskip(NEXT) | instid1(VALU_DEP_4)
	v_lshrrev_b64 v[1:2], v1, -1
	v_add3_u32 v2, 0, 0x20000, v3
	v_cmp_lt_u32_e64 s3, 0x7f, v0
	v_cmp_lt_u32_e64 s4, 0x9f, v0
	;; [unrolled: 1-line block ×28, first 2 shown]
	v_mov_b32_e32 v3, 0
	s_mov_b32 s36, 0
	s_add_i32 s37, 0, 0x20000
	s_add_i32 s38, 0, 0x20004
	;; [unrolled: 1-line block ×31, first 2 shown]
	s_waitcnt lgkmcnt(0)
	s_barrier
	buffer_gl0_inv
	s_branch .LBB174_33
.LBB174_32:                             ;   in Loop: Header=BB174_33 Depth=1
	s_or_b32 exec_lo, exec_lo, s31
	s_waitcnt lgkmcnt(0)
	s_barrier
	buffer_gl0_inv
	ds_load_b32 v5, v4
	v_add_nc_u32_e32 v10, 0x400, v10
	v_add_nc_u32_e32 v9, 0x1000, v9
	s_delay_alu instid0(VALU_DEP_2) | instskip(NEXT) | instid1(VALU_DEP_1)
	v_cmp_lt_u32_e64 s31, 0x3bff, v10
	s_or_b32 s36, s31, s36
	s_waitcnt lgkmcnt(0)
	v_add_nc_u32_e32 v3, v5, v3
	s_and_not1_b32 exec_lo, exec_lo, s36
	s_cbranch_execz .LBB174_112
.LBB174_33:                             ; =>This Inner Loop Header: Depth=1
	ds_load_b32 v5, v9
	v_add_nc_u32_e32 v6, 0x10000, v9
	ds_load_b32 v6, v6
	s_waitcnt lgkmcnt(0)
	s_barrier
	buffer_gl0_inv
	v_cmp_gt_i32_e64 s31, s33, v5
	s_delay_alu instid0(VALU_DEP_1) | instskip(NEXT) | instid1(SALU_CYCLE_1)
	s_bcnt1_i32_b32 s73, s31
	v_dual_mov_b32 v8, s73 :: v_dual_and_b32 v7, s31, v1
	s_delay_alu instid0(VALU_DEP_1)
	v_bcnt_u32_b32 v7, v7, 0
	ds_store_b32 v2, v8
	s_waitcnt lgkmcnt(0)
	s_barrier
	buffer_gl0_inv
	s_and_saveexec_b32 s73, s0
	s_cbranch_execnz .LBB174_66
; %bb.34:                               ;   in Loop: Header=BB174_33 Depth=1
	s_or_b32 exec_lo, exec_lo, s73
	s_and_saveexec_b32 s73, s1
	s_cbranch_execnz .LBB174_67
.LBB174_35:                             ;   in Loop: Header=BB174_33 Depth=1
	s_or_b32 exec_lo, exec_lo, s73
	s_and_saveexec_b32 s73, s2
	s_cbranch_execnz .LBB174_68
.LBB174_36:                             ;   in Loop: Header=BB174_33 Depth=1
	s_or_b32 exec_lo, exec_lo, s73
	s_and_saveexec_b32 s73, s3
	s_cbranch_execnz .LBB174_69
.LBB174_37:                             ;   in Loop: Header=BB174_33 Depth=1
	s_or_b32 exec_lo, exec_lo, s73
	s_and_saveexec_b32 s73, s4
	s_cbranch_execnz .LBB174_70
.LBB174_38:                             ;   in Loop: Header=BB174_33 Depth=1
	s_or_b32 exec_lo, exec_lo, s73
	s_and_saveexec_b32 s73, s5
	s_cbranch_execnz .LBB174_71
.LBB174_39:                             ;   in Loop: Header=BB174_33 Depth=1
	s_or_b32 exec_lo, exec_lo, s73
	s_and_saveexec_b32 s73, s6
	s_cbranch_execnz .LBB174_72
.LBB174_40:                             ;   in Loop: Header=BB174_33 Depth=1
	s_or_b32 exec_lo, exec_lo, s73
	s_and_saveexec_b32 s73, s7
	s_cbranch_execnz .LBB174_73
.LBB174_41:                             ;   in Loop: Header=BB174_33 Depth=1
	s_or_b32 exec_lo, exec_lo, s73
	s_and_saveexec_b32 s73, s8
	s_cbranch_execnz .LBB174_74
.LBB174_42:                             ;   in Loop: Header=BB174_33 Depth=1
	s_or_b32 exec_lo, exec_lo, s73
	s_and_saveexec_b32 s73, s9
	s_cbranch_execnz .LBB174_75
.LBB174_43:                             ;   in Loop: Header=BB174_33 Depth=1
	s_or_b32 exec_lo, exec_lo, s73
	s_and_saveexec_b32 s73, s10
	s_cbranch_execnz .LBB174_76
.LBB174_44:                             ;   in Loop: Header=BB174_33 Depth=1
	s_or_b32 exec_lo, exec_lo, s73
	s_and_saveexec_b32 s73, s11
	s_cbranch_execnz .LBB174_77
.LBB174_45:                             ;   in Loop: Header=BB174_33 Depth=1
	s_or_b32 exec_lo, exec_lo, s73
	s_and_saveexec_b32 s73, s12
	s_cbranch_execnz .LBB174_78
.LBB174_46:                             ;   in Loop: Header=BB174_33 Depth=1
	s_or_b32 exec_lo, exec_lo, s73
	s_and_saveexec_b32 s73, s13
	s_cbranch_execnz .LBB174_79
.LBB174_47:                             ;   in Loop: Header=BB174_33 Depth=1
	s_or_b32 exec_lo, exec_lo, s73
	s_and_saveexec_b32 s73, s14
	s_cbranch_execnz .LBB174_80
.LBB174_48:                             ;   in Loop: Header=BB174_33 Depth=1
	s_or_b32 exec_lo, exec_lo, s73
	s_and_saveexec_b32 s73, s15
	s_cbranch_execnz .LBB174_81
.LBB174_49:                             ;   in Loop: Header=BB174_33 Depth=1
	s_or_b32 exec_lo, exec_lo, s73
	s_and_saveexec_b32 s73, s16
	s_cbranch_execnz .LBB174_82
.LBB174_50:                             ;   in Loop: Header=BB174_33 Depth=1
	s_or_b32 exec_lo, exec_lo, s73
	s_and_saveexec_b32 s73, s17
	s_cbranch_execnz .LBB174_83
.LBB174_51:                             ;   in Loop: Header=BB174_33 Depth=1
	s_or_b32 exec_lo, exec_lo, s73
	s_and_saveexec_b32 s73, s18
	s_cbranch_execnz .LBB174_84
.LBB174_52:                             ;   in Loop: Header=BB174_33 Depth=1
	s_or_b32 exec_lo, exec_lo, s73
	s_and_saveexec_b32 s73, s19
	s_cbranch_execnz .LBB174_85
.LBB174_53:                             ;   in Loop: Header=BB174_33 Depth=1
	s_or_b32 exec_lo, exec_lo, s73
	s_and_saveexec_b32 s73, s20
	s_cbranch_execnz .LBB174_86
.LBB174_54:                             ;   in Loop: Header=BB174_33 Depth=1
	s_or_b32 exec_lo, exec_lo, s73
	s_and_saveexec_b32 s73, s21
	s_cbranch_execnz .LBB174_87
.LBB174_55:                             ;   in Loop: Header=BB174_33 Depth=1
	s_or_b32 exec_lo, exec_lo, s73
	s_and_saveexec_b32 s73, s22
	s_cbranch_execnz .LBB174_88
.LBB174_56:                             ;   in Loop: Header=BB174_33 Depth=1
	s_or_b32 exec_lo, exec_lo, s73
	s_and_saveexec_b32 s73, s23
	s_cbranch_execnz .LBB174_89
.LBB174_57:                             ;   in Loop: Header=BB174_33 Depth=1
	s_or_b32 exec_lo, exec_lo, s73
	s_and_saveexec_b32 s73, s24
	s_cbranch_execnz .LBB174_90
.LBB174_58:                             ;   in Loop: Header=BB174_33 Depth=1
	s_or_b32 exec_lo, exec_lo, s73
	s_and_saveexec_b32 s73, s25
	s_cbranch_execnz .LBB174_91
.LBB174_59:                             ;   in Loop: Header=BB174_33 Depth=1
	s_or_b32 exec_lo, exec_lo, s73
	s_and_saveexec_b32 s73, s26
	s_cbranch_execnz .LBB174_92
.LBB174_60:                             ;   in Loop: Header=BB174_33 Depth=1
	s_or_b32 exec_lo, exec_lo, s73
	s_and_saveexec_b32 s73, s27
	s_cbranch_execnz .LBB174_93
.LBB174_61:                             ;   in Loop: Header=BB174_33 Depth=1
	s_or_b32 exec_lo, exec_lo, s73
	s_and_saveexec_b32 s73, s28
	s_cbranch_execnz .LBB174_94
.LBB174_62:                             ;   in Loop: Header=BB174_33 Depth=1
	s_or_b32 exec_lo, exec_lo, s73
	s_and_saveexec_b32 s73, s29
	s_cbranch_execnz .LBB174_95
.LBB174_63:                             ;   in Loop: Header=BB174_33 Depth=1
	s_or_b32 exec_lo, exec_lo, s73
	s_and_saveexec_b32 s73, s30
	s_cbranch_execnz .LBB174_96
.LBB174_64:                             ;   in Loop: Header=BB174_33 Depth=1
	s_or_b32 exec_lo, exec_lo, s73
	s_and_saveexec_b32 s73, s31
	s_cbranch_execnz .LBB174_97
.LBB174_65:                             ;   in Loop: Header=BB174_33 Depth=1
	s_or_b32 exec_lo, exec_lo, s73
	s_and_saveexec_b32 s31, vcc_lo
	s_cbranch_execz .LBB174_32
	s_branch .LBB174_98
.LBB174_66:                             ;   in Loop: Header=BB174_33 Depth=1
	v_mov_b32_e32 v8, s37
	ds_load_b32 v8, v8
	s_waitcnt lgkmcnt(0)
	v_add_nc_u32_e32 v7, v8, v7
	s_or_b32 exec_lo, exec_lo, s73
	s_and_saveexec_b32 s73, s1
	s_cbranch_execz .LBB174_35
.LBB174_67:                             ;   in Loop: Header=BB174_33 Depth=1
	v_mov_b32_e32 v8, s38
	ds_load_b32 v8, v8
	s_waitcnt lgkmcnt(0)
	v_add_nc_u32_e32 v7, v8, v7
	s_or_b32 exec_lo, exec_lo, s73
	s_and_saveexec_b32 s73, s2
	s_cbranch_execz .LBB174_36
.LBB174_68:                             ;   in Loop: Header=BB174_33 Depth=1
	v_mov_b32_e32 v8, s39
	ds_load_b32 v8, v8
	s_waitcnt lgkmcnt(0)
	v_add_nc_u32_e32 v7, v8, v7
	s_or_b32 exec_lo, exec_lo, s73
	s_and_saveexec_b32 s73, s3
	s_cbranch_execz .LBB174_37
.LBB174_69:                             ;   in Loop: Header=BB174_33 Depth=1
	v_mov_b32_e32 v8, s40
	ds_load_b32 v8, v8
	s_waitcnt lgkmcnt(0)
	v_add_nc_u32_e32 v7, v8, v7
	s_or_b32 exec_lo, exec_lo, s73
	s_and_saveexec_b32 s73, s4
	s_cbranch_execz .LBB174_38
.LBB174_70:                             ;   in Loop: Header=BB174_33 Depth=1
	v_mov_b32_e32 v8, s41
	ds_load_b32 v8, v8
	s_waitcnt lgkmcnt(0)
	v_add_nc_u32_e32 v7, v8, v7
	s_or_b32 exec_lo, exec_lo, s73
	s_and_saveexec_b32 s73, s5
	s_cbranch_execz .LBB174_39
.LBB174_71:                             ;   in Loop: Header=BB174_33 Depth=1
	v_mov_b32_e32 v8, s44
	ds_load_b32 v8, v8
	s_waitcnt lgkmcnt(0)
	v_add_nc_u32_e32 v7, v8, v7
	s_or_b32 exec_lo, exec_lo, s73
	s_and_saveexec_b32 s73, s6
	s_cbranch_execz .LBB174_40
.LBB174_72:                             ;   in Loop: Header=BB174_33 Depth=1
	v_mov_b32_e32 v8, s45
	ds_load_b32 v8, v8
	s_waitcnt lgkmcnt(0)
	v_add_nc_u32_e32 v7, v8, v7
	s_or_b32 exec_lo, exec_lo, s73
	s_and_saveexec_b32 s73, s7
	s_cbranch_execz .LBB174_41
.LBB174_73:                             ;   in Loop: Header=BB174_33 Depth=1
	v_mov_b32_e32 v8, s47
	ds_load_b32 v8, v8
	s_waitcnt lgkmcnt(0)
	v_add_nc_u32_e32 v7, v8, v7
	s_or_b32 exec_lo, exec_lo, s73
	s_and_saveexec_b32 s73, s8
	s_cbranch_execz .LBB174_42
.LBB174_74:                             ;   in Loop: Header=BB174_33 Depth=1
	v_mov_b32_e32 v8, s49
	ds_load_b32 v8, v8
	s_waitcnt lgkmcnt(0)
	v_add_nc_u32_e32 v7, v8, v7
	s_or_b32 exec_lo, exec_lo, s73
	s_and_saveexec_b32 s73, s9
	s_cbranch_execz .LBB174_43
.LBB174_75:                             ;   in Loop: Header=BB174_33 Depth=1
	v_mov_b32_e32 v8, s50
	ds_load_b32 v8, v8
	s_waitcnt lgkmcnt(0)
	v_add_nc_u32_e32 v7, v8, v7
	s_or_b32 exec_lo, exec_lo, s73
	s_and_saveexec_b32 s73, s10
	s_cbranch_execz .LBB174_44
.LBB174_76:                             ;   in Loop: Header=BB174_33 Depth=1
	v_mov_b32_e32 v8, s51
	ds_load_b32 v8, v8
	s_waitcnt lgkmcnt(0)
	v_add_nc_u32_e32 v7, v8, v7
	s_or_b32 exec_lo, exec_lo, s73
	s_and_saveexec_b32 s73, s11
	s_cbranch_execz .LBB174_45
.LBB174_77:                             ;   in Loop: Header=BB174_33 Depth=1
	v_mov_b32_e32 v8, s52
	ds_load_b32 v8, v8
	s_waitcnt lgkmcnt(0)
	v_add_nc_u32_e32 v7, v8, v7
	s_or_b32 exec_lo, exec_lo, s73
	s_and_saveexec_b32 s73, s12
	s_cbranch_execz .LBB174_46
.LBB174_78:                             ;   in Loop: Header=BB174_33 Depth=1
	v_mov_b32_e32 v8, s53
	ds_load_b32 v8, v8
	s_waitcnt lgkmcnt(0)
	v_add_nc_u32_e32 v7, v8, v7
	s_or_b32 exec_lo, exec_lo, s73
	s_and_saveexec_b32 s73, s13
	s_cbranch_execz .LBB174_47
.LBB174_79:                             ;   in Loop: Header=BB174_33 Depth=1
	v_mov_b32_e32 v8, s54
	ds_load_b32 v8, v8
	s_waitcnt lgkmcnt(0)
	v_add_nc_u32_e32 v7, v8, v7
	s_or_b32 exec_lo, exec_lo, s73
	s_and_saveexec_b32 s73, s14
	s_cbranch_execz .LBB174_48
.LBB174_80:                             ;   in Loop: Header=BB174_33 Depth=1
	v_mov_b32_e32 v8, s55
	ds_load_b32 v8, v8
	s_waitcnt lgkmcnt(0)
	v_add_nc_u32_e32 v7, v8, v7
	s_or_b32 exec_lo, exec_lo, s73
	s_and_saveexec_b32 s73, s15
	s_cbranch_execz .LBB174_49
.LBB174_81:                             ;   in Loop: Header=BB174_33 Depth=1
	v_mov_b32_e32 v8, s56
	ds_load_b32 v8, v8
	s_waitcnt lgkmcnt(0)
	v_add_nc_u32_e32 v7, v8, v7
	s_or_b32 exec_lo, exec_lo, s73
	s_and_saveexec_b32 s73, s16
	s_cbranch_execz .LBB174_50
.LBB174_82:                             ;   in Loop: Header=BB174_33 Depth=1
	v_mov_b32_e32 v8, s57
	ds_load_b32 v8, v8
	s_waitcnt lgkmcnt(0)
	v_add_nc_u32_e32 v7, v8, v7
	s_or_b32 exec_lo, exec_lo, s73
	s_and_saveexec_b32 s73, s17
	s_cbranch_execz .LBB174_51
.LBB174_83:                             ;   in Loop: Header=BB174_33 Depth=1
	v_mov_b32_e32 v8, s58
	ds_load_b32 v8, v8
	s_waitcnt lgkmcnt(0)
	v_add_nc_u32_e32 v7, v8, v7
	s_or_b32 exec_lo, exec_lo, s73
	s_and_saveexec_b32 s73, s18
	s_cbranch_execz .LBB174_52
.LBB174_84:                             ;   in Loop: Header=BB174_33 Depth=1
	v_mov_b32_e32 v8, s59
	ds_load_b32 v8, v8
	s_waitcnt lgkmcnt(0)
	v_add_nc_u32_e32 v7, v8, v7
	s_or_b32 exec_lo, exec_lo, s73
	s_and_saveexec_b32 s73, s19
	s_cbranch_execz .LBB174_53
.LBB174_85:                             ;   in Loop: Header=BB174_33 Depth=1
	v_mov_b32_e32 v8, s60
	ds_load_b32 v8, v8
	s_waitcnt lgkmcnt(0)
	v_add_nc_u32_e32 v7, v8, v7
	s_or_b32 exec_lo, exec_lo, s73
	s_and_saveexec_b32 s73, s20
	s_cbranch_execz .LBB174_54
.LBB174_86:                             ;   in Loop: Header=BB174_33 Depth=1
	v_mov_b32_e32 v8, s61
	ds_load_b32 v8, v8
	s_waitcnt lgkmcnt(0)
	v_add_nc_u32_e32 v7, v8, v7
	s_or_b32 exec_lo, exec_lo, s73
	s_and_saveexec_b32 s73, s21
	s_cbranch_execz .LBB174_55
.LBB174_87:                             ;   in Loop: Header=BB174_33 Depth=1
	v_mov_b32_e32 v8, s62
	ds_load_b32 v8, v8
	s_waitcnt lgkmcnt(0)
	v_add_nc_u32_e32 v7, v8, v7
	s_or_b32 exec_lo, exec_lo, s73
	s_and_saveexec_b32 s73, s22
	s_cbranch_execz .LBB174_56
.LBB174_88:                             ;   in Loop: Header=BB174_33 Depth=1
	v_mov_b32_e32 v8, s63
	ds_load_b32 v8, v8
	s_waitcnt lgkmcnt(0)
	v_add_nc_u32_e32 v7, v8, v7
	s_or_b32 exec_lo, exec_lo, s73
	s_and_saveexec_b32 s73, s23
	s_cbranch_execz .LBB174_57
.LBB174_89:                             ;   in Loop: Header=BB174_33 Depth=1
	v_mov_b32_e32 v8, s64
	ds_load_b32 v8, v8
	s_waitcnt lgkmcnt(0)
	v_add_nc_u32_e32 v7, v8, v7
	s_or_b32 exec_lo, exec_lo, s73
	s_and_saveexec_b32 s73, s24
	s_cbranch_execz .LBB174_58
.LBB174_90:                             ;   in Loop: Header=BB174_33 Depth=1
	v_mov_b32_e32 v8, s65
	ds_load_b32 v8, v8
	s_waitcnt lgkmcnt(0)
	v_add_nc_u32_e32 v7, v8, v7
	s_or_b32 exec_lo, exec_lo, s73
	s_and_saveexec_b32 s73, s25
	s_cbranch_execz .LBB174_59
.LBB174_91:                             ;   in Loop: Header=BB174_33 Depth=1
	v_mov_b32_e32 v8, s66
	ds_load_b32 v8, v8
	s_waitcnt lgkmcnt(0)
	v_add_nc_u32_e32 v7, v8, v7
	s_or_b32 exec_lo, exec_lo, s73
	s_and_saveexec_b32 s73, s26
	s_cbranch_execz .LBB174_60
.LBB174_92:                             ;   in Loop: Header=BB174_33 Depth=1
	v_mov_b32_e32 v8, s67
	ds_load_b32 v8, v8
	s_waitcnt lgkmcnt(0)
	v_add_nc_u32_e32 v7, v8, v7
	s_or_b32 exec_lo, exec_lo, s73
	s_and_saveexec_b32 s73, s27
	s_cbranch_execz .LBB174_61
.LBB174_93:                             ;   in Loop: Header=BB174_33 Depth=1
	v_mov_b32_e32 v8, s69
	ds_load_b32 v8, v8
	s_waitcnt lgkmcnt(0)
	v_add_nc_u32_e32 v7, v8, v7
	s_or_b32 exec_lo, exec_lo, s73
	s_and_saveexec_b32 s73, s28
	s_cbranch_execz .LBB174_62
.LBB174_94:                             ;   in Loop: Header=BB174_33 Depth=1
	v_mov_b32_e32 v8, s70
	ds_load_b32 v8, v8
	s_waitcnt lgkmcnt(0)
	v_add_nc_u32_e32 v7, v8, v7
	s_or_b32 exec_lo, exec_lo, s73
	s_and_saveexec_b32 s73, s29
	s_cbranch_execz .LBB174_63
.LBB174_95:                             ;   in Loop: Header=BB174_33 Depth=1
	v_mov_b32_e32 v8, s71
	ds_load_b32 v8, v8
	s_waitcnt lgkmcnt(0)
	v_add_nc_u32_e32 v7, v8, v7
	s_or_b32 exec_lo, exec_lo, s73
	s_and_saveexec_b32 s73, s30
	s_cbranch_execz .LBB174_64
.LBB174_96:                             ;   in Loop: Header=BB174_33 Depth=1
	v_mov_b32_e32 v8, s72
	ds_load_b32 v8, v8
	s_waitcnt lgkmcnt(0)
	v_add_nc_u32_e32 v7, v8, v7
	s_or_b32 exec_lo, exec_lo, s73
	s_and_saveexec_b32 s73, s31
	s_cbranch_execz .LBB174_65
.LBB174_97:                             ;   in Loop: Header=BB174_33 Depth=1
	s_delay_alu instid0(VALU_DEP_1) | instskip(NEXT) | instid1(VALU_DEP_1)
	v_add3_u32 v8, v3, -1, v7
	v_lshl_add_u32 v8, v8, 2, 0
	s_delay_alu instid0(VALU_DEP_1)
	v_add_nc_u32_e32 v11, 0x10000, v8
	ds_store_b32 v8, v5
	ds_store_b32 v11, v6
	s_or_b32 exec_lo, exec_lo, s73
	s_and_saveexec_b32 s31, vcc_lo
	s_cbranch_execz .LBB174_32
.LBB174_98:                             ;   in Loop: Header=BB174_33 Depth=1
	v_mov_b32_e32 v5, s68
	ds_store_b32 v5, v7
	s_branch .LBB174_32
.LBB174_99:                             ;   in Loop: Header=BB174_100 Depth=1
	s_or_b32 exec_lo, exec_lo, s4
	v_add_co_u32 v1, vcc_lo, 0x400, v1
	v_add_co_ci_u32_e32 v2, vcc_lo, 0, v2, vcc_lo
	s_delay_alu instid0(VALU_DEP_1) | instskip(SKIP_1) | instid1(SALU_CYCLE_1)
	v_cmp_le_i64_e32 vcc_lo, s[0:1], v[1:2]
	s_or_b32 s3, vcc_lo, s3
	s_and_not1_b32 exec_lo, exec_lo, s3
	s_cbranch_execz .LBB174_30
.LBB174_100:                            ; =>This Loop Header: Depth=1
                                        ;     Child Loop BB174_102 Depth 2
	v_lshlrev_b64 v[3:4], 2, v[1:2]
	s_mov_b32 s4, 0
	s_delay_alu instid0(VALU_DEP_1) | instskip(NEXT) | instid1(VALU_DEP_2)
	v_add_co_u32 v5, vcc_lo, s38, v3
	v_add_co_ci_u32_e32 v6, vcc_lo, s39, v4, vcc_lo
	v_add_co_u32 v3, vcc_lo, s40, v3
	v_add_co_ci_u32_e32 v4, vcc_lo, s41, v4, vcc_lo
	global_load_b32 v5, v[5:6], off
	global_load_b32 v4, v[3:4], off
	s_waitcnt vmcnt(1)
	v_subrev_nc_u32_e32 v3, s47, v5
	s_delay_alu instid0(VALU_DEP_1) | instskip(SKIP_1) | instid1(VALU_DEP_1)
	v_mul_lo_u32 v5, 0x89, v3
	s_waitcnt vmcnt(0)
	v_dual_mul_f32 v4, v11, v4 :: v_dual_and_b32 v5, 0x3fff, v5
	s_branch .LBB174_102
.LBB174_101:                            ;   in Loop: Header=BB174_102 Depth=2
	s_or_b32 exec_lo, exec_lo, s5
	s_xor_b32 s5, s6, -1
	s_delay_alu instid0(SALU_CYCLE_1) | instskip(NEXT) | instid1(SALU_CYCLE_1)
	s_and_b32 s5, exec_lo, s5
	s_or_b32 s4, s5, s4
	s_delay_alu instid0(SALU_CYCLE_1)
	s_and_not1_b32 exec_lo, exec_lo, s4
	s_cbranch_execz .LBB174_99
.LBB174_102:                            ;   Parent Loop BB174_100 Depth=1
                                        ; =>  This Inner Loop Header: Depth=2
	s_delay_alu instid0(VALU_DEP_1)
	v_lshl_add_u32 v6, v5, 2, 0
	s_mov_b32 s5, exec_lo
                                        ; implicit-def: $sgpr6
	ds_load_b32 v7, v6
	s_waitcnt lgkmcnt(0)
	v_cmpx_ne_u32_e64 v7, v3
	s_xor_b32 s5, exec_lo, s5
	s_cbranch_execz .LBB174_110
; %bb.103:                              ;   in Loop: Header=BB174_102 Depth=2
	s_mov_b32 s7, exec_lo
                                        ; implicit-def: $sgpr6
	v_cmpx_ne_u32_e64 s33, v7
	s_xor_b32 s7, exec_lo, s7
; %bb.104:                              ;   in Loop: Header=BB174_102 Depth=2
	v_add_nc_u32_e32 v5, 1, v5
	s_mov_b32 s6, -1
                                        ; implicit-def: $vgpr6
	s_delay_alu instid0(VALU_DEP_1)
	v_and_b32_e32 v5, 0x3fff, v5
; %bb.105:                              ;   in Loop: Header=BB174_102 Depth=2
	s_and_not1_saveexec_b32 s7, s7
	s_cbranch_execz .LBB174_109
; %bb.106:                              ;   in Loop: Header=BB174_102 Depth=2
	v_mov_b32_e32 v7, s33
	s_mov_b32 s8, -1
	s_mov_b32 s9, exec_lo
	ds_cmpstore_rtn_b32 v6, v6, v3, v7
	s_waitcnt lgkmcnt(0)
	v_cmpx_eq_u32_e64 s33, v6
	s_cbranch_execz .LBB174_108
; %bb.107:                              ;   in Loop: Header=BB174_102 Depth=2
	v_lshlrev_b32_e32 v6, 2, v5
	s_xor_b32 s8, exec_lo, -1
	s_delay_alu instid0(VALU_DEP_1)
	v_add3_u32 v6, 0, v6, 0x10000
	ds_add_f32 v6, v4
.LBB174_108:                            ;   in Loop: Header=BB174_102 Depth=2
	s_or_b32 exec_lo, exec_lo, s9
	s_delay_alu instid0(SALU_CYCLE_1) | instskip(SKIP_1) | instid1(SALU_CYCLE_1)
	s_and_not1_b32 s6, s6, exec_lo
	s_and_b32 s8, s8, exec_lo
	s_or_b32 s6, s6, s8
.LBB174_109:                            ;   in Loop: Header=BB174_102 Depth=2
	s_or_b32 exec_lo, exec_lo, s7
	s_delay_alu instid0(SALU_CYCLE_1)
	s_and_b32 s6, s6, exec_lo
.LBB174_110:                            ;   in Loop: Header=BB174_102 Depth=2
	s_and_not1_saveexec_b32 s5, s5
	s_cbranch_execz .LBB174_101
; %bb.111:                              ;   in Loop: Header=BB174_102 Depth=2
	v_lshlrev_b32_e32 v6, 2, v5
	s_and_not1_b32 s6, s6, exec_lo
	s_delay_alu instid0(VALU_DEP_1)
	v_add3_u32 v6, 0, v6, 0x10000
	ds_add_f32 v6, v4
	s_branch .LBB174_101
.LBB174_112:
	s_or_b32 exec_lo, exec_lo, s36
	s_ashr_i32 s49, s48, 31
	s_mov_b32 s4, exec_lo
	s_lshl_b64 s[0:1], s[48:49], 3
	s_delay_alu instid0(SALU_CYCLE_1) | instskip(SKIP_4) | instid1(SALU_CYCLE_1)
	s_add_u32 s0, s42, s0
	s_addc_u32 s1, s43, s1
	s_load_b128 s[0:3], s[0:1], 0x0
	s_waitcnt lgkmcnt(0)
	s_sub_i32 s3, s2, s0
	v_cmpx_gt_i32_e64 s3, v0
	s_cbranch_execz .LBB174_122
; %bb.113:
	s_sub_u32 s4, s0, s46
	s_subb_u32 s5, s1, 0
	s_sub_i32 s0, s0, s2
	s_and_b32 s1, s3, 7
	s_cmp_lt_u32 s0, -7
	s_mov_b32 s8, 0
	s_cselect_b32 s2, -1, 0
	s_and_b32 s6, s3, -8
	s_cmp_lg_u32 s1, 0
	s_cselect_b32 s7, -1, 0
	s_branch .LBB174_115
.LBB174_114:                            ;   in Loop: Header=BB174_115 Depth=1
	s_delay_alu instid0(VALU_DEP_1) | instskip(SKIP_1) | instid1(VALU_DEP_1)
	v_lshlrev_b64 v[1:2], 2, v[1:2]
	v_add_nc_u32_e32 v0, 0x400, v0
	v_cmp_le_i32_e32 vcc_lo, s3, v0
	s_delay_alu instid0(VALU_DEP_3) | instskip(NEXT) | instid1(VALU_DEP_1)
	v_add_co_u32 v1, s0, s34, v1
	v_add_co_ci_u32_e64 v2, s0, s35, v2, s0
	s_or_b32 s8, vcc_lo, s8
	s_waitcnt lgkmcnt(0)
	global_store_b32 v[1:2], v3, off
	s_and_not1_b32 exec_lo, exec_lo, s8
	s_cbranch_execz .LBB174_122
.LBB174_115:                            ; =>This Loop Header: Depth=1
                                        ;     Child Loop BB174_117 Depth 2
                                        ;     Child Loop BB174_121 Depth 2
	v_lshl_add_u32 v1, v0, 2, 0
	s_and_not1_b32 vcc_lo, exec_lo, s2
	s_mov_b32 s0, 0
	s_delay_alu instid0(VALU_DEP_1)
	v_add_nc_u32_e32 v2, 0x10000, v1
	ds_load_b32 v4, v1
	ds_load_b32 v3, v2
	v_dual_mov_b32 v1, s4 :: v_dual_mov_b32 v2, s5
	s_cbranch_vccnz .LBB174_119
; %bb.116:                              ;   in Loop: Header=BB174_115 Depth=1
	v_dual_mov_b32 v1, s4 :: v_dual_mov_b32 v2, s5
	s_mov_b32 s9, 0
	s_mov_b32 s10, 0
.LBB174_117:                            ;   Parent Loop BB174_115 Depth=1
                                        ; =>  This Inner Loop Header: Depth=2
	s_delay_alu instid0(SALU_CYCLE_1)
	v_mov_b32_e32 v11, s10
	s_add_i32 s9, s9, 8
	s_add_i32 s10, s10, 32
	s_cmp_eq_u32 s6, s9
	ds_load_2addr_b32 v[5:6], v11 offset1:1
	ds_load_2addr_b32 v[7:8], v11 offset0:2 offset1:3
	ds_load_2addr_b32 v[9:10], v11 offset0:4 offset1:5
	;; [unrolled: 1-line block ×3, first 2 shown]
	s_waitcnt lgkmcnt(3)
	v_cmp_gt_i32_e32 vcc_lo, v4, v5
	v_cndmask_b32_e64 v5, 0, 1, vcc_lo
	v_cmp_gt_i32_e32 vcc_lo, v4, v6
	v_cndmask_b32_e64 v6, 0, 1, vcc_lo
	s_waitcnt lgkmcnt(2)
	v_cmp_gt_i32_e32 vcc_lo, v4, v7
	v_cndmask_b32_e64 v7, 0, 1, vcc_lo
	v_cmp_gt_i32_e32 vcc_lo, v4, v8
	v_cndmask_b32_e64 v8, 0, 1, vcc_lo
	s_waitcnt lgkmcnt(1)
	v_cmp_gt_i32_e32 vcc_lo, v4, v9
	v_cndmask_b32_e64 v9, 0, 1, vcc_lo
	v_add_co_u32 v1, vcc_lo, v1, v5
	v_add_co_ci_u32_e32 v2, vcc_lo, 0, v2, vcc_lo
	v_cmp_gt_i32_e32 vcc_lo, v4, v10
	s_delay_alu instid0(VALU_DEP_3) | instskip(NEXT) | instid1(VALU_DEP_1)
	v_add_co_u32 v1, s0, v1, v6
	v_add_co_ci_u32_e64 v2, s0, 0, v2, s0
	v_cndmask_b32_e64 v5, 0, 1, vcc_lo
	s_delay_alu instid0(VALU_DEP_3) | instskip(NEXT) | instid1(VALU_DEP_3)
	v_add_co_u32 v1, vcc_lo, v1, v7
	v_add_co_ci_u32_e32 v2, vcc_lo, 0, v2, vcc_lo
	s_waitcnt lgkmcnt(0)
	v_cmp_gt_i32_e32 vcc_lo, v4, v11
	s_delay_alu instid0(VALU_DEP_3) | instskip(NEXT) | instid1(VALU_DEP_1)
	v_add_co_u32 v1, s0, v1, v8
	v_add_co_ci_u32_e64 v2, s0, 0, v2, s0
	v_cndmask_b32_e64 v6, 0, 1, vcc_lo
	s_delay_alu instid0(VALU_DEP_3) | instskip(NEXT) | instid1(VALU_DEP_3)
	v_add_co_u32 v1, vcc_lo, v1, v9
	v_add_co_ci_u32_e32 v2, vcc_lo, 0, v2, vcc_lo
	v_cmp_gt_i32_e32 vcc_lo, v4, v12
	s_delay_alu instid0(VALU_DEP_3) | instskip(NEXT) | instid1(VALU_DEP_1)
	v_add_co_u32 v1, s0, v1, v5
	v_add_co_ci_u32_e64 v2, s0, 0, v2, s0
	v_cndmask_b32_e64 v5, 0, 1, vcc_lo
	s_delay_alu instid0(VALU_DEP_3) | instskip(NEXT) | instid1(VALU_DEP_3)
	v_add_co_u32 v1, vcc_lo, v1, v6
	v_add_co_ci_u32_e32 v2, vcc_lo, 0, v2, vcc_lo
	s_delay_alu instid0(VALU_DEP_2) | instskip(NEXT) | instid1(VALU_DEP_2)
	v_add_co_u32 v1, vcc_lo, v1, v5
	v_add_co_ci_u32_e32 v2, vcc_lo, 0, v2, vcc_lo
	s_cbranch_scc0 .LBB174_117
; %bb.118:                              ;   in Loop: Header=BB174_115 Depth=1
	s_mov_b32 s0, s6
.LBB174_119:                            ;   in Loop: Header=BB174_115 Depth=1
	s_and_not1_b32 vcc_lo, exec_lo, s7
	s_cbranch_vccnz .LBB174_114
; %bb.120:                              ;   in Loop: Header=BB174_115 Depth=1
	s_lshl_b32 s0, s0, 2
	s_mov_b32 s9, s1
	s_add_i32 s0, s0, 0
.LBB174_121:                            ;   Parent Loop BB174_115 Depth=1
                                        ; =>  This Inner Loop Header: Depth=2
	s_delay_alu instid0(SALU_CYCLE_1)
	v_mov_b32_e32 v5, s0
	s_add_i32 s9, s9, -1
	s_add_i32 s0, s0, 4
	s_cmp_lg_u32 s9, 0
	ds_load_b32 v5, v5
	s_waitcnt lgkmcnt(0)
	v_cmp_gt_i32_e32 vcc_lo, v4, v5
	v_cndmask_b32_e64 v5, 0, 1, vcc_lo
	s_delay_alu instid0(VALU_DEP_1)
	v_add_co_u32 v1, vcc_lo, v1, v5
	v_add_co_ci_u32_e32 v2, vcc_lo, 0, v2, vcc_lo
	s_cbranch_scc1 .LBB174_121
	s_branch .LBB174_114
.LBB174_122:
	s_nop 0
	s_sendmsg sendmsg(MSG_DEALLOC_VGPRS)
	s_endpgm
	.section	.rodata,"a",@progbits
	.p2align	6, 0x0
	.amdhsa_kernel _ZN9rocsparseL41csrgemm_numeric_fill_block_per_row_kernelILj1024ELj64ELj16384ELj137ELj32ElifEEvT5_PKS1_S3_NS_24const_host_device_scalarIT6_EEPKT4_S3_PKS5_S9_S3_SB_S6_S9_S3_SB_S9_S3_PS5_21rocsparse_index_base_SD_SD_SD_bbb
		.amdhsa_group_segment_fixed_size 0
		.amdhsa_private_segment_fixed_size 0
		.amdhsa_kernarg_size 156
		.amdhsa_user_sgpr_count 15
		.amdhsa_user_sgpr_dispatch_ptr 0
		.amdhsa_user_sgpr_queue_ptr 0
		.amdhsa_user_sgpr_kernarg_segment_ptr 1
		.amdhsa_user_sgpr_dispatch_id 0
		.amdhsa_user_sgpr_private_segment_size 0
		.amdhsa_wavefront_size32 1
		.amdhsa_uses_dynamic_stack 0
		.amdhsa_enable_private_segment 0
		.amdhsa_system_sgpr_workgroup_id_x 1
		.amdhsa_system_sgpr_workgroup_id_y 0
		.amdhsa_system_sgpr_workgroup_id_z 0
		.amdhsa_system_sgpr_workgroup_info 0
		.amdhsa_system_vgpr_workitem_id 0
		.amdhsa_next_free_vgpr 19
		.amdhsa_next_free_sgpr 74
		.amdhsa_reserve_vcc 1
		.amdhsa_float_round_mode_32 0
		.amdhsa_float_round_mode_16_64 0
		.amdhsa_float_denorm_mode_32 3
		.amdhsa_float_denorm_mode_16_64 3
		.amdhsa_dx10_clamp 1
		.amdhsa_ieee_mode 1
		.amdhsa_fp16_overflow 0
		.amdhsa_workgroup_processor_mode 1
		.amdhsa_memory_ordered 1
		.amdhsa_forward_progress 0
		.amdhsa_shared_vgpr_count 0
		.amdhsa_exception_fp_ieee_invalid_op 0
		.amdhsa_exception_fp_denorm_src 0
		.amdhsa_exception_fp_ieee_div_zero 0
		.amdhsa_exception_fp_ieee_overflow 0
		.amdhsa_exception_fp_ieee_underflow 0
		.amdhsa_exception_fp_ieee_inexact 0
		.amdhsa_exception_int_div_zero 0
	.end_amdhsa_kernel
	.section	.text._ZN9rocsparseL41csrgemm_numeric_fill_block_per_row_kernelILj1024ELj64ELj16384ELj137ELj32ElifEEvT5_PKS1_S3_NS_24const_host_device_scalarIT6_EEPKT4_S3_PKS5_S9_S3_SB_S6_S9_S3_SB_S9_S3_PS5_21rocsparse_index_base_SD_SD_SD_bbb,"axG",@progbits,_ZN9rocsparseL41csrgemm_numeric_fill_block_per_row_kernelILj1024ELj64ELj16384ELj137ELj32ElifEEvT5_PKS1_S3_NS_24const_host_device_scalarIT6_EEPKT4_S3_PKS5_S9_S3_SB_S6_S9_S3_SB_S9_S3_PS5_21rocsparse_index_base_SD_SD_SD_bbb,comdat
.Lfunc_end174:
	.size	_ZN9rocsparseL41csrgemm_numeric_fill_block_per_row_kernelILj1024ELj64ELj16384ELj137ELj32ElifEEvT5_PKS1_S3_NS_24const_host_device_scalarIT6_EEPKT4_S3_PKS5_S9_S3_SB_S6_S9_S3_SB_S9_S3_PS5_21rocsparse_index_base_SD_SD_SD_bbb, .Lfunc_end174-_ZN9rocsparseL41csrgemm_numeric_fill_block_per_row_kernelILj1024ELj64ELj16384ELj137ELj32ElifEEvT5_PKS1_S3_NS_24const_host_device_scalarIT6_EEPKT4_S3_PKS5_S9_S3_SB_S6_S9_S3_SB_S9_S3_PS5_21rocsparse_index_base_SD_SD_SD_bbb
                                        ; -- End function
	.section	.AMDGPU.csdata,"",@progbits
; Kernel info:
; codeLenInByte = 4648
; NumSgprs: 76
; NumVgprs: 19
; ScratchSize: 0
; MemoryBound: 0
; FloatMode: 240
; IeeeMode: 1
; LDSByteSize: 0 bytes/workgroup (compile time only)
; SGPRBlocks: 9
; VGPRBlocks: 2
; NumSGPRsForWavesPerEU: 76
; NumVGPRsForWavesPerEU: 19
; Occupancy: 16
; WaveLimiterHint : 1
; COMPUTE_PGM_RSRC2:SCRATCH_EN: 0
; COMPUTE_PGM_RSRC2:USER_SGPR: 15
; COMPUTE_PGM_RSRC2:TRAP_HANDLER: 0
; COMPUTE_PGM_RSRC2:TGID_X_EN: 1
; COMPUTE_PGM_RSRC2:TGID_Y_EN: 0
; COMPUTE_PGM_RSRC2:TGID_Z_EN: 0
; COMPUTE_PGM_RSRC2:TIDIG_COMP_CNT: 0
	.section	.text._ZN9rocsparseL41csrgemm_numeric_fill_block_per_row_kernelILj1024ELj64ELj16384ELj137ELj64ElifEEvT5_PKS1_S3_NS_24const_host_device_scalarIT6_EEPKT4_S3_PKS5_S9_S3_SB_S6_S9_S3_SB_S9_S3_PS5_21rocsparse_index_base_SD_SD_SD_bbb,"axG",@progbits,_ZN9rocsparseL41csrgemm_numeric_fill_block_per_row_kernelILj1024ELj64ELj16384ELj137ELj64ElifEEvT5_PKS1_S3_NS_24const_host_device_scalarIT6_EEPKT4_S3_PKS5_S9_S3_SB_S6_S9_S3_SB_S9_S3_PS5_21rocsparse_index_base_SD_SD_SD_bbb,comdat
	.globl	_ZN9rocsparseL41csrgemm_numeric_fill_block_per_row_kernelILj1024ELj64ELj16384ELj137ELj64ElifEEvT5_PKS1_S3_NS_24const_host_device_scalarIT6_EEPKT4_S3_PKS5_S9_S3_SB_S6_S9_S3_SB_S9_S3_PS5_21rocsparse_index_base_SD_SD_SD_bbb ; -- Begin function _ZN9rocsparseL41csrgemm_numeric_fill_block_per_row_kernelILj1024ELj64ELj16384ELj137ELj64ElifEEvT5_PKS1_S3_NS_24const_host_device_scalarIT6_EEPKT4_S3_PKS5_S9_S3_SB_S6_S9_S3_SB_S9_S3_PS5_21rocsparse_index_base_SD_SD_SD_bbb
	.p2align	8
	.type	_ZN9rocsparseL41csrgemm_numeric_fill_block_per_row_kernelILj1024ELj64ELj16384ELj137ELj64ElifEEvT5_PKS1_S3_NS_24const_host_device_scalarIT6_EEPKT4_S3_PKS5_S9_S3_SB_S6_S9_S3_SB_S9_S3_PS5_21rocsparse_index_base_SD_SD_SD_bbb,@function
_ZN9rocsparseL41csrgemm_numeric_fill_block_per_row_kernelILj1024ELj64ELj16384ELj137ELj64ElifEEvT5_PKS1_S3_NS_24const_host_device_scalarIT6_EEPKT4_S3_PKS5_S9_S3_SB_S6_S9_S3_SB_S9_S3_PS5_21rocsparse_index_base_SD_SD_SD_bbb: ; @_ZN9rocsparseL41csrgemm_numeric_fill_block_per_row_kernelILj1024ELj64ELj16384ELj137ELj64ElifEEvT5_PKS1_S3_NS_24const_host_device_scalarIT6_EEPKT4_S3_PKS5_S9_S3_SB_S6_S9_S3_SB_S9_S3_PS5_21rocsparse_index_base_SD_SD_SD_bbb
; %bb.0:
	s_clause 0x3
	s_load_b32 s12, s[0:1], 0x98
	s_load_b128 s[24:27], s[0:1], 0x88
	s_load_b64 s[4:5], s[0:1], 0x18
	s_load_b64 s[2:3], s[0:1], 0x50
	s_waitcnt lgkmcnt(0)
	s_bitcmp1_b32 s12, 0
	s_cselect_b32 s13, -1, 0
	s_bitcmp1_b32 s12, 16
	s_cselect_b32 s14, -1, 0
	s_xor_b32 s6, s13, -1
	s_delay_alu instid0(SALU_CYCLE_1) | instskip(NEXT) | instid1(SALU_CYCLE_1)
	s_or_b32 s6, s6, s14
	s_and_b32 vcc_lo, exec_lo, s6
	s_cbranch_vccnz .LBB175_2
; %bb.1:
	s_load_b32 s4, s[4:5], 0x0
	s_waitcnt lgkmcnt(0)
	v_mov_b32_e32 v13, s4
	s_branch .LBB175_3
.LBB175_2:
	v_cndmask_b32_e64 v13, 0, s4, s13
.LBB175_3:
	s_clause 0x4
	s_load_b64 s[34:35], s[0:1], 0x80
	s_load_b256 s[16:23], s[0:1], 0x58
	s_load_b128 s[28:31], s[0:1], 0x40
	s_load_b128 s[36:39], s[0:1], 0x8
	s_load_b256 s[4:11], s[0:1], 0x20
	s_bitcmp1_b32 s12, 8
	s_cselect_b32 s12, -1, 0
	s_delay_alu instid0(SALU_CYCLE_1) | instskip(NEXT) | instid1(SALU_CYCLE_1)
	s_xor_b32 s33, s12, -1
	s_or_b32 s14, s33, s14
	s_delay_alu instid0(SALU_CYCLE_1)
	s_and_b32 vcc_lo, exec_lo, s14
	s_cbranch_vccnz .LBB175_5
; %bb.4:
	s_load_b32 s2, s[2:3], 0x0
	s_waitcnt lgkmcnt(0)
	v_mov_b32_e32 v11, s2
	s_branch .LBB175_6
.LBB175_5:
	v_cndmask_b32_e64 v11, 0, s2, s12
.LBB175_6:
	s_load_b32 s33, s[0:1], 0x0
	v_lshl_add_u32 v9, v0, 2, 0
	v_or_b32_e32 v10, 0xfffffc00, v0
	v_mov_b32_e32 v1, 0
	s_mov_b32 s0, 0
	s_delay_alu instid0(VALU_DEP_3)
	v_mov_b32_e32 v2, v9
	s_waitcnt lgkmcnt(0)
	v_dual_mov_b32 v4, v10 :: v_dual_mov_b32 v3, s33
.LBB175_7:                              ; =>This Inner Loop Header: Depth=1
	s_delay_alu instid0(VALU_DEP_1) | instskip(NEXT) | instid1(VALU_DEP_3)
	v_add_nc_u32_e32 v4, 0x400, v4
	v_add_nc_u32_e32 v5, 0x10000, v2
	ds_store_b32 v2, v3
	v_add_nc_u32_e32 v2, 0x1000, v2
	v_cmp_lt_u32_e32 vcc_lo, 0x3bff, v4
	ds_store_b32 v5, v1
	s_or_b32 s0, vcc_lo, s0
	s_delay_alu instid0(SALU_CYCLE_1)
	s_and_not1_b32 exec_lo, exec_lo, s0
	s_cbranch_execnz .LBB175_7
; %bb.8:
	s_or_b32 exec_lo, exec_lo, s0
	s_waitcnt lgkmcnt(0)
	s_barrier
	buffer_gl0_inv
	s_load_b32 s0, s[36:37], 0x0
	s_mov_b32 s1, 0
	v_lshrrev_b32_e32 v12, 6, v0
	s_waitcnt lgkmcnt(0)
	s_add_i32 s0, s0, s15
	s_delay_alu instid0(SALU_CYCLE_1) | instskip(NEXT) | instid1(SALU_CYCLE_1)
	s_lshl_b64 s[0:1], s[0:1], 2
	s_add_u32 s0, s38, s0
	s_addc_u32 s1, s39, s1
	s_and_b32 vcc_lo, exec_lo, s13
	s_load_b32 s36, s[0:1], 0x0
	s_cbranch_vccz .LBB175_28
; %bb.9:
	s_waitcnt lgkmcnt(0)
	s_ashr_i32 s37, s36, 31
	s_delay_alu instid0(SALU_CYCLE_1) | instskip(NEXT) | instid1(SALU_CYCLE_1)
	s_lshl_b64 s[0:1], s[36:37], 3
	s_add_u32 s0, s4, s0
	s_addc_u32 s1, s5, s1
	v_sub_co_u32 v1, s4, v12, s24
	s_load_b128 s[0:3], s[0:1], 0x0
	v_sub_co_ci_u32_e64 v2, null, 0, 0, s4
	s_waitcnt lgkmcnt(0)
	s_delay_alu instid0(VALU_DEP_2) | instskip(NEXT) | instid1(VALU_DEP_2)
	v_add_co_u32 v1, vcc_lo, s0, v1
	v_add_co_ci_u32_e32 v2, vcc_lo, s1, v2, vcc_lo
	s_sub_u32 s0, s2, s24
	s_subb_u32 s1, s3, 0
	s_mov_b32 s2, exec_lo
	s_delay_alu instid0(VALU_DEP_1)
	v_cmpx_gt_i64_e64 s[0:1], v[1:2]
	s_cbranch_execz .LBB175_27
; %bb.10:
	v_and_b32_e32 v3, 63, v0
	s_mov_b32 s4, s25
	s_delay_alu instid0(VALU_DEP_1) | instskip(NEXT) | instid1(VALU_DEP_1)
	v_sub_co_u32 v14, s3, v3, s25
	v_sub_co_ci_u32_e64 v15, null, 0, 0, s3
	s_mov_b32 s3, 0
	s_branch .LBB175_12
.LBB175_11:                             ;   in Loop: Header=BB175_12 Depth=1
	s_or_b32 exec_lo, exec_lo, s5
	v_add_co_u32 v1, vcc_lo, v1, 16
	v_add_co_ci_u32_e32 v2, vcc_lo, 0, v2, vcc_lo
	s_delay_alu instid0(VALU_DEP_1) | instskip(SKIP_1) | instid1(SALU_CYCLE_1)
	v_cmp_le_i64_e32 vcc_lo, s[0:1], v[1:2]
	s_or_b32 s3, vcc_lo, s3
	s_and_not1_b32 exec_lo, exec_lo, s3
	s_cbranch_execz .LBB175_27
.LBB175_12:                             ; =>This Loop Header: Depth=1
                                        ;     Child Loop BB175_15 Depth 2
                                        ;       Child Loop BB175_17 Depth 3
	v_lshlrev_b64 v[7:8], 2, v[1:2]
	s_mov_b32 s5, exec_lo
	s_delay_alu instid0(VALU_DEP_1) | instskip(NEXT) | instid1(VALU_DEP_2)
	v_add_co_u32 v3, vcc_lo, s6, v7
	v_add_co_ci_u32_e32 v4, vcc_lo, s7, v8, vcc_lo
	global_load_b32 v3, v[3:4], off
	s_waitcnt vmcnt(0)
	v_subrev_nc_u32_e32 v3, s24, v3
	s_delay_alu instid0(VALU_DEP_1) | instskip(NEXT) | instid1(VALU_DEP_1)
	v_ashrrev_i32_e32 v4, 31, v3
	v_lshlrev_b64 v[3:4], 3, v[3:4]
	s_delay_alu instid0(VALU_DEP_1) | instskip(NEXT) | instid1(VALU_DEP_2)
	v_add_co_u32 v3, vcc_lo, s10, v3
	v_add_co_ci_u32_e32 v4, vcc_lo, s11, v4, vcc_lo
	global_load_b128 v[16:19], v[3:4], off
	s_waitcnt vmcnt(0)
	v_sub_co_u32 v3, vcc_lo, v18, s4
	v_subrev_co_ci_u32_e32 v4, vcc_lo, 0, v19, vcc_lo
	v_add_co_u32 v5, vcc_lo, v16, v14
	v_add_co_ci_u32_e32 v6, vcc_lo, v17, v15, vcc_lo
	s_delay_alu instid0(VALU_DEP_1)
	v_cmpx_lt_i64_e64 v[5:6], v[3:4]
	s_cbranch_execz .LBB175_11
; %bb.13:                               ;   in Loop: Header=BB175_12 Depth=1
	v_add_co_u32 v7, vcc_lo, s8, v7
	v_add_co_ci_u32_e32 v8, vcc_lo, s9, v8, vcc_lo
	s_mov_b32 s13, 0
	global_load_b32 v7, v[7:8], off
	s_waitcnt vmcnt(0)
	v_mul_f32_e32 v7, v13, v7
	s_branch .LBB175_15
.LBB175_14:                             ;   in Loop: Header=BB175_15 Depth=2
	s_or_b32 exec_lo, exec_lo, s14
	v_add_co_u32 v5, vcc_lo, v5, 64
	v_add_co_ci_u32_e32 v6, vcc_lo, 0, v6, vcc_lo
	s_delay_alu instid0(VALU_DEP_1) | instskip(SKIP_1) | instid1(SALU_CYCLE_1)
	v_cmp_ge_i64_e32 vcc_lo, v[5:6], v[3:4]
	s_or_b32 s13, vcc_lo, s13
	s_and_not1_b32 exec_lo, exec_lo, s13
	s_cbranch_execz .LBB175_11
.LBB175_15:                             ;   Parent Loop BB175_12 Depth=1
                                        ; =>  This Loop Header: Depth=2
                                        ;       Child Loop BB175_17 Depth 3
	v_lshlrev_b64 v[16:17], 2, v[5:6]
	s_mov_b32 s14, 0
	s_delay_alu instid0(VALU_DEP_1) | instskip(NEXT) | instid1(VALU_DEP_2)
	v_add_co_u32 v18, vcc_lo, s28, v16
	v_add_co_ci_u32_e32 v19, vcc_lo, s29, v17, vcc_lo
	v_add_co_u32 v16, vcc_lo, s30, v16
	v_add_co_ci_u32_e32 v17, vcc_lo, s31, v17, vcc_lo
	global_load_b32 v8, v[18:19], off
	global_load_b32 v16, v[16:17], off
	s_waitcnt vmcnt(1)
	v_subrev_nc_u32_e32 v8, s25, v8
	s_delay_alu instid0(VALU_DEP_1) | instskip(SKIP_1) | instid1(VALU_DEP_1)
	v_mul_lo_u32 v17, 0x89, v8
	s_waitcnt vmcnt(0)
	v_dual_mul_f32 v16, v7, v16 :: v_dual_and_b32 v17, 0x3fff, v17
	s_branch .LBB175_17
.LBB175_16:                             ;   in Loop: Header=BB175_17 Depth=3
	s_or_b32 exec_lo, exec_lo, s15
	s_xor_b32 s15, s37, -1
	s_delay_alu instid0(SALU_CYCLE_1) | instskip(NEXT) | instid1(SALU_CYCLE_1)
	s_and_b32 s15, exec_lo, s15
	s_or_b32 s14, s15, s14
	s_delay_alu instid0(SALU_CYCLE_1)
	s_and_not1_b32 exec_lo, exec_lo, s14
	s_cbranch_execz .LBB175_14
.LBB175_17:                             ;   Parent Loop BB175_12 Depth=1
                                        ;     Parent Loop BB175_15 Depth=2
                                        ; =>    This Inner Loop Header: Depth=3
	s_delay_alu instid0(VALU_DEP_1)
	v_lshl_add_u32 v18, v17, 2, 0
	s_mov_b32 s15, exec_lo
                                        ; implicit-def: $sgpr37
	ds_load_b32 v19, v18
	s_waitcnt lgkmcnt(0)
	v_cmpx_ne_u32_e64 v19, v8
	s_xor_b32 s15, exec_lo, s15
	s_cbranch_execz .LBB175_25
; %bb.18:                               ;   in Loop: Header=BB175_17 Depth=3
	s_mov_b32 s38, exec_lo
                                        ; implicit-def: $sgpr37
	v_cmpx_ne_u32_e64 s33, v19
	s_xor_b32 s38, exec_lo, s38
; %bb.19:                               ;   in Loop: Header=BB175_17 Depth=3
	v_add_nc_u32_e32 v17, 1, v17
	s_mov_b32 s37, -1
                                        ; implicit-def: $vgpr18
	s_delay_alu instid0(VALU_DEP_1)
	v_and_b32_e32 v17, 0x3fff, v17
; %bb.20:                               ;   in Loop: Header=BB175_17 Depth=3
	s_and_not1_saveexec_b32 s38, s38
	s_cbranch_execz .LBB175_24
; %bb.21:                               ;   in Loop: Header=BB175_17 Depth=3
	v_mov_b32_e32 v19, s33
	s_mov_b32 s39, -1
	s_mov_b32 s40, exec_lo
	ds_cmpstore_rtn_b32 v18, v18, v8, v19
	s_waitcnt lgkmcnt(0)
	v_cmpx_eq_u32_e64 s33, v18
	s_cbranch_execz .LBB175_23
; %bb.22:                               ;   in Loop: Header=BB175_17 Depth=3
	v_lshlrev_b32_e32 v18, 2, v17
	s_xor_b32 s39, exec_lo, -1
	s_delay_alu instid0(VALU_DEP_1)
	v_add3_u32 v18, 0, v18, 0x10000
	ds_add_f32 v18, v16
.LBB175_23:                             ;   in Loop: Header=BB175_17 Depth=3
	s_or_b32 exec_lo, exec_lo, s40
	s_delay_alu instid0(SALU_CYCLE_1) | instskip(SKIP_1) | instid1(SALU_CYCLE_1)
	s_and_not1_b32 s37, s37, exec_lo
	s_and_b32 s39, s39, exec_lo
	s_or_b32 s37, s37, s39
.LBB175_24:                             ;   in Loop: Header=BB175_17 Depth=3
	s_or_b32 exec_lo, exec_lo, s38
	s_delay_alu instid0(SALU_CYCLE_1)
	s_and_b32 s37, s37, exec_lo
.LBB175_25:                             ;   in Loop: Header=BB175_17 Depth=3
	s_and_not1_saveexec_b32 s15, s15
	s_cbranch_execz .LBB175_16
; %bb.26:                               ;   in Loop: Header=BB175_17 Depth=3
	v_lshlrev_b32_e32 v18, 2, v17
	s_and_not1_b32 s37, s37, exec_lo
	s_delay_alu instid0(VALU_DEP_1)
	v_add3_u32 v18, 0, v18, 0x10000
	ds_add_f32 v18, v16
	s_branch .LBB175_16
.LBB175_27:
	s_or_b32 exec_lo, exec_lo, s2
.LBB175_28:
	s_delay_alu instid0(SALU_CYCLE_1)
	s_and_not1_b32 vcc_lo, exec_lo, s12
	s_cbranch_vccnz .LBB175_31
; %bb.29:
	s_waitcnt lgkmcnt(0)
	s_ashr_i32 s37, s36, 31
	v_sub_co_u32 v1, s4, v0, s27
	s_lshl_b64 s[0:1], s[36:37], 3
	v_sub_co_ci_u32_e64 v2, null, 0, 0, s4
	s_add_u32 s0, s16, s0
	s_addc_u32 s1, s17, s1
	s_load_b128 s[0:3], s[0:1], 0x0
	s_waitcnt lgkmcnt(0)
	v_add_co_u32 v1, vcc_lo, s0, v1
	v_add_co_ci_u32_e32 v2, vcc_lo, s1, v2, vcc_lo
	s_sub_u32 s0, s2, s27
	s_subb_u32 s1, s3, 0
	s_mov_b32 s3, 0
	s_mov_b32 s2, exec_lo
	v_cmpx_gt_i64_e64 s[0:1], v[1:2]
	s_cbranch_execnz .LBB175_68
.LBB175_30:
	s_or_b32 exec_lo, exec_lo, s2
.LBB175_31:
	v_mbcnt_lo_u32_b32 v1, -1, 0
	v_lshlrev_b32_e32 v2, 2, v12
	s_add_i32 s31, 0, 0x2003c
	v_cmp_eq_u32_e32 vcc_lo, 0x3ff, v0
	v_cmp_lt_u32_e64 s0, 63, v0
	v_xor_b32_e32 v1, 63, v1
	v_add3_u32 v3, 0, 0x20000, v2
	v_cmp_lt_u32_e64 s1, 0x7f, v0
	v_cmp_lt_u32_e64 s2, 0xbf, v0
	;; [unrolled: 1-line block ×3, first 2 shown]
	v_lshrrev_b64 v[1:2], v1, -1
	v_cmp_lt_u32_e64 s4, 0x13f, v0
	v_cmp_lt_u32_e64 s5, 0x17f, v0
	;; [unrolled: 1-line block ×11, first 2 shown]
	v_mov_b32_e32 v2, 0
	v_mov_b32_e32 v4, s31
	s_mov_b32 s16, 0
	s_add_i32 s17, 0, 0x20000
	s_add_i32 s18, 0, 0x20004
	s_add_i32 s19, 0, 0x20008
	s_add_i32 s20, 0, 0x2000c
	s_add_i32 s21, 0, 0x20010
	s_add_i32 s24, 0, 0x20014
	s_add_i32 s25, 0, 0x20018
	s_add_i32 s27, 0, 0x2001c
	s_add_i32 s28, 0, 0x20020
	s_add_i32 s29, 0, 0x20024
	s_add_i32 s30, 0, 0x20028
	s_add_i32 s37, 0, 0x2002c
	s_add_i32 s38, 0, 0x20030
	s_add_i32 s39, 0, 0x20034
	s_add_i32 s40, 0, 0x20038
	s_waitcnt lgkmcnt(0)
	s_barrier
	buffer_gl0_inv
	s_branch .LBB175_33
.LBB175_32:                             ;   in Loop: Header=BB175_33 Depth=1
	s_or_b32 exec_lo, exec_lo, s15
	s_waitcnt lgkmcnt(0)
	s_barrier
	buffer_gl0_inv
	ds_load_b32 v5, v4
	v_add_nc_u32_e32 v10, 0x400, v10
	v_add_nc_u32_e32 v9, 0x1000, v9
	s_delay_alu instid0(VALU_DEP_2) | instskip(NEXT) | instid1(VALU_DEP_1)
	v_cmp_lt_u32_e64 s15, 0x3bff, v10
	s_or_b32 s16, s15, s16
	s_waitcnt lgkmcnt(0)
	v_add_nc_u32_e32 v2, v5, v2
	s_and_not1_b32 exec_lo, exec_lo, s16
	s_cbranch_execz .LBB175_80
.LBB175_33:                             ; =>This Inner Loop Header: Depth=1
	ds_load_b32 v5, v9
	v_add_nc_u32_e32 v6, 0x10000, v9
	ds_load_b32 v6, v6
	s_waitcnt lgkmcnt(0)
	s_barrier
	buffer_gl0_inv
	v_cmp_gt_i32_e64 s15, s33, v5
	s_delay_alu instid0(VALU_DEP_1) | instskip(NEXT) | instid1(SALU_CYCLE_1)
	s_bcnt1_i32_b32 s41, s15
	v_dual_mov_b32 v8, s41 :: v_dual_and_b32 v7, s15, v1
	s_delay_alu instid0(VALU_DEP_1)
	v_bcnt_u32_b32 v7, v7, 0
	ds_store_b32 v3, v8
	s_waitcnt lgkmcnt(0)
	s_barrier
	buffer_gl0_inv
	s_and_saveexec_b32 s41, s0
	s_cbranch_execnz .LBB175_50
; %bb.34:                               ;   in Loop: Header=BB175_33 Depth=1
	s_or_b32 exec_lo, exec_lo, s41
	s_and_saveexec_b32 s41, s1
	s_cbranch_execnz .LBB175_51
.LBB175_35:                             ;   in Loop: Header=BB175_33 Depth=1
	s_or_b32 exec_lo, exec_lo, s41
	s_and_saveexec_b32 s41, s2
	s_cbranch_execnz .LBB175_52
.LBB175_36:                             ;   in Loop: Header=BB175_33 Depth=1
	s_or_b32 exec_lo, exec_lo, s41
	s_and_saveexec_b32 s41, s3
	s_cbranch_execnz .LBB175_53
.LBB175_37:                             ;   in Loop: Header=BB175_33 Depth=1
	s_or_b32 exec_lo, exec_lo, s41
	s_and_saveexec_b32 s41, s4
	s_cbranch_execnz .LBB175_54
.LBB175_38:                             ;   in Loop: Header=BB175_33 Depth=1
	s_or_b32 exec_lo, exec_lo, s41
	s_and_saveexec_b32 s41, s5
	s_cbranch_execnz .LBB175_55
.LBB175_39:                             ;   in Loop: Header=BB175_33 Depth=1
	s_or_b32 exec_lo, exec_lo, s41
	s_and_saveexec_b32 s41, s6
	s_cbranch_execnz .LBB175_56
.LBB175_40:                             ;   in Loop: Header=BB175_33 Depth=1
	s_or_b32 exec_lo, exec_lo, s41
	s_and_saveexec_b32 s41, s7
	s_cbranch_execnz .LBB175_57
.LBB175_41:                             ;   in Loop: Header=BB175_33 Depth=1
	s_or_b32 exec_lo, exec_lo, s41
	s_and_saveexec_b32 s41, s8
	s_cbranch_execnz .LBB175_58
.LBB175_42:                             ;   in Loop: Header=BB175_33 Depth=1
	s_or_b32 exec_lo, exec_lo, s41
	s_and_saveexec_b32 s41, s9
	s_cbranch_execnz .LBB175_59
.LBB175_43:                             ;   in Loop: Header=BB175_33 Depth=1
	s_or_b32 exec_lo, exec_lo, s41
	s_and_saveexec_b32 s41, s10
	s_cbranch_execnz .LBB175_60
.LBB175_44:                             ;   in Loop: Header=BB175_33 Depth=1
	s_or_b32 exec_lo, exec_lo, s41
	s_and_saveexec_b32 s41, s11
	s_cbranch_execnz .LBB175_61
.LBB175_45:                             ;   in Loop: Header=BB175_33 Depth=1
	s_or_b32 exec_lo, exec_lo, s41
	s_and_saveexec_b32 s41, s12
	s_cbranch_execnz .LBB175_62
.LBB175_46:                             ;   in Loop: Header=BB175_33 Depth=1
	s_or_b32 exec_lo, exec_lo, s41
	s_and_saveexec_b32 s41, s13
	s_cbranch_execnz .LBB175_63
.LBB175_47:                             ;   in Loop: Header=BB175_33 Depth=1
	s_or_b32 exec_lo, exec_lo, s41
	s_and_saveexec_b32 s41, s14
	s_cbranch_execnz .LBB175_64
.LBB175_48:                             ;   in Loop: Header=BB175_33 Depth=1
	s_or_b32 exec_lo, exec_lo, s41
	s_and_saveexec_b32 s41, s15
	s_cbranch_execnz .LBB175_65
.LBB175_49:                             ;   in Loop: Header=BB175_33 Depth=1
	s_or_b32 exec_lo, exec_lo, s41
	s_and_saveexec_b32 s15, vcc_lo
	s_cbranch_execz .LBB175_32
	s_branch .LBB175_66
.LBB175_50:                             ;   in Loop: Header=BB175_33 Depth=1
	v_mov_b32_e32 v8, s17
	ds_load_b32 v8, v8
	s_waitcnt lgkmcnt(0)
	v_add_nc_u32_e32 v7, v8, v7
	s_or_b32 exec_lo, exec_lo, s41
	s_and_saveexec_b32 s41, s1
	s_cbranch_execz .LBB175_35
.LBB175_51:                             ;   in Loop: Header=BB175_33 Depth=1
	v_mov_b32_e32 v8, s18
	ds_load_b32 v8, v8
	s_waitcnt lgkmcnt(0)
	v_add_nc_u32_e32 v7, v8, v7
	s_or_b32 exec_lo, exec_lo, s41
	s_and_saveexec_b32 s41, s2
	s_cbranch_execz .LBB175_36
.LBB175_52:                             ;   in Loop: Header=BB175_33 Depth=1
	v_mov_b32_e32 v8, s19
	ds_load_b32 v8, v8
	s_waitcnt lgkmcnt(0)
	v_add_nc_u32_e32 v7, v8, v7
	s_or_b32 exec_lo, exec_lo, s41
	s_and_saveexec_b32 s41, s3
	s_cbranch_execz .LBB175_37
.LBB175_53:                             ;   in Loop: Header=BB175_33 Depth=1
	v_mov_b32_e32 v8, s20
	ds_load_b32 v8, v8
	s_waitcnt lgkmcnt(0)
	v_add_nc_u32_e32 v7, v8, v7
	s_or_b32 exec_lo, exec_lo, s41
	s_and_saveexec_b32 s41, s4
	s_cbranch_execz .LBB175_38
.LBB175_54:                             ;   in Loop: Header=BB175_33 Depth=1
	v_mov_b32_e32 v8, s21
	ds_load_b32 v8, v8
	s_waitcnt lgkmcnt(0)
	v_add_nc_u32_e32 v7, v8, v7
	s_or_b32 exec_lo, exec_lo, s41
	s_and_saveexec_b32 s41, s5
	s_cbranch_execz .LBB175_39
.LBB175_55:                             ;   in Loop: Header=BB175_33 Depth=1
	v_mov_b32_e32 v8, s24
	ds_load_b32 v8, v8
	s_waitcnt lgkmcnt(0)
	v_add_nc_u32_e32 v7, v8, v7
	s_or_b32 exec_lo, exec_lo, s41
	s_and_saveexec_b32 s41, s6
	s_cbranch_execz .LBB175_40
.LBB175_56:                             ;   in Loop: Header=BB175_33 Depth=1
	v_mov_b32_e32 v8, s25
	ds_load_b32 v8, v8
	s_waitcnt lgkmcnt(0)
	v_add_nc_u32_e32 v7, v8, v7
	s_or_b32 exec_lo, exec_lo, s41
	s_and_saveexec_b32 s41, s7
	s_cbranch_execz .LBB175_41
.LBB175_57:                             ;   in Loop: Header=BB175_33 Depth=1
	v_mov_b32_e32 v8, s27
	ds_load_b32 v8, v8
	s_waitcnt lgkmcnt(0)
	v_add_nc_u32_e32 v7, v8, v7
	s_or_b32 exec_lo, exec_lo, s41
	s_and_saveexec_b32 s41, s8
	s_cbranch_execz .LBB175_42
.LBB175_58:                             ;   in Loop: Header=BB175_33 Depth=1
	v_mov_b32_e32 v8, s28
	ds_load_b32 v8, v8
	s_waitcnt lgkmcnt(0)
	v_add_nc_u32_e32 v7, v8, v7
	s_or_b32 exec_lo, exec_lo, s41
	s_and_saveexec_b32 s41, s9
	s_cbranch_execz .LBB175_43
.LBB175_59:                             ;   in Loop: Header=BB175_33 Depth=1
	v_mov_b32_e32 v8, s29
	ds_load_b32 v8, v8
	s_waitcnt lgkmcnt(0)
	v_add_nc_u32_e32 v7, v8, v7
	s_or_b32 exec_lo, exec_lo, s41
	s_and_saveexec_b32 s41, s10
	s_cbranch_execz .LBB175_44
.LBB175_60:                             ;   in Loop: Header=BB175_33 Depth=1
	v_mov_b32_e32 v8, s30
	ds_load_b32 v8, v8
	s_waitcnt lgkmcnt(0)
	v_add_nc_u32_e32 v7, v8, v7
	s_or_b32 exec_lo, exec_lo, s41
	s_and_saveexec_b32 s41, s11
	s_cbranch_execz .LBB175_45
.LBB175_61:                             ;   in Loop: Header=BB175_33 Depth=1
	v_mov_b32_e32 v8, s37
	ds_load_b32 v8, v8
	s_waitcnt lgkmcnt(0)
	v_add_nc_u32_e32 v7, v8, v7
	s_or_b32 exec_lo, exec_lo, s41
	s_and_saveexec_b32 s41, s12
	s_cbranch_execz .LBB175_46
.LBB175_62:                             ;   in Loop: Header=BB175_33 Depth=1
	v_mov_b32_e32 v8, s38
	ds_load_b32 v8, v8
	s_waitcnt lgkmcnt(0)
	v_add_nc_u32_e32 v7, v8, v7
	s_or_b32 exec_lo, exec_lo, s41
	s_and_saveexec_b32 s41, s13
	s_cbranch_execz .LBB175_47
.LBB175_63:                             ;   in Loop: Header=BB175_33 Depth=1
	v_mov_b32_e32 v8, s39
	ds_load_b32 v8, v8
	s_waitcnt lgkmcnt(0)
	v_add_nc_u32_e32 v7, v8, v7
	s_or_b32 exec_lo, exec_lo, s41
	s_and_saveexec_b32 s41, s14
	s_cbranch_execz .LBB175_48
.LBB175_64:                             ;   in Loop: Header=BB175_33 Depth=1
	v_mov_b32_e32 v8, s40
	ds_load_b32 v8, v8
	s_waitcnt lgkmcnt(0)
	v_add_nc_u32_e32 v7, v8, v7
	s_or_b32 exec_lo, exec_lo, s41
	s_and_saveexec_b32 s41, s15
	s_cbranch_execz .LBB175_49
.LBB175_65:                             ;   in Loop: Header=BB175_33 Depth=1
	s_delay_alu instid0(VALU_DEP_1) | instskip(NEXT) | instid1(VALU_DEP_1)
	v_add3_u32 v8, v2, -1, v7
	v_lshl_add_u32 v8, v8, 2, 0
	s_delay_alu instid0(VALU_DEP_1)
	v_add_nc_u32_e32 v11, 0x10000, v8
	ds_store_b32 v8, v5
	ds_store_b32 v11, v6
	s_or_b32 exec_lo, exec_lo, s41
	s_and_saveexec_b32 s15, vcc_lo
	s_cbranch_execz .LBB175_32
.LBB175_66:                             ;   in Loop: Header=BB175_33 Depth=1
	v_mov_b32_e32 v5, s31
	ds_store_b32 v5, v7
	s_branch .LBB175_32
.LBB175_67:                             ;   in Loop: Header=BB175_68 Depth=1
	s_or_b32 exec_lo, exec_lo, s4
	v_add_co_u32 v1, vcc_lo, 0x400, v1
	v_add_co_ci_u32_e32 v2, vcc_lo, 0, v2, vcc_lo
	s_delay_alu instid0(VALU_DEP_1) | instskip(SKIP_1) | instid1(SALU_CYCLE_1)
	v_cmp_le_i64_e32 vcc_lo, s[0:1], v[1:2]
	s_or_b32 s3, vcc_lo, s3
	s_and_not1_b32 exec_lo, exec_lo, s3
	s_cbranch_execz .LBB175_30
.LBB175_68:                             ; =>This Loop Header: Depth=1
                                        ;     Child Loop BB175_70 Depth 2
	v_lshlrev_b64 v[3:4], 2, v[1:2]
	s_mov_b32 s4, 0
	s_delay_alu instid0(VALU_DEP_1) | instskip(NEXT) | instid1(VALU_DEP_2)
	v_add_co_u32 v5, vcc_lo, s18, v3
	v_add_co_ci_u32_e32 v6, vcc_lo, s19, v4, vcc_lo
	v_add_co_u32 v3, vcc_lo, s20, v3
	v_add_co_ci_u32_e32 v4, vcc_lo, s21, v4, vcc_lo
	global_load_b32 v5, v[5:6], off
	global_load_b32 v4, v[3:4], off
	s_waitcnt vmcnt(1)
	v_subrev_nc_u32_e32 v3, s27, v5
	s_delay_alu instid0(VALU_DEP_1) | instskip(SKIP_1) | instid1(VALU_DEP_1)
	v_mul_lo_u32 v5, 0x89, v3
	s_waitcnt vmcnt(0)
	v_dual_mul_f32 v4, v11, v4 :: v_dual_and_b32 v5, 0x3fff, v5
	s_branch .LBB175_70
.LBB175_69:                             ;   in Loop: Header=BB175_70 Depth=2
	s_or_b32 exec_lo, exec_lo, s5
	s_xor_b32 s5, s6, -1
	s_delay_alu instid0(SALU_CYCLE_1) | instskip(NEXT) | instid1(SALU_CYCLE_1)
	s_and_b32 s5, exec_lo, s5
	s_or_b32 s4, s5, s4
	s_delay_alu instid0(SALU_CYCLE_1)
	s_and_not1_b32 exec_lo, exec_lo, s4
	s_cbranch_execz .LBB175_67
.LBB175_70:                             ;   Parent Loop BB175_68 Depth=1
                                        ; =>  This Inner Loop Header: Depth=2
	s_delay_alu instid0(VALU_DEP_1)
	v_lshl_add_u32 v6, v5, 2, 0
	s_mov_b32 s5, exec_lo
                                        ; implicit-def: $sgpr6
	ds_load_b32 v7, v6
	s_waitcnt lgkmcnt(0)
	v_cmpx_ne_u32_e64 v7, v3
	s_xor_b32 s5, exec_lo, s5
	s_cbranch_execz .LBB175_78
; %bb.71:                               ;   in Loop: Header=BB175_70 Depth=2
	s_mov_b32 s7, exec_lo
                                        ; implicit-def: $sgpr6
	v_cmpx_ne_u32_e64 s33, v7
	s_xor_b32 s7, exec_lo, s7
; %bb.72:                               ;   in Loop: Header=BB175_70 Depth=2
	v_add_nc_u32_e32 v5, 1, v5
	s_mov_b32 s6, -1
                                        ; implicit-def: $vgpr6
	s_delay_alu instid0(VALU_DEP_1)
	v_and_b32_e32 v5, 0x3fff, v5
; %bb.73:                               ;   in Loop: Header=BB175_70 Depth=2
	s_and_not1_saveexec_b32 s7, s7
	s_cbranch_execz .LBB175_77
; %bb.74:                               ;   in Loop: Header=BB175_70 Depth=2
	v_mov_b32_e32 v7, s33
	s_mov_b32 s8, -1
	s_mov_b32 s9, exec_lo
	ds_cmpstore_rtn_b32 v6, v6, v3, v7
	s_waitcnt lgkmcnt(0)
	v_cmpx_eq_u32_e64 s33, v6
	s_cbranch_execz .LBB175_76
; %bb.75:                               ;   in Loop: Header=BB175_70 Depth=2
	v_lshlrev_b32_e32 v6, 2, v5
	s_xor_b32 s8, exec_lo, -1
	s_delay_alu instid0(VALU_DEP_1)
	v_add3_u32 v6, 0, v6, 0x10000
	ds_add_f32 v6, v4
.LBB175_76:                             ;   in Loop: Header=BB175_70 Depth=2
	s_or_b32 exec_lo, exec_lo, s9
	s_delay_alu instid0(SALU_CYCLE_1) | instskip(SKIP_1) | instid1(SALU_CYCLE_1)
	s_and_not1_b32 s6, s6, exec_lo
	s_and_b32 s8, s8, exec_lo
	s_or_b32 s6, s6, s8
.LBB175_77:                             ;   in Loop: Header=BB175_70 Depth=2
	s_or_b32 exec_lo, exec_lo, s7
	s_delay_alu instid0(SALU_CYCLE_1)
	s_and_b32 s6, s6, exec_lo
.LBB175_78:                             ;   in Loop: Header=BB175_70 Depth=2
	s_and_not1_saveexec_b32 s5, s5
	s_cbranch_execz .LBB175_69
; %bb.79:                               ;   in Loop: Header=BB175_70 Depth=2
	v_lshlrev_b32_e32 v6, 2, v5
	s_and_not1_b32 s6, s6, exec_lo
	s_delay_alu instid0(VALU_DEP_1)
	v_add3_u32 v6, 0, v6, 0x10000
	ds_add_f32 v6, v4
	s_branch .LBB175_69
.LBB175_80:
	s_or_b32 exec_lo, exec_lo, s16
	s_ashr_i32 s37, s36, 31
	s_mov_b32 s4, exec_lo
	s_lshl_b64 s[0:1], s[36:37], 3
	s_delay_alu instid0(SALU_CYCLE_1) | instskip(SKIP_4) | instid1(SALU_CYCLE_1)
	s_add_u32 s0, s22, s0
	s_addc_u32 s1, s23, s1
	s_load_b128 s[0:3], s[0:1], 0x0
	s_waitcnt lgkmcnt(0)
	s_sub_i32 s3, s2, s0
	v_cmpx_gt_i32_e64 s3, v0
	s_cbranch_execz .LBB175_90
; %bb.81:
	s_sub_u32 s4, s0, s26
	s_subb_u32 s5, s1, 0
	s_sub_i32 s0, s0, s2
	s_and_b32 s1, s3, 7
	s_cmp_lt_u32 s0, -7
	s_mov_b32 s8, 0
	s_cselect_b32 s2, -1, 0
	s_and_b32 s6, s3, -8
	s_cmp_lg_u32 s1, 0
	s_cselect_b32 s7, -1, 0
	s_branch .LBB175_83
.LBB175_82:                             ;   in Loop: Header=BB175_83 Depth=1
	s_delay_alu instid0(VALU_DEP_1) | instskip(SKIP_1) | instid1(VALU_DEP_1)
	v_lshlrev_b64 v[1:2], 2, v[1:2]
	v_add_nc_u32_e32 v0, 0x400, v0
	v_cmp_le_i32_e32 vcc_lo, s3, v0
	s_delay_alu instid0(VALU_DEP_3) | instskip(NEXT) | instid1(VALU_DEP_1)
	v_add_co_u32 v1, s0, s34, v1
	v_add_co_ci_u32_e64 v2, s0, s35, v2, s0
	s_or_b32 s8, vcc_lo, s8
	s_waitcnt lgkmcnt(0)
	global_store_b32 v[1:2], v3, off
	s_and_not1_b32 exec_lo, exec_lo, s8
	s_cbranch_execz .LBB175_90
.LBB175_83:                             ; =>This Loop Header: Depth=1
                                        ;     Child Loop BB175_85 Depth 2
                                        ;     Child Loop BB175_89 Depth 2
	v_lshl_add_u32 v1, v0, 2, 0
	s_and_not1_b32 vcc_lo, exec_lo, s2
	s_mov_b32 s0, 0
	s_delay_alu instid0(VALU_DEP_1)
	v_add_nc_u32_e32 v2, 0x10000, v1
	ds_load_b32 v4, v1
	ds_load_b32 v3, v2
	v_dual_mov_b32 v1, s4 :: v_dual_mov_b32 v2, s5
	s_cbranch_vccnz .LBB175_87
; %bb.84:                               ;   in Loop: Header=BB175_83 Depth=1
	v_dual_mov_b32 v1, s4 :: v_dual_mov_b32 v2, s5
	s_mov_b32 s9, 0
	s_mov_b32 s10, 0
.LBB175_85:                             ;   Parent Loop BB175_83 Depth=1
                                        ; =>  This Inner Loop Header: Depth=2
	s_delay_alu instid0(SALU_CYCLE_1)
	v_mov_b32_e32 v11, s10
	s_add_i32 s9, s9, 8
	s_add_i32 s10, s10, 32
	s_cmp_eq_u32 s6, s9
	ds_load_2addr_b32 v[5:6], v11 offset1:1
	ds_load_2addr_b32 v[7:8], v11 offset0:2 offset1:3
	ds_load_2addr_b32 v[9:10], v11 offset0:4 offset1:5
	;; [unrolled: 1-line block ×3, first 2 shown]
	s_waitcnt lgkmcnt(3)
	v_cmp_gt_i32_e32 vcc_lo, v4, v5
	v_cndmask_b32_e64 v5, 0, 1, vcc_lo
	v_cmp_gt_i32_e32 vcc_lo, v4, v6
	v_cndmask_b32_e64 v6, 0, 1, vcc_lo
	s_waitcnt lgkmcnt(2)
	v_cmp_gt_i32_e32 vcc_lo, v4, v7
	v_cndmask_b32_e64 v7, 0, 1, vcc_lo
	v_cmp_gt_i32_e32 vcc_lo, v4, v8
	v_cndmask_b32_e64 v8, 0, 1, vcc_lo
	s_waitcnt lgkmcnt(1)
	v_cmp_gt_i32_e32 vcc_lo, v4, v9
	v_cndmask_b32_e64 v9, 0, 1, vcc_lo
	v_add_co_u32 v1, vcc_lo, v1, v5
	v_add_co_ci_u32_e32 v2, vcc_lo, 0, v2, vcc_lo
	v_cmp_gt_i32_e32 vcc_lo, v4, v10
	s_delay_alu instid0(VALU_DEP_3) | instskip(NEXT) | instid1(VALU_DEP_1)
	v_add_co_u32 v1, s0, v1, v6
	v_add_co_ci_u32_e64 v2, s0, 0, v2, s0
	v_cndmask_b32_e64 v5, 0, 1, vcc_lo
	s_delay_alu instid0(VALU_DEP_3) | instskip(NEXT) | instid1(VALU_DEP_3)
	v_add_co_u32 v1, vcc_lo, v1, v7
	v_add_co_ci_u32_e32 v2, vcc_lo, 0, v2, vcc_lo
	s_waitcnt lgkmcnt(0)
	v_cmp_gt_i32_e32 vcc_lo, v4, v11
	s_delay_alu instid0(VALU_DEP_3) | instskip(NEXT) | instid1(VALU_DEP_1)
	v_add_co_u32 v1, s0, v1, v8
	v_add_co_ci_u32_e64 v2, s0, 0, v2, s0
	v_cndmask_b32_e64 v6, 0, 1, vcc_lo
	s_delay_alu instid0(VALU_DEP_3) | instskip(NEXT) | instid1(VALU_DEP_3)
	v_add_co_u32 v1, vcc_lo, v1, v9
	v_add_co_ci_u32_e32 v2, vcc_lo, 0, v2, vcc_lo
	v_cmp_gt_i32_e32 vcc_lo, v4, v12
	s_delay_alu instid0(VALU_DEP_3) | instskip(NEXT) | instid1(VALU_DEP_1)
	v_add_co_u32 v1, s0, v1, v5
	v_add_co_ci_u32_e64 v2, s0, 0, v2, s0
	v_cndmask_b32_e64 v5, 0, 1, vcc_lo
	s_delay_alu instid0(VALU_DEP_3) | instskip(NEXT) | instid1(VALU_DEP_3)
	v_add_co_u32 v1, vcc_lo, v1, v6
	v_add_co_ci_u32_e32 v2, vcc_lo, 0, v2, vcc_lo
	s_delay_alu instid0(VALU_DEP_2) | instskip(NEXT) | instid1(VALU_DEP_2)
	v_add_co_u32 v1, vcc_lo, v1, v5
	v_add_co_ci_u32_e32 v2, vcc_lo, 0, v2, vcc_lo
	s_cbranch_scc0 .LBB175_85
; %bb.86:                               ;   in Loop: Header=BB175_83 Depth=1
	s_mov_b32 s0, s6
.LBB175_87:                             ;   in Loop: Header=BB175_83 Depth=1
	s_and_not1_b32 vcc_lo, exec_lo, s7
	s_cbranch_vccnz .LBB175_82
; %bb.88:                               ;   in Loop: Header=BB175_83 Depth=1
	s_lshl_b32 s0, s0, 2
	s_mov_b32 s9, s1
	s_add_i32 s0, s0, 0
.LBB175_89:                             ;   Parent Loop BB175_83 Depth=1
                                        ; =>  This Inner Loop Header: Depth=2
	s_delay_alu instid0(SALU_CYCLE_1)
	v_mov_b32_e32 v5, s0
	s_add_i32 s9, s9, -1
	s_add_i32 s0, s0, 4
	s_cmp_lg_u32 s9, 0
	ds_load_b32 v5, v5
	s_waitcnt lgkmcnt(0)
	v_cmp_gt_i32_e32 vcc_lo, v4, v5
	v_cndmask_b32_e64 v5, 0, 1, vcc_lo
	s_delay_alu instid0(VALU_DEP_1)
	v_add_co_u32 v1, vcc_lo, v1, v5
	v_add_co_ci_u32_e32 v2, vcc_lo, 0, v2, vcc_lo
	s_cbranch_scc1 .LBB175_89
	s_branch .LBB175_82
.LBB175_90:
	s_nop 0
	s_sendmsg sendmsg(MSG_DEALLOC_VGPRS)
	s_endpgm
	.section	.rodata,"a",@progbits
	.p2align	6, 0x0
	.amdhsa_kernel _ZN9rocsparseL41csrgemm_numeric_fill_block_per_row_kernelILj1024ELj64ELj16384ELj137ELj64ElifEEvT5_PKS1_S3_NS_24const_host_device_scalarIT6_EEPKT4_S3_PKS5_S9_S3_SB_S6_S9_S3_SB_S9_S3_PS5_21rocsparse_index_base_SD_SD_SD_bbb
		.amdhsa_group_segment_fixed_size 0
		.amdhsa_private_segment_fixed_size 0
		.amdhsa_kernarg_size 156
		.amdhsa_user_sgpr_count 15
		.amdhsa_user_sgpr_dispatch_ptr 0
		.amdhsa_user_sgpr_queue_ptr 0
		.amdhsa_user_sgpr_kernarg_segment_ptr 1
		.amdhsa_user_sgpr_dispatch_id 0
		.amdhsa_user_sgpr_private_segment_size 0
		.amdhsa_wavefront_size32 1
		.amdhsa_uses_dynamic_stack 0
		.amdhsa_enable_private_segment 0
		.amdhsa_system_sgpr_workgroup_id_x 1
		.amdhsa_system_sgpr_workgroup_id_y 0
		.amdhsa_system_sgpr_workgroup_id_z 0
		.amdhsa_system_sgpr_workgroup_info 0
		.amdhsa_system_vgpr_workitem_id 0
		.amdhsa_next_free_vgpr 20
		.amdhsa_next_free_sgpr 42
		.amdhsa_reserve_vcc 1
		.amdhsa_float_round_mode_32 0
		.amdhsa_float_round_mode_16_64 0
		.amdhsa_float_denorm_mode_32 3
		.amdhsa_float_denorm_mode_16_64 3
		.amdhsa_dx10_clamp 1
		.amdhsa_ieee_mode 1
		.amdhsa_fp16_overflow 0
		.amdhsa_workgroup_processor_mode 1
		.amdhsa_memory_ordered 1
		.amdhsa_forward_progress 0
		.amdhsa_shared_vgpr_count 0
		.amdhsa_exception_fp_ieee_invalid_op 0
		.amdhsa_exception_fp_denorm_src 0
		.amdhsa_exception_fp_ieee_div_zero 0
		.amdhsa_exception_fp_ieee_overflow 0
		.amdhsa_exception_fp_ieee_underflow 0
		.amdhsa_exception_fp_ieee_inexact 0
		.amdhsa_exception_int_div_zero 0
	.end_amdhsa_kernel
	.section	.text._ZN9rocsparseL41csrgemm_numeric_fill_block_per_row_kernelILj1024ELj64ELj16384ELj137ELj64ElifEEvT5_PKS1_S3_NS_24const_host_device_scalarIT6_EEPKT4_S3_PKS5_S9_S3_SB_S6_S9_S3_SB_S9_S3_PS5_21rocsparse_index_base_SD_SD_SD_bbb,"axG",@progbits,_ZN9rocsparseL41csrgemm_numeric_fill_block_per_row_kernelILj1024ELj64ELj16384ELj137ELj64ElifEEvT5_PKS1_S3_NS_24const_host_device_scalarIT6_EEPKT4_S3_PKS5_S9_S3_SB_S6_S9_S3_SB_S9_S3_PS5_21rocsparse_index_base_SD_SD_SD_bbb,comdat
.Lfunc_end175:
	.size	_ZN9rocsparseL41csrgemm_numeric_fill_block_per_row_kernelILj1024ELj64ELj16384ELj137ELj64ElifEEvT5_PKS1_S3_NS_24const_host_device_scalarIT6_EEPKT4_S3_PKS5_S9_S3_SB_S6_S9_S3_SB_S9_S3_PS5_21rocsparse_index_base_SD_SD_SD_bbb, .Lfunc_end175-_ZN9rocsparseL41csrgemm_numeric_fill_block_per_row_kernelILj1024ELj64ELj16384ELj137ELj64ElifEEvT5_PKS1_S3_NS_24const_host_device_scalarIT6_EEPKT4_S3_PKS5_S9_S3_SB_S6_S9_S3_SB_S9_S3_PS5_21rocsparse_index_base_SD_SD_SD_bbb
                                        ; -- End function
	.section	.AMDGPU.csdata,"",@progbits
; Kernel info:
; codeLenInByte = 3616
; NumSgprs: 44
; NumVgprs: 20
; ScratchSize: 0
; MemoryBound: 0
; FloatMode: 240
; IeeeMode: 1
; LDSByteSize: 0 bytes/workgroup (compile time only)
; SGPRBlocks: 5
; VGPRBlocks: 2
; NumSGPRsForWavesPerEU: 44
; NumVGPRsForWavesPerEU: 20
; Occupancy: 16
; WaveLimiterHint : 1
; COMPUTE_PGM_RSRC2:SCRATCH_EN: 0
; COMPUTE_PGM_RSRC2:USER_SGPR: 15
; COMPUTE_PGM_RSRC2:TRAP_HANDLER: 0
; COMPUTE_PGM_RSRC2:TGID_X_EN: 1
; COMPUTE_PGM_RSRC2:TGID_Y_EN: 0
; COMPUTE_PGM_RSRC2:TGID_Z_EN: 0
; COMPUTE_PGM_RSRC2:TIDIG_COMP_CNT: 0
	.section	.text._ZN9rocsparseL41csrgemm_numeric_fill_block_per_row_kernelILj1024ELj64ELj32768ELj137ELj32ElifEEvT5_PKS1_S3_NS_24const_host_device_scalarIT6_EEPKT4_S3_PKS5_S9_S3_SB_S6_S9_S3_SB_S9_S3_PS5_21rocsparse_index_base_SD_SD_SD_bbb,"axG",@progbits,_ZN9rocsparseL41csrgemm_numeric_fill_block_per_row_kernelILj1024ELj64ELj32768ELj137ELj32ElifEEvT5_PKS1_S3_NS_24const_host_device_scalarIT6_EEPKT4_S3_PKS5_S9_S3_SB_S6_S9_S3_SB_S9_S3_PS5_21rocsparse_index_base_SD_SD_SD_bbb,comdat
	.globl	_ZN9rocsparseL41csrgemm_numeric_fill_block_per_row_kernelILj1024ELj64ELj32768ELj137ELj32ElifEEvT5_PKS1_S3_NS_24const_host_device_scalarIT6_EEPKT4_S3_PKS5_S9_S3_SB_S6_S9_S3_SB_S9_S3_PS5_21rocsparse_index_base_SD_SD_SD_bbb ; -- Begin function _ZN9rocsparseL41csrgemm_numeric_fill_block_per_row_kernelILj1024ELj64ELj32768ELj137ELj32ElifEEvT5_PKS1_S3_NS_24const_host_device_scalarIT6_EEPKT4_S3_PKS5_S9_S3_SB_S6_S9_S3_SB_S9_S3_PS5_21rocsparse_index_base_SD_SD_SD_bbb
	.p2align	8
	.type	_ZN9rocsparseL41csrgemm_numeric_fill_block_per_row_kernelILj1024ELj64ELj32768ELj137ELj32ElifEEvT5_PKS1_S3_NS_24const_host_device_scalarIT6_EEPKT4_S3_PKS5_S9_S3_SB_S6_S9_S3_SB_S9_S3_PS5_21rocsparse_index_base_SD_SD_SD_bbb,@function
_ZN9rocsparseL41csrgemm_numeric_fill_block_per_row_kernelILj1024ELj64ELj32768ELj137ELj32ElifEEvT5_PKS1_S3_NS_24const_host_device_scalarIT6_EEPKT4_S3_PKS5_S9_S3_SB_S6_S9_S3_SB_S9_S3_PS5_21rocsparse_index_base_SD_SD_SD_bbb: ; @_ZN9rocsparseL41csrgemm_numeric_fill_block_per_row_kernelILj1024ELj64ELj32768ELj137ELj32ElifEEvT5_PKS1_S3_NS_24const_host_device_scalarIT6_EEPKT4_S3_PKS5_S9_S3_SB_S6_S9_S3_SB_S9_S3_PS5_21rocsparse_index_base_SD_SD_SD_bbb
; %bb.0:
	s_clause 0x3
	s_load_b32 s12, s[0:1], 0x98
	s_load_b128 s[44:47], s[0:1], 0x88
	s_load_b64 s[4:5], s[0:1], 0x18
	s_load_b64 s[2:3], s[0:1], 0x50
	s_waitcnt lgkmcnt(0)
	s_bitcmp1_b32 s12, 0
	s_cselect_b32 s13, -1, 0
	s_bitcmp1_b32 s12, 16
	s_cselect_b32 s14, -1, 0
	s_xor_b32 s6, s13, -1
	s_delay_alu instid0(SALU_CYCLE_1) | instskip(NEXT) | instid1(SALU_CYCLE_1)
	s_or_b32 s6, s6, s14
	s_and_b32 vcc_lo, exec_lo, s6
	s_cbranch_vccnz .LBB176_2
; %bb.1:
	s_load_b32 s4, s[4:5], 0x0
	s_waitcnt lgkmcnt(0)
	v_mov_b32_e32 v12, s4
	s_branch .LBB176_3
.LBB176_2:
	v_cndmask_b32_e64 v12, 0, s4, s13
.LBB176_3:
	s_clause 0x4
	s_load_b64 s[34:35], s[0:1], 0x80
	s_load_b256 s[36:43], s[0:1], 0x58
	s_load_b128 s[16:19], s[0:1], 0x40
	s_load_b128 s[20:23], s[0:1], 0x8
	s_load_b256 s[4:11], s[0:1], 0x20
	s_bitcmp1_b32 s12, 8
	s_cselect_b32 s12, -1, 0
	s_delay_alu instid0(SALU_CYCLE_1) | instskip(NEXT) | instid1(SALU_CYCLE_1)
	s_xor_b32 s24, s12, -1
	s_or_b32 s14, s24, s14
	s_delay_alu instid0(SALU_CYCLE_1)
	s_and_b32 vcc_lo, exec_lo, s14
	s_cbranch_vccnz .LBB176_5
; %bb.4:
	s_load_b32 s2, s[2:3], 0x0
	s_waitcnt lgkmcnt(0)
	v_mov_b32_e32 v11, s2
	s_branch .LBB176_6
.LBB176_5:
	v_cndmask_b32_e64 v11, 0, s2, s12
.LBB176_6:
	s_load_b32 s33, s[0:1], 0x0
	v_lshl_add_u32 v9, v0, 2, 0
	v_or_b32_e32 v10, 0xfffffc00, v0
	v_mov_b32_e32 v1, 0
	s_mov_b32 s0, 0
	s_delay_alu instid0(VALU_DEP_3)
	v_mov_b32_e32 v2, v9
	s_waitcnt lgkmcnt(0)
	v_dual_mov_b32 v4, v10 :: v_dual_mov_b32 v3, s33
.LBB176_7:                              ; =>This Inner Loop Header: Depth=1
	s_delay_alu instid0(VALU_DEP_1) | instskip(NEXT) | instid1(VALU_DEP_3)
	v_add_nc_u32_e32 v4, 0x400, v4
	v_add_nc_u32_e32 v5, 0x20000, v2
	ds_store_b32 v2, v3
	v_add_nc_u32_e32 v2, 0x1000, v2
	v_cmp_lt_u32_e32 vcc_lo, 0x7bff, v4
	ds_store_b32 v5, v1
	s_or_b32 s0, vcc_lo, s0
	s_delay_alu instid0(SALU_CYCLE_1)
	s_and_not1_b32 exec_lo, exec_lo, s0
	s_cbranch_execnz .LBB176_7
; %bb.8:
	s_or_b32 exec_lo, exec_lo, s0
	s_waitcnt lgkmcnt(0)
	s_barrier
	buffer_gl0_inv
	s_load_b32 s0, s[20:21], 0x0
	s_mov_b32 s1, 0
	s_waitcnt lgkmcnt(0)
	s_add_i32 s0, s0, s15
	s_delay_alu instid0(SALU_CYCLE_1) | instskip(NEXT) | instid1(SALU_CYCLE_1)
	s_lshl_b64 s[0:1], s[0:1], 2
	s_add_u32 s0, s22, s0
	s_addc_u32 s1, s23, s1
	s_and_b32 vcc_lo, exec_lo, s13
	s_load_b32 s48, s[0:1], 0x0
	s_cbranch_vccz .LBB176_28
; %bb.9:
	s_waitcnt lgkmcnt(0)
	s_ashr_i32 s49, s48, 31
	v_lshrrev_b32_e32 v1, 6, v0
	s_lshl_b64 s[0:1], s[48:49], 3
	s_delay_alu instid0(SALU_CYCLE_1) | instskip(SKIP_1) | instid1(VALU_DEP_1)
	s_add_u32 s0, s4, s0
	s_addc_u32 s1, s5, s1
	v_sub_co_u32 v1, s4, v1, s44
	s_load_b128 s[0:3], s[0:1], 0x0
	v_sub_co_ci_u32_e64 v2, null, 0, 0, s4
	s_waitcnt lgkmcnt(0)
	s_delay_alu instid0(VALU_DEP_2) | instskip(NEXT) | instid1(VALU_DEP_2)
	v_add_co_u32 v1, vcc_lo, s0, v1
	v_add_co_ci_u32_e32 v2, vcc_lo, s1, v2, vcc_lo
	s_sub_u32 s0, s2, s44
	s_subb_u32 s1, s3, 0
	s_mov_b32 s2, exec_lo
	s_delay_alu instid0(VALU_DEP_1)
	v_cmpx_gt_i64_e64 s[0:1], v[1:2]
	s_cbranch_execz .LBB176_27
; %bb.10:
	v_and_b32_e32 v3, 63, v0
	s_mov_b32 s4, s45
	s_delay_alu instid0(VALU_DEP_1) | instskip(NEXT) | instid1(VALU_DEP_1)
	v_sub_co_u32 v13, s3, v3, s45
	v_sub_co_ci_u32_e64 v14, null, 0, 0, s3
	s_mov_b32 s3, 0
	s_branch .LBB176_12
.LBB176_11:                             ;   in Loop: Header=BB176_12 Depth=1
	s_or_b32 exec_lo, exec_lo, s5
	v_add_co_u32 v1, vcc_lo, v1, 16
	v_add_co_ci_u32_e32 v2, vcc_lo, 0, v2, vcc_lo
	s_delay_alu instid0(VALU_DEP_1) | instskip(SKIP_1) | instid1(SALU_CYCLE_1)
	v_cmp_le_i64_e32 vcc_lo, s[0:1], v[1:2]
	s_or_b32 s3, vcc_lo, s3
	s_and_not1_b32 exec_lo, exec_lo, s3
	s_cbranch_execz .LBB176_27
.LBB176_12:                             ; =>This Loop Header: Depth=1
                                        ;     Child Loop BB176_15 Depth 2
                                        ;       Child Loop BB176_17 Depth 3
	v_lshlrev_b64 v[7:8], 2, v[1:2]
	s_mov_b32 s5, exec_lo
	s_delay_alu instid0(VALU_DEP_1) | instskip(NEXT) | instid1(VALU_DEP_2)
	v_add_co_u32 v3, vcc_lo, s6, v7
	v_add_co_ci_u32_e32 v4, vcc_lo, s7, v8, vcc_lo
	global_load_b32 v3, v[3:4], off
	s_waitcnt vmcnt(0)
	v_subrev_nc_u32_e32 v3, s44, v3
	s_delay_alu instid0(VALU_DEP_1) | instskip(NEXT) | instid1(VALU_DEP_1)
	v_ashrrev_i32_e32 v4, 31, v3
	v_lshlrev_b64 v[3:4], 3, v[3:4]
	s_delay_alu instid0(VALU_DEP_1) | instskip(NEXT) | instid1(VALU_DEP_2)
	v_add_co_u32 v3, vcc_lo, s10, v3
	v_add_co_ci_u32_e32 v4, vcc_lo, s11, v4, vcc_lo
	global_load_b128 v[15:18], v[3:4], off
	s_waitcnt vmcnt(0)
	v_sub_co_u32 v3, vcc_lo, v17, s4
	v_subrev_co_ci_u32_e32 v4, vcc_lo, 0, v18, vcc_lo
	v_add_co_u32 v5, vcc_lo, v15, v13
	v_add_co_ci_u32_e32 v6, vcc_lo, v16, v14, vcc_lo
	s_delay_alu instid0(VALU_DEP_1)
	v_cmpx_lt_i64_e64 v[5:6], v[3:4]
	s_cbranch_execz .LBB176_11
; %bb.13:                               ;   in Loop: Header=BB176_12 Depth=1
	v_add_co_u32 v7, vcc_lo, s8, v7
	v_add_co_ci_u32_e32 v8, vcc_lo, s9, v8, vcc_lo
	s_mov_b32 s13, 0
	global_load_b32 v7, v[7:8], off
	s_waitcnt vmcnt(0)
	v_mul_f32_e32 v7, v12, v7
	s_branch .LBB176_15
.LBB176_14:                             ;   in Loop: Header=BB176_15 Depth=2
	s_or_b32 exec_lo, exec_lo, s14
	v_add_co_u32 v5, vcc_lo, v5, 64
	v_add_co_ci_u32_e32 v6, vcc_lo, 0, v6, vcc_lo
	s_delay_alu instid0(VALU_DEP_1) | instskip(SKIP_1) | instid1(SALU_CYCLE_1)
	v_cmp_ge_i64_e32 vcc_lo, v[5:6], v[3:4]
	s_or_b32 s13, vcc_lo, s13
	s_and_not1_b32 exec_lo, exec_lo, s13
	s_cbranch_execz .LBB176_11
.LBB176_15:                             ;   Parent Loop BB176_12 Depth=1
                                        ; =>  This Loop Header: Depth=2
                                        ;       Child Loop BB176_17 Depth 3
	v_lshlrev_b64 v[15:16], 2, v[5:6]
	s_mov_b32 s14, 0
	s_delay_alu instid0(VALU_DEP_1) | instskip(NEXT) | instid1(VALU_DEP_2)
	v_add_co_u32 v17, vcc_lo, s16, v15
	v_add_co_ci_u32_e32 v18, vcc_lo, s17, v16, vcc_lo
	v_add_co_u32 v15, vcc_lo, s18, v15
	v_add_co_ci_u32_e32 v16, vcc_lo, s19, v16, vcc_lo
	global_load_b32 v8, v[17:18], off
	global_load_b32 v15, v[15:16], off
	s_waitcnt vmcnt(1)
	v_subrev_nc_u32_e32 v8, s45, v8
	s_delay_alu instid0(VALU_DEP_1) | instskip(SKIP_1) | instid1(VALU_DEP_1)
	v_mul_lo_u32 v16, 0x89, v8
	s_waitcnt vmcnt(0)
	v_dual_mul_f32 v15, v7, v15 :: v_dual_and_b32 v16, 0x7fff, v16
	s_branch .LBB176_17
.LBB176_16:                             ;   in Loop: Header=BB176_17 Depth=3
	s_or_b32 exec_lo, exec_lo, s15
	s_xor_b32 s15, s20, -1
	s_delay_alu instid0(SALU_CYCLE_1) | instskip(NEXT) | instid1(SALU_CYCLE_1)
	s_and_b32 s15, exec_lo, s15
	s_or_b32 s14, s15, s14
	s_delay_alu instid0(SALU_CYCLE_1)
	s_and_not1_b32 exec_lo, exec_lo, s14
	s_cbranch_execz .LBB176_14
.LBB176_17:                             ;   Parent Loop BB176_12 Depth=1
                                        ;     Parent Loop BB176_15 Depth=2
                                        ; =>    This Inner Loop Header: Depth=3
	s_delay_alu instid0(VALU_DEP_1)
	v_lshl_add_u32 v17, v16, 2, 0
	s_mov_b32 s15, exec_lo
                                        ; implicit-def: $sgpr20
	ds_load_b32 v18, v17
	s_waitcnt lgkmcnt(0)
	v_cmpx_ne_u32_e64 v18, v8
	s_xor_b32 s15, exec_lo, s15
	s_cbranch_execz .LBB176_25
; %bb.18:                               ;   in Loop: Header=BB176_17 Depth=3
	s_mov_b32 s21, exec_lo
                                        ; implicit-def: $sgpr20
	v_cmpx_ne_u32_e64 s33, v18
	s_xor_b32 s21, exec_lo, s21
; %bb.19:                               ;   in Loop: Header=BB176_17 Depth=3
	v_add_nc_u32_e32 v16, 1, v16
	s_mov_b32 s20, -1
                                        ; implicit-def: $vgpr17
	s_delay_alu instid0(VALU_DEP_1)
	v_and_b32_e32 v16, 0x7fff, v16
; %bb.20:                               ;   in Loop: Header=BB176_17 Depth=3
	s_and_not1_saveexec_b32 s21, s21
	s_cbranch_execz .LBB176_24
; %bb.21:                               ;   in Loop: Header=BB176_17 Depth=3
	v_mov_b32_e32 v18, s33
	s_mov_b32 s22, -1
	s_mov_b32 s23, exec_lo
	ds_cmpstore_rtn_b32 v17, v17, v8, v18
	s_waitcnt lgkmcnt(0)
	v_cmpx_eq_u32_e64 s33, v17
	s_cbranch_execz .LBB176_23
; %bb.22:                               ;   in Loop: Header=BB176_17 Depth=3
	v_lshlrev_b32_e32 v17, 2, v16
	s_xor_b32 s22, exec_lo, -1
	s_delay_alu instid0(VALU_DEP_1)
	v_add3_u32 v17, 0, v17, 0x20000
	ds_add_f32 v17, v15
.LBB176_23:                             ;   in Loop: Header=BB176_17 Depth=3
	s_or_b32 exec_lo, exec_lo, s23
	s_delay_alu instid0(SALU_CYCLE_1) | instskip(SKIP_1) | instid1(SALU_CYCLE_1)
	s_and_not1_b32 s20, s20, exec_lo
	s_and_b32 s22, s22, exec_lo
	s_or_b32 s20, s20, s22
.LBB176_24:                             ;   in Loop: Header=BB176_17 Depth=3
	s_or_b32 exec_lo, exec_lo, s21
	s_delay_alu instid0(SALU_CYCLE_1)
	s_and_b32 s20, s20, exec_lo
.LBB176_25:                             ;   in Loop: Header=BB176_17 Depth=3
	s_and_not1_saveexec_b32 s15, s15
	s_cbranch_execz .LBB176_16
; %bb.26:                               ;   in Loop: Header=BB176_17 Depth=3
	v_lshlrev_b32_e32 v17, 2, v16
	s_and_not1_b32 s20, s20, exec_lo
	s_delay_alu instid0(VALU_DEP_1)
	v_add3_u32 v17, 0, v17, 0x20000
	ds_add_f32 v17, v15
	s_branch .LBB176_16
.LBB176_27:
	s_or_b32 exec_lo, exec_lo, s2
.LBB176_28:
	s_delay_alu instid0(SALU_CYCLE_1)
	s_and_not1_b32 vcc_lo, exec_lo, s12
	s_cbranch_vccnz .LBB176_31
; %bb.29:
	s_waitcnt lgkmcnt(0)
	s_ashr_i32 s49, s48, 31
	v_sub_co_u32 v1, s4, v0, s47
	s_lshl_b64 s[0:1], s[48:49], 3
	v_sub_co_ci_u32_e64 v2, null, 0, 0, s4
	s_add_u32 s0, s36, s0
	s_addc_u32 s1, s37, s1
	s_load_b128 s[0:3], s[0:1], 0x0
	s_waitcnt lgkmcnt(0)
	v_add_co_u32 v1, vcc_lo, s0, v1
	v_add_co_ci_u32_e32 v2, vcc_lo, s1, v2, vcc_lo
	s_sub_u32 s0, s2, s47
	s_subb_u32 s1, s3, 0
	s_mov_b32 s3, 0
	s_mov_b32 s2, exec_lo
	v_cmpx_gt_i64_e64 s[0:1], v[1:2]
	s_cbranch_execnz .LBB176_100
.LBB176_30:
	s_or_b32 exec_lo, exec_lo, s2
.LBB176_31:
	v_mbcnt_lo_u32_b32 v1, -1, 0
	v_lshrrev_b32_e32 v2, 3, v0
	s_add_i32 s68, 0, 0x4007c
	v_cmp_eq_u32_e32 vcc_lo, 0x3ff, v0
	v_cmp_lt_u32_e64 s0, 31, v0
	v_xor_b32_e32 v1, 63, v1
	v_dual_mov_b32 v4, s68 :: v_dual_and_b32 v3, 0x7c, v2
	v_cmp_lt_u32_e64 s1, 63, v0
	v_cmp_lt_u32_e64 s2, 0x5f, v0
	s_delay_alu instid0(VALU_DEP_4) | instskip(NEXT) | instid1(VALU_DEP_4)
	v_lshrrev_b64 v[1:2], v1, -1
	v_add3_u32 v2, 0, 0x40000, v3
	v_cmp_lt_u32_e64 s3, 0x7f, v0
	v_cmp_lt_u32_e64 s4, 0x9f, v0
	;; [unrolled: 1-line block ×28, first 2 shown]
	v_mov_b32_e32 v3, 0
	s_mov_b32 s36, 0
	s_add_i32 s37, 0, 0x40000
	s_add_i32 s38, 0, 0x40004
	;; [unrolled: 1-line block ×31, first 2 shown]
	s_waitcnt lgkmcnt(0)
	s_barrier
	buffer_gl0_inv
	s_branch .LBB176_33
.LBB176_32:                             ;   in Loop: Header=BB176_33 Depth=1
	s_or_b32 exec_lo, exec_lo, s31
	s_waitcnt lgkmcnt(0)
	s_barrier
	buffer_gl0_inv
	ds_load_b32 v5, v4
	v_add_nc_u32_e32 v10, 0x400, v10
	v_add_nc_u32_e32 v9, 0x1000, v9
	s_delay_alu instid0(VALU_DEP_2) | instskip(NEXT) | instid1(VALU_DEP_1)
	v_cmp_lt_u32_e64 s31, 0x7bff, v10
	s_or_b32 s36, s31, s36
	s_waitcnt lgkmcnt(0)
	v_add_nc_u32_e32 v3, v5, v3
	s_and_not1_b32 exec_lo, exec_lo, s36
	s_cbranch_execz .LBB176_112
.LBB176_33:                             ; =>This Inner Loop Header: Depth=1
	ds_load_b32 v5, v9
	v_add_nc_u32_e32 v6, 0x20000, v9
	ds_load_b32 v6, v6
	s_waitcnt lgkmcnt(0)
	s_barrier
	buffer_gl0_inv
	v_cmp_gt_i32_e64 s31, s33, v5
	s_delay_alu instid0(VALU_DEP_1) | instskip(NEXT) | instid1(SALU_CYCLE_1)
	s_bcnt1_i32_b32 s73, s31
	v_dual_mov_b32 v8, s73 :: v_dual_and_b32 v7, s31, v1
	s_delay_alu instid0(VALU_DEP_1)
	v_bcnt_u32_b32 v7, v7, 0
	ds_store_b32 v2, v8
	s_waitcnt lgkmcnt(0)
	s_barrier
	buffer_gl0_inv
	s_and_saveexec_b32 s73, s0
	s_cbranch_execnz .LBB176_66
; %bb.34:                               ;   in Loop: Header=BB176_33 Depth=1
	s_or_b32 exec_lo, exec_lo, s73
	s_and_saveexec_b32 s73, s1
	s_cbranch_execnz .LBB176_67
.LBB176_35:                             ;   in Loop: Header=BB176_33 Depth=1
	s_or_b32 exec_lo, exec_lo, s73
	s_and_saveexec_b32 s73, s2
	s_cbranch_execnz .LBB176_68
.LBB176_36:                             ;   in Loop: Header=BB176_33 Depth=1
	s_or_b32 exec_lo, exec_lo, s73
	s_and_saveexec_b32 s73, s3
	s_cbranch_execnz .LBB176_69
.LBB176_37:                             ;   in Loop: Header=BB176_33 Depth=1
	s_or_b32 exec_lo, exec_lo, s73
	s_and_saveexec_b32 s73, s4
	s_cbranch_execnz .LBB176_70
.LBB176_38:                             ;   in Loop: Header=BB176_33 Depth=1
	s_or_b32 exec_lo, exec_lo, s73
	s_and_saveexec_b32 s73, s5
	s_cbranch_execnz .LBB176_71
.LBB176_39:                             ;   in Loop: Header=BB176_33 Depth=1
	s_or_b32 exec_lo, exec_lo, s73
	s_and_saveexec_b32 s73, s6
	s_cbranch_execnz .LBB176_72
.LBB176_40:                             ;   in Loop: Header=BB176_33 Depth=1
	s_or_b32 exec_lo, exec_lo, s73
	s_and_saveexec_b32 s73, s7
	s_cbranch_execnz .LBB176_73
.LBB176_41:                             ;   in Loop: Header=BB176_33 Depth=1
	s_or_b32 exec_lo, exec_lo, s73
	s_and_saveexec_b32 s73, s8
	s_cbranch_execnz .LBB176_74
.LBB176_42:                             ;   in Loop: Header=BB176_33 Depth=1
	s_or_b32 exec_lo, exec_lo, s73
	s_and_saveexec_b32 s73, s9
	s_cbranch_execnz .LBB176_75
.LBB176_43:                             ;   in Loop: Header=BB176_33 Depth=1
	s_or_b32 exec_lo, exec_lo, s73
	s_and_saveexec_b32 s73, s10
	s_cbranch_execnz .LBB176_76
.LBB176_44:                             ;   in Loop: Header=BB176_33 Depth=1
	s_or_b32 exec_lo, exec_lo, s73
	s_and_saveexec_b32 s73, s11
	s_cbranch_execnz .LBB176_77
.LBB176_45:                             ;   in Loop: Header=BB176_33 Depth=1
	s_or_b32 exec_lo, exec_lo, s73
	s_and_saveexec_b32 s73, s12
	s_cbranch_execnz .LBB176_78
.LBB176_46:                             ;   in Loop: Header=BB176_33 Depth=1
	s_or_b32 exec_lo, exec_lo, s73
	s_and_saveexec_b32 s73, s13
	s_cbranch_execnz .LBB176_79
.LBB176_47:                             ;   in Loop: Header=BB176_33 Depth=1
	s_or_b32 exec_lo, exec_lo, s73
	s_and_saveexec_b32 s73, s14
	s_cbranch_execnz .LBB176_80
.LBB176_48:                             ;   in Loop: Header=BB176_33 Depth=1
	s_or_b32 exec_lo, exec_lo, s73
	s_and_saveexec_b32 s73, s15
	s_cbranch_execnz .LBB176_81
.LBB176_49:                             ;   in Loop: Header=BB176_33 Depth=1
	s_or_b32 exec_lo, exec_lo, s73
	s_and_saveexec_b32 s73, s16
	s_cbranch_execnz .LBB176_82
.LBB176_50:                             ;   in Loop: Header=BB176_33 Depth=1
	s_or_b32 exec_lo, exec_lo, s73
	s_and_saveexec_b32 s73, s17
	s_cbranch_execnz .LBB176_83
.LBB176_51:                             ;   in Loop: Header=BB176_33 Depth=1
	s_or_b32 exec_lo, exec_lo, s73
	s_and_saveexec_b32 s73, s18
	s_cbranch_execnz .LBB176_84
.LBB176_52:                             ;   in Loop: Header=BB176_33 Depth=1
	s_or_b32 exec_lo, exec_lo, s73
	s_and_saveexec_b32 s73, s19
	s_cbranch_execnz .LBB176_85
.LBB176_53:                             ;   in Loop: Header=BB176_33 Depth=1
	s_or_b32 exec_lo, exec_lo, s73
	s_and_saveexec_b32 s73, s20
	s_cbranch_execnz .LBB176_86
.LBB176_54:                             ;   in Loop: Header=BB176_33 Depth=1
	s_or_b32 exec_lo, exec_lo, s73
	s_and_saveexec_b32 s73, s21
	s_cbranch_execnz .LBB176_87
.LBB176_55:                             ;   in Loop: Header=BB176_33 Depth=1
	s_or_b32 exec_lo, exec_lo, s73
	s_and_saveexec_b32 s73, s22
	s_cbranch_execnz .LBB176_88
.LBB176_56:                             ;   in Loop: Header=BB176_33 Depth=1
	s_or_b32 exec_lo, exec_lo, s73
	s_and_saveexec_b32 s73, s23
	s_cbranch_execnz .LBB176_89
.LBB176_57:                             ;   in Loop: Header=BB176_33 Depth=1
	s_or_b32 exec_lo, exec_lo, s73
	s_and_saveexec_b32 s73, s24
	s_cbranch_execnz .LBB176_90
.LBB176_58:                             ;   in Loop: Header=BB176_33 Depth=1
	s_or_b32 exec_lo, exec_lo, s73
	s_and_saveexec_b32 s73, s25
	s_cbranch_execnz .LBB176_91
.LBB176_59:                             ;   in Loop: Header=BB176_33 Depth=1
	s_or_b32 exec_lo, exec_lo, s73
	s_and_saveexec_b32 s73, s26
	s_cbranch_execnz .LBB176_92
.LBB176_60:                             ;   in Loop: Header=BB176_33 Depth=1
	s_or_b32 exec_lo, exec_lo, s73
	s_and_saveexec_b32 s73, s27
	s_cbranch_execnz .LBB176_93
.LBB176_61:                             ;   in Loop: Header=BB176_33 Depth=1
	s_or_b32 exec_lo, exec_lo, s73
	s_and_saveexec_b32 s73, s28
	s_cbranch_execnz .LBB176_94
.LBB176_62:                             ;   in Loop: Header=BB176_33 Depth=1
	s_or_b32 exec_lo, exec_lo, s73
	s_and_saveexec_b32 s73, s29
	s_cbranch_execnz .LBB176_95
.LBB176_63:                             ;   in Loop: Header=BB176_33 Depth=1
	s_or_b32 exec_lo, exec_lo, s73
	s_and_saveexec_b32 s73, s30
	s_cbranch_execnz .LBB176_96
.LBB176_64:                             ;   in Loop: Header=BB176_33 Depth=1
	s_or_b32 exec_lo, exec_lo, s73
	s_and_saveexec_b32 s73, s31
	s_cbranch_execnz .LBB176_97
.LBB176_65:                             ;   in Loop: Header=BB176_33 Depth=1
	s_or_b32 exec_lo, exec_lo, s73
	s_and_saveexec_b32 s31, vcc_lo
	s_cbranch_execz .LBB176_32
	s_branch .LBB176_98
.LBB176_66:                             ;   in Loop: Header=BB176_33 Depth=1
	v_mov_b32_e32 v8, s37
	ds_load_b32 v8, v8
	s_waitcnt lgkmcnt(0)
	v_add_nc_u32_e32 v7, v8, v7
	s_or_b32 exec_lo, exec_lo, s73
	s_and_saveexec_b32 s73, s1
	s_cbranch_execz .LBB176_35
.LBB176_67:                             ;   in Loop: Header=BB176_33 Depth=1
	v_mov_b32_e32 v8, s38
	ds_load_b32 v8, v8
	s_waitcnt lgkmcnt(0)
	v_add_nc_u32_e32 v7, v8, v7
	s_or_b32 exec_lo, exec_lo, s73
	s_and_saveexec_b32 s73, s2
	s_cbranch_execz .LBB176_36
.LBB176_68:                             ;   in Loop: Header=BB176_33 Depth=1
	v_mov_b32_e32 v8, s39
	ds_load_b32 v8, v8
	s_waitcnt lgkmcnt(0)
	v_add_nc_u32_e32 v7, v8, v7
	s_or_b32 exec_lo, exec_lo, s73
	s_and_saveexec_b32 s73, s3
	s_cbranch_execz .LBB176_37
.LBB176_69:                             ;   in Loop: Header=BB176_33 Depth=1
	v_mov_b32_e32 v8, s40
	ds_load_b32 v8, v8
	s_waitcnt lgkmcnt(0)
	v_add_nc_u32_e32 v7, v8, v7
	s_or_b32 exec_lo, exec_lo, s73
	s_and_saveexec_b32 s73, s4
	s_cbranch_execz .LBB176_38
.LBB176_70:                             ;   in Loop: Header=BB176_33 Depth=1
	v_mov_b32_e32 v8, s41
	ds_load_b32 v8, v8
	s_waitcnt lgkmcnt(0)
	v_add_nc_u32_e32 v7, v8, v7
	s_or_b32 exec_lo, exec_lo, s73
	s_and_saveexec_b32 s73, s5
	s_cbranch_execz .LBB176_39
.LBB176_71:                             ;   in Loop: Header=BB176_33 Depth=1
	v_mov_b32_e32 v8, s44
	ds_load_b32 v8, v8
	s_waitcnt lgkmcnt(0)
	v_add_nc_u32_e32 v7, v8, v7
	s_or_b32 exec_lo, exec_lo, s73
	s_and_saveexec_b32 s73, s6
	s_cbranch_execz .LBB176_40
.LBB176_72:                             ;   in Loop: Header=BB176_33 Depth=1
	v_mov_b32_e32 v8, s45
	ds_load_b32 v8, v8
	s_waitcnt lgkmcnt(0)
	v_add_nc_u32_e32 v7, v8, v7
	s_or_b32 exec_lo, exec_lo, s73
	s_and_saveexec_b32 s73, s7
	s_cbranch_execz .LBB176_41
.LBB176_73:                             ;   in Loop: Header=BB176_33 Depth=1
	v_mov_b32_e32 v8, s47
	ds_load_b32 v8, v8
	s_waitcnt lgkmcnt(0)
	v_add_nc_u32_e32 v7, v8, v7
	s_or_b32 exec_lo, exec_lo, s73
	s_and_saveexec_b32 s73, s8
	s_cbranch_execz .LBB176_42
.LBB176_74:                             ;   in Loop: Header=BB176_33 Depth=1
	v_mov_b32_e32 v8, s49
	ds_load_b32 v8, v8
	s_waitcnt lgkmcnt(0)
	v_add_nc_u32_e32 v7, v8, v7
	s_or_b32 exec_lo, exec_lo, s73
	s_and_saveexec_b32 s73, s9
	s_cbranch_execz .LBB176_43
.LBB176_75:                             ;   in Loop: Header=BB176_33 Depth=1
	v_mov_b32_e32 v8, s50
	ds_load_b32 v8, v8
	s_waitcnt lgkmcnt(0)
	v_add_nc_u32_e32 v7, v8, v7
	s_or_b32 exec_lo, exec_lo, s73
	s_and_saveexec_b32 s73, s10
	s_cbranch_execz .LBB176_44
.LBB176_76:                             ;   in Loop: Header=BB176_33 Depth=1
	v_mov_b32_e32 v8, s51
	ds_load_b32 v8, v8
	s_waitcnt lgkmcnt(0)
	v_add_nc_u32_e32 v7, v8, v7
	s_or_b32 exec_lo, exec_lo, s73
	s_and_saveexec_b32 s73, s11
	s_cbranch_execz .LBB176_45
.LBB176_77:                             ;   in Loop: Header=BB176_33 Depth=1
	v_mov_b32_e32 v8, s52
	ds_load_b32 v8, v8
	s_waitcnt lgkmcnt(0)
	v_add_nc_u32_e32 v7, v8, v7
	s_or_b32 exec_lo, exec_lo, s73
	s_and_saveexec_b32 s73, s12
	s_cbranch_execz .LBB176_46
.LBB176_78:                             ;   in Loop: Header=BB176_33 Depth=1
	v_mov_b32_e32 v8, s53
	ds_load_b32 v8, v8
	s_waitcnt lgkmcnt(0)
	v_add_nc_u32_e32 v7, v8, v7
	s_or_b32 exec_lo, exec_lo, s73
	s_and_saveexec_b32 s73, s13
	s_cbranch_execz .LBB176_47
.LBB176_79:                             ;   in Loop: Header=BB176_33 Depth=1
	v_mov_b32_e32 v8, s54
	ds_load_b32 v8, v8
	s_waitcnt lgkmcnt(0)
	v_add_nc_u32_e32 v7, v8, v7
	s_or_b32 exec_lo, exec_lo, s73
	s_and_saveexec_b32 s73, s14
	s_cbranch_execz .LBB176_48
.LBB176_80:                             ;   in Loop: Header=BB176_33 Depth=1
	v_mov_b32_e32 v8, s55
	ds_load_b32 v8, v8
	s_waitcnt lgkmcnt(0)
	v_add_nc_u32_e32 v7, v8, v7
	s_or_b32 exec_lo, exec_lo, s73
	s_and_saveexec_b32 s73, s15
	s_cbranch_execz .LBB176_49
.LBB176_81:                             ;   in Loop: Header=BB176_33 Depth=1
	v_mov_b32_e32 v8, s56
	ds_load_b32 v8, v8
	s_waitcnt lgkmcnt(0)
	v_add_nc_u32_e32 v7, v8, v7
	s_or_b32 exec_lo, exec_lo, s73
	s_and_saveexec_b32 s73, s16
	s_cbranch_execz .LBB176_50
.LBB176_82:                             ;   in Loop: Header=BB176_33 Depth=1
	v_mov_b32_e32 v8, s57
	ds_load_b32 v8, v8
	s_waitcnt lgkmcnt(0)
	v_add_nc_u32_e32 v7, v8, v7
	s_or_b32 exec_lo, exec_lo, s73
	s_and_saveexec_b32 s73, s17
	s_cbranch_execz .LBB176_51
.LBB176_83:                             ;   in Loop: Header=BB176_33 Depth=1
	v_mov_b32_e32 v8, s58
	ds_load_b32 v8, v8
	s_waitcnt lgkmcnt(0)
	v_add_nc_u32_e32 v7, v8, v7
	s_or_b32 exec_lo, exec_lo, s73
	s_and_saveexec_b32 s73, s18
	s_cbranch_execz .LBB176_52
.LBB176_84:                             ;   in Loop: Header=BB176_33 Depth=1
	v_mov_b32_e32 v8, s59
	ds_load_b32 v8, v8
	s_waitcnt lgkmcnt(0)
	v_add_nc_u32_e32 v7, v8, v7
	s_or_b32 exec_lo, exec_lo, s73
	s_and_saveexec_b32 s73, s19
	s_cbranch_execz .LBB176_53
.LBB176_85:                             ;   in Loop: Header=BB176_33 Depth=1
	v_mov_b32_e32 v8, s60
	ds_load_b32 v8, v8
	s_waitcnt lgkmcnt(0)
	v_add_nc_u32_e32 v7, v8, v7
	s_or_b32 exec_lo, exec_lo, s73
	s_and_saveexec_b32 s73, s20
	s_cbranch_execz .LBB176_54
.LBB176_86:                             ;   in Loop: Header=BB176_33 Depth=1
	v_mov_b32_e32 v8, s61
	ds_load_b32 v8, v8
	s_waitcnt lgkmcnt(0)
	v_add_nc_u32_e32 v7, v8, v7
	s_or_b32 exec_lo, exec_lo, s73
	s_and_saveexec_b32 s73, s21
	s_cbranch_execz .LBB176_55
.LBB176_87:                             ;   in Loop: Header=BB176_33 Depth=1
	v_mov_b32_e32 v8, s62
	ds_load_b32 v8, v8
	s_waitcnt lgkmcnt(0)
	v_add_nc_u32_e32 v7, v8, v7
	s_or_b32 exec_lo, exec_lo, s73
	s_and_saveexec_b32 s73, s22
	s_cbranch_execz .LBB176_56
.LBB176_88:                             ;   in Loop: Header=BB176_33 Depth=1
	v_mov_b32_e32 v8, s63
	ds_load_b32 v8, v8
	s_waitcnt lgkmcnt(0)
	v_add_nc_u32_e32 v7, v8, v7
	s_or_b32 exec_lo, exec_lo, s73
	s_and_saveexec_b32 s73, s23
	s_cbranch_execz .LBB176_57
.LBB176_89:                             ;   in Loop: Header=BB176_33 Depth=1
	v_mov_b32_e32 v8, s64
	ds_load_b32 v8, v8
	s_waitcnt lgkmcnt(0)
	v_add_nc_u32_e32 v7, v8, v7
	s_or_b32 exec_lo, exec_lo, s73
	s_and_saveexec_b32 s73, s24
	s_cbranch_execz .LBB176_58
.LBB176_90:                             ;   in Loop: Header=BB176_33 Depth=1
	v_mov_b32_e32 v8, s65
	ds_load_b32 v8, v8
	s_waitcnt lgkmcnt(0)
	v_add_nc_u32_e32 v7, v8, v7
	s_or_b32 exec_lo, exec_lo, s73
	s_and_saveexec_b32 s73, s25
	s_cbranch_execz .LBB176_59
.LBB176_91:                             ;   in Loop: Header=BB176_33 Depth=1
	v_mov_b32_e32 v8, s66
	ds_load_b32 v8, v8
	s_waitcnt lgkmcnt(0)
	v_add_nc_u32_e32 v7, v8, v7
	s_or_b32 exec_lo, exec_lo, s73
	s_and_saveexec_b32 s73, s26
	s_cbranch_execz .LBB176_60
.LBB176_92:                             ;   in Loop: Header=BB176_33 Depth=1
	v_mov_b32_e32 v8, s67
	ds_load_b32 v8, v8
	s_waitcnt lgkmcnt(0)
	v_add_nc_u32_e32 v7, v8, v7
	s_or_b32 exec_lo, exec_lo, s73
	s_and_saveexec_b32 s73, s27
	s_cbranch_execz .LBB176_61
.LBB176_93:                             ;   in Loop: Header=BB176_33 Depth=1
	v_mov_b32_e32 v8, s69
	ds_load_b32 v8, v8
	s_waitcnt lgkmcnt(0)
	v_add_nc_u32_e32 v7, v8, v7
	s_or_b32 exec_lo, exec_lo, s73
	s_and_saveexec_b32 s73, s28
	s_cbranch_execz .LBB176_62
.LBB176_94:                             ;   in Loop: Header=BB176_33 Depth=1
	v_mov_b32_e32 v8, s70
	ds_load_b32 v8, v8
	s_waitcnt lgkmcnt(0)
	v_add_nc_u32_e32 v7, v8, v7
	s_or_b32 exec_lo, exec_lo, s73
	s_and_saveexec_b32 s73, s29
	s_cbranch_execz .LBB176_63
.LBB176_95:                             ;   in Loop: Header=BB176_33 Depth=1
	v_mov_b32_e32 v8, s71
	ds_load_b32 v8, v8
	s_waitcnt lgkmcnt(0)
	v_add_nc_u32_e32 v7, v8, v7
	s_or_b32 exec_lo, exec_lo, s73
	s_and_saveexec_b32 s73, s30
	s_cbranch_execz .LBB176_64
.LBB176_96:                             ;   in Loop: Header=BB176_33 Depth=1
	v_mov_b32_e32 v8, s72
	ds_load_b32 v8, v8
	s_waitcnt lgkmcnt(0)
	v_add_nc_u32_e32 v7, v8, v7
	s_or_b32 exec_lo, exec_lo, s73
	s_and_saveexec_b32 s73, s31
	s_cbranch_execz .LBB176_65
.LBB176_97:                             ;   in Loop: Header=BB176_33 Depth=1
	s_delay_alu instid0(VALU_DEP_1) | instskip(NEXT) | instid1(VALU_DEP_1)
	v_add3_u32 v8, v3, -1, v7
	v_lshl_add_u32 v8, v8, 2, 0
	s_delay_alu instid0(VALU_DEP_1)
	v_add_nc_u32_e32 v11, 0x20000, v8
	ds_store_b32 v8, v5
	ds_store_b32 v11, v6
	s_or_b32 exec_lo, exec_lo, s73
	s_and_saveexec_b32 s31, vcc_lo
	s_cbranch_execz .LBB176_32
.LBB176_98:                             ;   in Loop: Header=BB176_33 Depth=1
	v_mov_b32_e32 v5, s68
	ds_store_b32 v5, v7
	s_branch .LBB176_32
.LBB176_99:                             ;   in Loop: Header=BB176_100 Depth=1
	s_or_b32 exec_lo, exec_lo, s4
	v_add_co_u32 v1, vcc_lo, 0x400, v1
	v_add_co_ci_u32_e32 v2, vcc_lo, 0, v2, vcc_lo
	s_delay_alu instid0(VALU_DEP_1) | instskip(SKIP_1) | instid1(SALU_CYCLE_1)
	v_cmp_le_i64_e32 vcc_lo, s[0:1], v[1:2]
	s_or_b32 s3, vcc_lo, s3
	s_and_not1_b32 exec_lo, exec_lo, s3
	s_cbranch_execz .LBB176_30
.LBB176_100:                            ; =>This Loop Header: Depth=1
                                        ;     Child Loop BB176_102 Depth 2
	v_lshlrev_b64 v[3:4], 2, v[1:2]
	s_mov_b32 s4, 0
	s_delay_alu instid0(VALU_DEP_1) | instskip(NEXT) | instid1(VALU_DEP_2)
	v_add_co_u32 v5, vcc_lo, s38, v3
	v_add_co_ci_u32_e32 v6, vcc_lo, s39, v4, vcc_lo
	v_add_co_u32 v3, vcc_lo, s40, v3
	v_add_co_ci_u32_e32 v4, vcc_lo, s41, v4, vcc_lo
	global_load_b32 v5, v[5:6], off
	global_load_b32 v4, v[3:4], off
	s_waitcnt vmcnt(1)
	v_subrev_nc_u32_e32 v3, s47, v5
	s_delay_alu instid0(VALU_DEP_1) | instskip(SKIP_1) | instid1(VALU_DEP_1)
	v_mul_lo_u32 v5, 0x89, v3
	s_waitcnt vmcnt(0)
	v_dual_mul_f32 v4, v11, v4 :: v_dual_and_b32 v5, 0x7fff, v5
	s_branch .LBB176_102
.LBB176_101:                            ;   in Loop: Header=BB176_102 Depth=2
	s_or_b32 exec_lo, exec_lo, s5
	s_xor_b32 s5, s6, -1
	s_delay_alu instid0(SALU_CYCLE_1) | instskip(NEXT) | instid1(SALU_CYCLE_1)
	s_and_b32 s5, exec_lo, s5
	s_or_b32 s4, s5, s4
	s_delay_alu instid0(SALU_CYCLE_1)
	s_and_not1_b32 exec_lo, exec_lo, s4
	s_cbranch_execz .LBB176_99
.LBB176_102:                            ;   Parent Loop BB176_100 Depth=1
                                        ; =>  This Inner Loop Header: Depth=2
	s_delay_alu instid0(VALU_DEP_1)
	v_lshl_add_u32 v6, v5, 2, 0
	s_mov_b32 s5, exec_lo
                                        ; implicit-def: $sgpr6
	ds_load_b32 v7, v6
	s_waitcnt lgkmcnt(0)
	v_cmpx_ne_u32_e64 v7, v3
	s_xor_b32 s5, exec_lo, s5
	s_cbranch_execz .LBB176_110
; %bb.103:                              ;   in Loop: Header=BB176_102 Depth=2
	s_mov_b32 s7, exec_lo
                                        ; implicit-def: $sgpr6
	v_cmpx_ne_u32_e64 s33, v7
	s_xor_b32 s7, exec_lo, s7
; %bb.104:                              ;   in Loop: Header=BB176_102 Depth=2
	v_add_nc_u32_e32 v5, 1, v5
	s_mov_b32 s6, -1
                                        ; implicit-def: $vgpr6
	s_delay_alu instid0(VALU_DEP_1)
	v_and_b32_e32 v5, 0x7fff, v5
; %bb.105:                              ;   in Loop: Header=BB176_102 Depth=2
	s_and_not1_saveexec_b32 s7, s7
	s_cbranch_execz .LBB176_109
; %bb.106:                              ;   in Loop: Header=BB176_102 Depth=2
	v_mov_b32_e32 v7, s33
	s_mov_b32 s8, -1
	s_mov_b32 s9, exec_lo
	ds_cmpstore_rtn_b32 v6, v6, v3, v7
	s_waitcnt lgkmcnt(0)
	v_cmpx_eq_u32_e64 s33, v6
	s_cbranch_execz .LBB176_108
; %bb.107:                              ;   in Loop: Header=BB176_102 Depth=2
	v_lshlrev_b32_e32 v6, 2, v5
	s_xor_b32 s8, exec_lo, -1
	s_delay_alu instid0(VALU_DEP_1)
	v_add3_u32 v6, 0, v6, 0x20000
	ds_add_f32 v6, v4
.LBB176_108:                            ;   in Loop: Header=BB176_102 Depth=2
	s_or_b32 exec_lo, exec_lo, s9
	s_delay_alu instid0(SALU_CYCLE_1) | instskip(SKIP_1) | instid1(SALU_CYCLE_1)
	s_and_not1_b32 s6, s6, exec_lo
	s_and_b32 s8, s8, exec_lo
	s_or_b32 s6, s6, s8
.LBB176_109:                            ;   in Loop: Header=BB176_102 Depth=2
	s_or_b32 exec_lo, exec_lo, s7
	s_delay_alu instid0(SALU_CYCLE_1)
	s_and_b32 s6, s6, exec_lo
.LBB176_110:                            ;   in Loop: Header=BB176_102 Depth=2
	s_and_not1_saveexec_b32 s5, s5
	s_cbranch_execz .LBB176_101
; %bb.111:                              ;   in Loop: Header=BB176_102 Depth=2
	v_lshlrev_b32_e32 v6, 2, v5
	s_and_not1_b32 s6, s6, exec_lo
	s_delay_alu instid0(VALU_DEP_1)
	v_add3_u32 v6, 0, v6, 0x20000
	ds_add_f32 v6, v4
	s_branch .LBB176_101
.LBB176_112:
	s_or_b32 exec_lo, exec_lo, s36
	s_ashr_i32 s49, s48, 31
	s_mov_b32 s4, exec_lo
	s_lshl_b64 s[0:1], s[48:49], 3
	s_delay_alu instid0(SALU_CYCLE_1) | instskip(SKIP_4) | instid1(SALU_CYCLE_1)
	s_add_u32 s0, s42, s0
	s_addc_u32 s1, s43, s1
	s_load_b128 s[0:3], s[0:1], 0x0
	s_waitcnt lgkmcnt(0)
	s_sub_i32 s3, s2, s0
	v_cmpx_gt_i32_e64 s3, v0
	s_cbranch_execz .LBB176_122
; %bb.113:
	s_sub_u32 s4, s0, s46
	s_subb_u32 s5, s1, 0
	s_sub_i32 s0, s0, s2
	s_and_b32 s1, s3, 7
	s_cmp_lt_u32 s0, -7
	s_mov_b32 s8, 0
	s_cselect_b32 s2, -1, 0
	s_and_b32 s6, s3, -8
	s_cmp_lg_u32 s1, 0
	s_cselect_b32 s7, -1, 0
	s_branch .LBB176_115
.LBB176_114:                            ;   in Loop: Header=BB176_115 Depth=1
	s_delay_alu instid0(VALU_DEP_1) | instskip(SKIP_1) | instid1(VALU_DEP_1)
	v_lshlrev_b64 v[1:2], 2, v[1:2]
	v_add_nc_u32_e32 v0, 0x400, v0
	v_cmp_le_i32_e32 vcc_lo, s3, v0
	s_delay_alu instid0(VALU_DEP_3) | instskip(NEXT) | instid1(VALU_DEP_1)
	v_add_co_u32 v1, s0, s34, v1
	v_add_co_ci_u32_e64 v2, s0, s35, v2, s0
	s_or_b32 s8, vcc_lo, s8
	s_waitcnt lgkmcnt(0)
	global_store_b32 v[1:2], v3, off
	s_and_not1_b32 exec_lo, exec_lo, s8
	s_cbranch_execz .LBB176_122
.LBB176_115:                            ; =>This Loop Header: Depth=1
                                        ;     Child Loop BB176_117 Depth 2
                                        ;     Child Loop BB176_121 Depth 2
	v_lshl_add_u32 v1, v0, 2, 0
	s_and_not1_b32 vcc_lo, exec_lo, s2
	s_mov_b32 s0, 0
	s_delay_alu instid0(VALU_DEP_1)
	v_add_nc_u32_e32 v2, 0x20000, v1
	ds_load_b32 v4, v1
	ds_load_b32 v3, v2
	v_dual_mov_b32 v1, s4 :: v_dual_mov_b32 v2, s5
	s_cbranch_vccnz .LBB176_119
; %bb.116:                              ;   in Loop: Header=BB176_115 Depth=1
	v_dual_mov_b32 v1, s4 :: v_dual_mov_b32 v2, s5
	s_mov_b32 s9, 0
	s_mov_b32 s10, 0
.LBB176_117:                            ;   Parent Loop BB176_115 Depth=1
                                        ; =>  This Inner Loop Header: Depth=2
	s_delay_alu instid0(SALU_CYCLE_1)
	v_mov_b32_e32 v11, s10
	s_add_i32 s9, s9, 8
	s_add_i32 s10, s10, 32
	s_cmp_eq_u32 s6, s9
	ds_load_2addr_b32 v[5:6], v11 offset1:1
	ds_load_2addr_b32 v[7:8], v11 offset0:2 offset1:3
	ds_load_2addr_b32 v[9:10], v11 offset0:4 offset1:5
	;; [unrolled: 1-line block ×3, first 2 shown]
	s_waitcnt lgkmcnt(3)
	v_cmp_gt_i32_e32 vcc_lo, v4, v5
	v_cndmask_b32_e64 v5, 0, 1, vcc_lo
	v_cmp_gt_i32_e32 vcc_lo, v4, v6
	v_cndmask_b32_e64 v6, 0, 1, vcc_lo
	s_waitcnt lgkmcnt(2)
	v_cmp_gt_i32_e32 vcc_lo, v4, v7
	v_cndmask_b32_e64 v7, 0, 1, vcc_lo
	v_cmp_gt_i32_e32 vcc_lo, v4, v8
	v_cndmask_b32_e64 v8, 0, 1, vcc_lo
	s_waitcnt lgkmcnt(1)
	v_cmp_gt_i32_e32 vcc_lo, v4, v9
	v_cndmask_b32_e64 v9, 0, 1, vcc_lo
	v_add_co_u32 v1, vcc_lo, v1, v5
	v_add_co_ci_u32_e32 v2, vcc_lo, 0, v2, vcc_lo
	v_cmp_gt_i32_e32 vcc_lo, v4, v10
	s_delay_alu instid0(VALU_DEP_3) | instskip(NEXT) | instid1(VALU_DEP_1)
	v_add_co_u32 v1, s0, v1, v6
	v_add_co_ci_u32_e64 v2, s0, 0, v2, s0
	v_cndmask_b32_e64 v5, 0, 1, vcc_lo
	s_delay_alu instid0(VALU_DEP_3) | instskip(NEXT) | instid1(VALU_DEP_3)
	v_add_co_u32 v1, vcc_lo, v1, v7
	v_add_co_ci_u32_e32 v2, vcc_lo, 0, v2, vcc_lo
	s_waitcnt lgkmcnt(0)
	v_cmp_gt_i32_e32 vcc_lo, v4, v11
	s_delay_alu instid0(VALU_DEP_3) | instskip(NEXT) | instid1(VALU_DEP_1)
	v_add_co_u32 v1, s0, v1, v8
	v_add_co_ci_u32_e64 v2, s0, 0, v2, s0
	v_cndmask_b32_e64 v6, 0, 1, vcc_lo
	s_delay_alu instid0(VALU_DEP_3) | instskip(NEXT) | instid1(VALU_DEP_3)
	v_add_co_u32 v1, vcc_lo, v1, v9
	v_add_co_ci_u32_e32 v2, vcc_lo, 0, v2, vcc_lo
	v_cmp_gt_i32_e32 vcc_lo, v4, v12
	s_delay_alu instid0(VALU_DEP_3) | instskip(NEXT) | instid1(VALU_DEP_1)
	v_add_co_u32 v1, s0, v1, v5
	v_add_co_ci_u32_e64 v2, s0, 0, v2, s0
	v_cndmask_b32_e64 v5, 0, 1, vcc_lo
	s_delay_alu instid0(VALU_DEP_3) | instskip(NEXT) | instid1(VALU_DEP_3)
	v_add_co_u32 v1, vcc_lo, v1, v6
	v_add_co_ci_u32_e32 v2, vcc_lo, 0, v2, vcc_lo
	s_delay_alu instid0(VALU_DEP_2) | instskip(NEXT) | instid1(VALU_DEP_2)
	v_add_co_u32 v1, vcc_lo, v1, v5
	v_add_co_ci_u32_e32 v2, vcc_lo, 0, v2, vcc_lo
	s_cbranch_scc0 .LBB176_117
; %bb.118:                              ;   in Loop: Header=BB176_115 Depth=1
	s_mov_b32 s0, s6
.LBB176_119:                            ;   in Loop: Header=BB176_115 Depth=1
	s_and_not1_b32 vcc_lo, exec_lo, s7
	s_cbranch_vccnz .LBB176_114
; %bb.120:                              ;   in Loop: Header=BB176_115 Depth=1
	s_lshl_b32 s0, s0, 2
	s_mov_b32 s9, s1
	s_add_i32 s0, s0, 0
.LBB176_121:                            ;   Parent Loop BB176_115 Depth=1
                                        ; =>  This Inner Loop Header: Depth=2
	s_delay_alu instid0(SALU_CYCLE_1)
	v_mov_b32_e32 v5, s0
	s_add_i32 s9, s9, -1
	s_add_i32 s0, s0, 4
	s_cmp_lg_u32 s9, 0
	ds_load_b32 v5, v5
	s_waitcnt lgkmcnt(0)
	v_cmp_gt_i32_e32 vcc_lo, v4, v5
	v_cndmask_b32_e64 v5, 0, 1, vcc_lo
	s_delay_alu instid0(VALU_DEP_1)
	v_add_co_u32 v1, vcc_lo, v1, v5
	v_add_co_ci_u32_e32 v2, vcc_lo, 0, v2, vcc_lo
	s_cbranch_scc1 .LBB176_121
	s_branch .LBB176_114
.LBB176_122:
	s_nop 0
	s_sendmsg sendmsg(MSG_DEALLOC_VGPRS)
	s_endpgm
	.section	.rodata,"a",@progbits
	.p2align	6, 0x0
	.amdhsa_kernel _ZN9rocsparseL41csrgemm_numeric_fill_block_per_row_kernelILj1024ELj64ELj32768ELj137ELj32ElifEEvT5_PKS1_S3_NS_24const_host_device_scalarIT6_EEPKT4_S3_PKS5_S9_S3_SB_S6_S9_S3_SB_S9_S3_PS5_21rocsparse_index_base_SD_SD_SD_bbb
		.amdhsa_group_segment_fixed_size 0
		.amdhsa_private_segment_fixed_size 0
		.amdhsa_kernarg_size 156
		.amdhsa_user_sgpr_count 15
		.amdhsa_user_sgpr_dispatch_ptr 0
		.amdhsa_user_sgpr_queue_ptr 0
		.amdhsa_user_sgpr_kernarg_segment_ptr 1
		.amdhsa_user_sgpr_dispatch_id 0
		.amdhsa_user_sgpr_private_segment_size 0
		.amdhsa_wavefront_size32 1
		.amdhsa_uses_dynamic_stack 0
		.amdhsa_enable_private_segment 0
		.amdhsa_system_sgpr_workgroup_id_x 1
		.amdhsa_system_sgpr_workgroup_id_y 0
		.amdhsa_system_sgpr_workgroup_id_z 0
		.amdhsa_system_sgpr_workgroup_info 0
		.amdhsa_system_vgpr_workitem_id 0
		.amdhsa_next_free_vgpr 19
		.amdhsa_next_free_sgpr 74
		.amdhsa_reserve_vcc 1
		.amdhsa_float_round_mode_32 0
		.amdhsa_float_round_mode_16_64 0
		.amdhsa_float_denorm_mode_32 3
		.amdhsa_float_denorm_mode_16_64 3
		.amdhsa_dx10_clamp 1
		.amdhsa_ieee_mode 1
		.amdhsa_fp16_overflow 0
		.amdhsa_workgroup_processor_mode 1
		.amdhsa_memory_ordered 1
		.amdhsa_forward_progress 0
		.amdhsa_shared_vgpr_count 0
		.amdhsa_exception_fp_ieee_invalid_op 0
		.amdhsa_exception_fp_denorm_src 0
		.amdhsa_exception_fp_ieee_div_zero 0
		.amdhsa_exception_fp_ieee_overflow 0
		.amdhsa_exception_fp_ieee_underflow 0
		.amdhsa_exception_fp_ieee_inexact 0
		.amdhsa_exception_int_div_zero 0
	.end_amdhsa_kernel
	.section	.text._ZN9rocsparseL41csrgemm_numeric_fill_block_per_row_kernelILj1024ELj64ELj32768ELj137ELj32ElifEEvT5_PKS1_S3_NS_24const_host_device_scalarIT6_EEPKT4_S3_PKS5_S9_S3_SB_S6_S9_S3_SB_S9_S3_PS5_21rocsparse_index_base_SD_SD_SD_bbb,"axG",@progbits,_ZN9rocsparseL41csrgemm_numeric_fill_block_per_row_kernelILj1024ELj64ELj32768ELj137ELj32ElifEEvT5_PKS1_S3_NS_24const_host_device_scalarIT6_EEPKT4_S3_PKS5_S9_S3_SB_S6_S9_S3_SB_S9_S3_PS5_21rocsparse_index_base_SD_SD_SD_bbb,comdat
.Lfunc_end176:
	.size	_ZN9rocsparseL41csrgemm_numeric_fill_block_per_row_kernelILj1024ELj64ELj32768ELj137ELj32ElifEEvT5_PKS1_S3_NS_24const_host_device_scalarIT6_EEPKT4_S3_PKS5_S9_S3_SB_S6_S9_S3_SB_S9_S3_PS5_21rocsparse_index_base_SD_SD_SD_bbb, .Lfunc_end176-_ZN9rocsparseL41csrgemm_numeric_fill_block_per_row_kernelILj1024ELj64ELj32768ELj137ELj32ElifEEvT5_PKS1_S3_NS_24const_host_device_scalarIT6_EEPKT4_S3_PKS5_S9_S3_SB_S6_S9_S3_SB_S9_S3_PS5_21rocsparse_index_base_SD_SD_SD_bbb
                                        ; -- End function
	.section	.AMDGPU.csdata,"",@progbits
; Kernel info:
; codeLenInByte = 4648
; NumSgprs: 76
; NumVgprs: 19
; ScratchSize: 0
; MemoryBound: 0
; FloatMode: 240
; IeeeMode: 1
; LDSByteSize: 0 bytes/workgroup (compile time only)
; SGPRBlocks: 9
; VGPRBlocks: 2
; NumSGPRsForWavesPerEU: 76
; NumVGPRsForWavesPerEU: 19
; Occupancy: 16
; WaveLimiterHint : 1
; COMPUTE_PGM_RSRC2:SCRATCH_EN: 0
; COMPUTE_PGM_RSRC2:USER_SGPR: 15
; COMPUTE_PGM_RSRC2:TRAP_HANDLER: 0
; COMPUTE_PGM_RSRC2:TGID_X_EN: 1
; COMPUTE_PGM_RSRC2:TGID_Y_EN: 0
; COMPUTE_PGM_RSRC2:TGID_Z_EN: 0
; COMPUTE_PGM_RSRC2:TIDIG_COMP_CNT: 0
	.section	.text._ZN9rocsparseL41csrgemm_numeric_fill_block_per_row_kernelILj1024ELj64ELj32768ELj137ELj64ElifEEvT5_PKS1_S3_NS_24const_host_device_scalarIT6_EEPKT4_S3_PKS5_S9_S3_SB_S6_S9_S3_SB_S9_S3_PS5_21rocsparse_index_base_SD_SD_SD_bbb,"axG",@progbits,_ZN9rocsparseL41csrgemm_numeric_fill_block_per_row_kernelILj1024ELj64ELj32768ELj137ELj64ElifEEvT5_PKS1_S3_NS_24const_host_device_scalarIT6_EEPKT4_S3_PKS5_S9_S3_SB_S6_S9_S3_SB_S9_S3_PS5_21rocsparse_index_base_SD_SD_SD_bbb,comdat
	.globl	_ZN9rocsparseL41csrgemm_numeric_fill_block_per_row_kernelILj1024ELj64ELj32768ELj137ELj64ElifEEvT5_PKS1_S3_NS_24const_host_device_scalarIT6_EEPKT4_S3_PKS5_S9_S3_SB_S6_S9_S3_SB_S9_S3_PS5_21rocsparse_index_base_SD_SD_SD_bbb ; -- Begin function _ZN9rocsparseL41csrgemm_numeric_fill_block_per_row_kernelILj1024ELj64ELj32768ELj137ELj64ElifEEvT5_PKS1_S3_NS_24const_host_device_scalarIT6_EEPKT4_S3_PKS5_S9_S3_SB_S6_S9_S3_SB_S9_S3_PS5_21rocsparse_index_base_SD_SD_SD_bbb
	.p2align	8
	.type	_ZN9rocsparseL41csrgemm_numeric_fill_block_per_row_kernelILj1024ELj64ELj32768ELj137ELj64ElifEEvT5_PKS1_S3_NS_24const_host_device_scalarIT6_EEPKT4_S3_PKS5_S9_S3_SB_S6_S9_S3_SB_S9_S3_PS5_21rocsparse_index_base_SD_SD_SD_bbb,@function
_ZN9rocsparseL41csrgemm_numeric_fill_block_per_row_kernelILj1024ELj64ELj32768ELj137ELj64ElifEEvT5_PKS1_S3_NS_24const_host_device_scalarIT6_EEPKT4_S3_PKS5_S9_S3_SB_S6_S9_S3_SB_S9_S3_PS5_21rocsparse_index_base_SD_SD_SD_bbb: ; @_ZN9rocsparseL41csrgemm_numeric_fill_block_per_row_kernelILj1024ELj64ELj32768ELj137ELj64ElifEEvT5_PKS1_S3_NS_24const_host_device_scalarIT6_EEPKT4_S3_PKS5_S9_S3_SB_S6_S9_S3_SB_S9_S3_PS5_21rocsparse_index_base_SD_SD_SD_bbb
; %bb.0:
	s_clause 0x3
	s_load_b32 s12, s[0:1], 0x98
	s_load_b128 s[24:27], s[0:1], 0x88
	s_load_b64 s[4:5], s[0:1], 0x18
	s_load_b64 s[2:3], s[0:1], 0x50
	s_waitcnt lgkmcnt(0)
	s_bitcmp1_b32 s12, 0
	s_cselect_b32 s13, -1, 0
	s_bitcmp1_b32 s12, 16
	s_cselect_b32 s14, -1, 0
	s_xor_b32 s6, s13, -1
	s_delay_alu instid0(SALU_CYCLE_1) | instskip(NEXT) | instid1(SALU_CYCLE_1)
	s_or_b32 s6, s6, s14
	s_and_b32 vcc_lo, exec_lo, s6
	s_cbranch_vccnz .LBB177_2
; %bb.1:
	s_load_b32 s4, s[4:5], 0x0
	s_waitcnt lgkmcnt(0)
	v_mov_b32_e32 v13, s4
	s_branch .LBB177_3
.LBB177_2:
	v_cndmask_b32_e64 v13, 0, s4, s13
.LBB177_3:
	s_clause 0x4
	s_load_b64 s[34:35], s[0:1], 0x80
	s_load_b256 s[16:23], s[0:1], 0x58
	s_load_b128 s[28:31], s[0:1], 0x40
	s_load_b128 s[36:39], s[0:1], 0x8
	s_load_b256 s[4:11], s[0:1], 0x20
	s_bitcmp1_b32 s12, 8
	s_cselect_b32 s12, -1, 0
	s_delay_alu instid0(SALU_CYCLE_1) | instskip(NEXT) | instid1(SALU_CYCLE_1)
	s_xor_b32 s33, s12, -1
	s_or_b32 s14, s33, s14
	s_delay_alu instid0(SALU_CYCLE_1)
	s_and_b32 vcc_lo, exec_lo, s14
	s_cbranch_vccnz .LBB177_5
; %bb.4:
	s_load_b32 s2, s[2:3], 0x0
	s_waitcnt lgkmcnt(0)
	v_mov_b32_e32 v11, s2
	s_branch .LBB177_6
.LBB177_5:
	v_cndmask_b32_e64 v11, 0, s2, s12
.LBB177_6:
	s_load_b32 s33, s[0:1], 0x0
	v_lshl_add_u32 v9, v0, 2, 0
	v_or_b32_e32 v10, 0xfffffc00, v0
	v_mov_b32_e32 v1, 0
	s_mov_b32 s0, 0
	s_delay_alu instid0(VALU_DEP_3)
	v_mov_b32_e32 v2, v9
	s_waitcnt lgkmcnt(0)
	v_dual_mov_b32 v4, v10 :: v_dual_mov_b32 v3, s33
.LBB177_7:                              ; =>This Inner Loop Header: Depth=1
	s_delay_alu instid0(VALU_DEP_1) | instskip(NEXT) | instid1(VALU_DEP_3)
	v_add_nc_u32_e32 v4, 0x400, v4
	v_add_nc_u32_e32 v5, 0x20000, v2
	ds_store_b32 v2, v3
	v_add_nc_u32_e32 v2, 0x1000, v2
	v_cmp_lt_u32_e32 vcc_lo, 0x7bff, v4
	ds_store_b32 v5, v1
	s_or_b32 s0, vcc_lo, s0
	s_delay_alu instid0(SALU_CYCLE_1)
	s_and_not1_b32 exec_lo, exec_lo, s0
	s_cbranch_execnz .LBB177_7
; %bb.8:
	s_or_b32 exec_lo, exec_lo, s0
	s_waitcnt lgkmcnt(0)
	s_barrier
	buffer_gl0_inv
	s_load_b32 s0, s[36:37], 0x0
	s_mov_b32 s1, 0
	v_lshrrev_b32_e32 v12, 6, v0
	s_waitcnt lgkmcnt(0)
	s_add_i32 s0, s0, s15
	s_delay_alu instid0(SALU_CYCLE_1) | instskip(NEXT) | instid1(SALU_CYCLE_1)
	s_lshl_b64 s[0:1], s[0:1], 2
	s_add_u32 s0, s38, s0
	s_addc_u32 s1, s39, s1
	s_and_b32 vcc_lo, exec_lo, s13
	s_load_b32 s36, s[0:1], 0x0
	s_cbranch_vccz .LBB177_28
; %bb.9:
	s_waitcnt lgkmcnt(0)
	s_ashr_i32 s37, s36, 31
	s_delay_alu instid0(SALU_CYCLE_1) | instskip(NEXT) | instid1(SALU_CYCLE_1)
	s_lshl_b64 s[0:1], s[36:37], 3
	s_add_u32 s0, s4, s0
	s_addc_u32 s1, s5, s1
	v_sub_co_u32 v1, s4, v12, s24
	s_load_b128 s[0:3], s[0:1], 0x0
	v_sub_co_ci_u32_e64 v2, null, 0, 0, s4
	s_waitcnt lgkmcnt(0)
	s_delay_alu instid0(VALU_DEP_2) | instskip(NEXT) | instid1(VALU_DEP_2)
	v_add_co_u32 v1, vcc_lo, s0, v1
	v_add_co_ci_u32_e32 v2, vcc_lo, s1, v2, vcc_lo
	s_sub_u32 s0, s2, s24
	s_subb_u32 s1, s3, 0
	s_mov_b32 s2, exec_lo
	s_delay_alu instid0(VALU_DEP_1)
	v_cmpx_gt_i64_e64 s[0:1], v[1:2]
	s_cbranch_execz .LBB177_27
; %bb.10:
	v_and_b32_e32 v3, 63, v0
	s_mov_b32 s4, s25
	s_delay_alu instid0(VALU_DEP_1) | instskip(NEXT) | instid1(VALU_DEP_1)
	v_sub_co_u32 v14, s3, v3, s25
	v_sub_co_ci_u32_e64 v15, null, 0, 0, s3
	s_mov_b32 s3, 0
	s_branch .LBB177_12
.LBB177_11:                             ;   in Loop: Header=BB177_12 Depth=1
	s_or_b32 exec_lo, exec_lo, s5
	v_add_co_u32 v1, vcc_lo, v1, 16
	v_add_co_ci_u32_e32 v2, vcc_lo, 0, v2, vcc_lo
	s_delay_alu instid0(VALU_DEP_1) | instskip(SKIP_1) | instid1(SALU_CYCLE_1)
	v_cmp_le_i64_e32 vcc_lo, s[0:1], v[1:2]
	s_or_b32 s3, vcc_lo, s3
	s_and_not1_b32 exec_lo, exec_lo, s3
	s_cbranch_execz .LBB177_27
.LBB177_12:                             ; =>This Loop Header: Depth=1
                                        ;     Child Loop BB177_15 Depth 2
                                        ;       Child Loop BB177_17 Depth 3
	v_lshlrev_b64 v[7:8], 2, v[1:2]
	s_mov_b32 s5, exec_lo
	s_delay_alu instid0(VALU_DEP_1) | instskip(NEXT) | instid1(VALU_DEP_2)
	v_add_co_u32 v3, vcc_lo, s6, v7
	v_add_co_ci_u32_e32 v4, vcc_lo, s7, v8, vcc_lo
	global_load_b32 v3, v[3:4], off
	s_waitcnt vmcnt(0)
	v_subrev_nc_u32_e32 v3, s24, v3
	s_delay_alu instid0(VALU_DEP_1) | instskip(NEXT) | instid1(VALU_DEP_1)
	v_ashrrev_i32_e32 v4, 31, v3
	v_lshlrev_b64 v[3:4], 3, v[3:4]
	s_delay_alu instid0(VALU_DEP_1) | instskip(NEXT) | instid1(VALU_DEP_2)
	v_add_co_u32 v3, vcc_lo, s10, v3
	v_add_co_ci_u32_e32 v4, vcc_lo, s11, v4, vcc_lo
	global_load_b128 v[16:19], v[3:4], off
	s_waitcnt vmcnt(0)
	v_sub_co_u32 v3, vcc_lo, v18, s4
	v_subrev_co_ci_u32_e32 v4, vcc_lo, 0, v19, vcc_lo
	v_add_co_u32 v5, vcc_lo, v16, v14
	v_add_co_ci_u32_e32 v6, vcc_lo, v17, v15, vcc_lo
	s_delay_alu instid0(VALU_DEP_1)
	v_cmpx_lt_i64_e64 v[5:6], v[3:4]
	s_cbranch_execz .LBB177_11
; %bb.13:                               ;   in Loop: Header=BB177_12 Depth=1
	v_add_co_u32 v7, vcc_lo, s8, v7
	v_add_co_ci_u32_e32 v8, vcc_lo, s9, v8, vcc_lo
	s_mov_b32 s13, 0
	global_load_b32 v7, v[7:8], off
	s_waitcnt vmcnt(0)
	v_mul_f32_e32 v7, v13, v7
	s_branch .LBB177_15
.LBB177_14:                             ;   in Loop: Header=BB177_15 Depth=2
	s_or_b32 exec_lo, exec_lo, s14
	v_add_co_u32 v5, vcc_lo, v5, 64
	v_add_co_ci_u32_e32 v6, vcc_lo, 0, v6, vcc_lo
	s_delay_alu instid0(VALU_DEP_1) | instskip(SKIP_1) | instid1(SALU_CYCLE_1)
	v_cmp_ge_i64_e32 vcc_lo, v[5:6], v[3:4]
	s_or_b32 s13, vcc_lo, s13
	s_and_not1_b32 exec_lo, exec_lo, s13
	s_cbranch_execz .LBB177_11
.LBB177_15:                             ;   Parent Loop BB177_12 Depth=1
                                        ; =>  This Loop Header: Depth=2
                                        ;       Child Loop BB177_17 Depth 3
	v_lshlrev_b64 v[16:17], 2, v[5:6]
	s_mov_b32 s14, 0
	s_delay_alu instid0(VALU_DEP_1) | instskip(NEXT) | instid1(VALU_DEP_2)
	v_add_co_u32 v18, vcc_lo, s28, v16
	v_add_co_ci_u32_e32 v19, vcc_lo, s29, v17, vcc_lo
	v_add_co_u32 v16, vcc_lo, s30, v16
	v_add_co_ci_u32_e32 v17, vcc_lo, s31, v17, vcc_lo
	global_load_b32 v8, v[18:19], off
	global_load_b32 v16, v[16:17], off
	s_waitcnt vmcnt(1)
	v_subrev_nc_u32_e32 v8, s25, v8
	s_delay_alu instid0(VALU_DEP_1) | instskip(SKIP_1) | instid1(VALU_DEP_1)
	v_mul_lo_u32 v17, 0x89, v8
	s_waitcnt vmcnt(0)
	v_dual_mul_f32 v16, v7, v16 :: v_dual_and_b32 v17, 0x7fff, v17
	s_branch .LBB177_17
.LBB177_16:                             ;   in Loop: Header=BB177_17 Depth=3
	s_or_b32 exec_lo, exec_lo, s15
	s_xor_b32 s15, s37, -1
	s_delay_alu instid0(SALU_CYCLE_1) | instskip(NEXT) | instid1(SALU_CYCLE_1)
	s_and_b32 s15, exec_lo, s15
	s_or_b32 s14, s15, s14
	s_delay_alu instid0(SALU_CYCLE_1)
	s_and_not1_b32 exec_lo, exec_lo, s14
	s_cbranch_execz .LBB177_14
.LBB177_17:                             ;   Parent Loop BB177_12 Depth=1
                                        ;     Parent Loop BB177_15 Depth=2
                                        ; =>    This Inner Loop Header: Depth=3
	s_delay_alu instid0(VALU_DEP_1)
	v_lshl_add_u32 v18, v17, 2, 0
	s_mov_b32 s15, exec_lo
                                        ; implicit-def: $sgpr37
	ds_load_b32 v19, v18
	s_waitcnt lgkmcnt(0)
	v_cmpx_ne_u32_e64 v19, v8
	s_xor_b32 s15, exec_lo, s15
	s_cbranch_execz .LBB177_25
; %bb.18:                               ;   in Loop: Header=BB177_17 Depth=3
	s_mov_b32 s38, exec_lo
                                        ; implicit-def: $sgpr37
	v_cmpx_ne_u32_e64 s33, v19
	s_xor_b32 s38, exec_lo, s38
; %bb.19:                               ;   in Loop: Header=BB177_17 Depth=3
	v_add_nc_u32_e32 v17, 1, v17
	s_mov_b32 s37, -1
                                        ; implicit-def: $vgpr18
	s_delay_alu instid0(VALU_DEP_1)
	v_and_b32_e32 v17, 0x7fff, v17
; %bb.20:                               ;   in Loop: Header=BB177_17 Depth=3
	s_and_not1_saveexec_b32 s38, s38
	s_cbranch_execz .LBB177_24
; %bb.21:                               ;   in Loop: Header=BB177_17 Depth=3
	v_mov_b32_e32 v19, s33
	s_mov_b32 s39, -1
	s_mov_b32 s40, exec_lo
	ds_cmpstore_rtn_b32 v18, v18, v8, v19
	s_waitcnt lgkmcnt(0)
	v_cmpx_eq_u32_e64 s33, v18
	s_cbranch_execz .LBB177_23
; %bb.22:                               ;   in Loop: Header=BB177_17 Depth=3
	v_lshlrev_b32_e32 v18, 2, v17
	s_xor_b32 s39, exec_lo, -1
	s_delay_alu instid0(VALU_DEP_1)
	v_add3_u32 v18, 0, v18, 0x20000
	ds_add_f32 v18, v16
.LBB177_23:                             ;   in Loop: Header=BB177_17 Depth=3
	s_or_b32 exec_lo, exec_lo, s40
	s_delay_alu instid0(SALU_CYCLE_1) | instskip(SKIP_1) | instid1(SALU_CYCLE_1)
	s_and_not1_b32 s37, s37, exec_lo
	s_and_b32 s39, s39, exec_lo
	s_or_b32 s37, s37, s39
.LBB177_24:                             ;   in Loop: Header=BB177_17 Depth=3
	s_or_b32 exec_lo, exec_lo, s38
	s_delay_alu instid0(SALU_CYCLE_1)
	s_and_b32 s37, s37, exec_lo
.LBB177_25:                             ;   in Loop: Header=BB177_17 Depth=3
	s_and_not1_saveexec_b32 s15, s15
	s_cbranch_execz .LBB177_16
; %bb.26:                               ;   in Loop: Header=BB177_17 Depth=3
	v_lshlrev_b32_e32 v18, 2, v17
	s_and_not1_b32 s37, s37, exec_lo
	s_delay_alu instid0(VALU_DEP_1)
	v_add3_u32 v18, 0, v18, 0x20000
	ds_add_f32 v18, v16
	s_branch .LBB177_16
.LBB177_27:
	s_or_b32 exec_lo, exec_lo, s2
.LBB177_28:
	s_delay_alu instid0(SALU_CYCLE_1)
	s_and_not1_b32 vcc_lo, exec_lo, s12
	s_cbranch_vccnz .LBB177_31
; %bb.29:
	s_waitcnt lgkmcnt(0)
	s_ashr_i32 s37, s36, 31
	v_sub_co_u32 v1, s4, v0, s27
	s_lshl_b64 s[0:1], s[36:37], 3
	v_sub_co_ci_u32_e64 v2, null, 0, 0, s4
	s_add_u32 s0, s16, s0
	s_addc_u32 s1, s17, s1
	s_load_b128 s[0:3], s[0:1], 0x0
	s_waitcnt lgkmcnt(0)
	v_add_co_u32 v1, vcc_lo, s0, v1
	v_add_co_ci_u32_e32 v2, vcc_lo, s1, v2, vcc_lo
	s_sub_u32 s0, s2, s27
	s_subb_u32 s1, s3, 0
	s_mov_b32 s3, 0
	s_mov_b32 s2, exec_lo
	v_cmpx_gt_i64_e64 s[0:1], v[1:2]
	s_cbranch_execnz .LBB177_68
.LBB177_30:
	s_or_b32 exec_lo, exec_lo, s2
.LBB177_31:
	v_mbcnt_lo_u32_b32 v1, -1, 0
	v_lshlrev_b32_e32 v2, 2, v12
	s_add_i32 s31, 0, 0x4003c
	v_cmp_eq_u32_e32 vcc_lo, 0x3ff, v0
	v_cmp_lt_u32_e64 s0, 63, v0
	v_xor_b32_e32 v1, 63, v1
	v_add3_u32 v3, 0, 0x40000, v2
	v_cmp_lt_u32_e64 s1, 0x7f, v0
	v_cmp_lt_u32_e64 s2, 0xbf, v0
	;; [unrolled: 1-line block ×3, first 2 shown]
	v_lshrrev_b64 v[1:2], v1, -1
	v_cmp_lt_u32_e64 s4, 0x13f, v0
	v_cmp_lt_u32_e64 s5, 0x17f, v0
	;; [unrolled: 1-line block ×11, first 2 shown]
	v_mov_b32_e32 v2, 0
	v_mov_b32_e32 v4, s31
	s_mov_b32 s16, 0
	s_add_i32 s17, 0, 0x40000
	s_add_i32 s18, 0, 0x40004
	;; [unrolled: 1-line block ×15, first 2 shown]
	s_waitcnt lgkmcnt(0)
	s_barrier
	buffer_gl0_inv
	s_branch .LBB177_33
.LBB177_32:                             ;   in Loop: Header=BB177_33 Depth=1
	s_or_b32 exec_lo, exec_lo, s15
	s_waitcnt lgkmcnt(0)
	s_barrier
	buffer_gl0_inv
	ds_load_b32 v5, v4
	v_add_nc_u32_e32 v10, 0x400, v10
	v_add_nc_u32_e32 v9, 0x1000, v9
	s_delay_alu instid0(VALU_DEP_2) | instskip(NEXT) | instid1(VALU_DEP_1)
	v_cmp_lt_u32_e64 s15, 0x7bff, v10
	s_or_b32 s16, s15, s16
	s_waitcnt lgkmcnt(0)
	v_add_nc_u32_e32 v2, v5, v2
	s_and_not1_b32 exec_lo, exec_lo, s16
	s_cbranch_execz .LBB177_80
.LBB177_33:                             ; =>This Inner Loop Header: Depth=1
	ds_load_b32 v5, v9
	v_add_nc_u32_e32 v6, 0x20000, v9
	ds_load_b32 v6, v6
	s_waitcnt lgkmcnt(0)
	s_barrier
	buffer_gl0_inv
	v_cmp_gt_i32_e64 s15, s33, v5
	s_delay_alu instid0(VALU_DEP_1) | instskip(NEXT) | instid1(SALU_CYCLE_1)
	s_bcnt1_i32_b32 s41, s15
	v_dual_mov_b32 v8, s41 :: v_dual_and_b32 v7, s15, v1
	s_delay_alu instid0(VALU_DEP_1)
	v_bcnt_u32_b32 v7, v7, 0
	ds_store_b32 v3, v8
	s_waitcnt lgkmcnt(0)
	s_barrier
	buffer_gl0_inv
	s_and_saveexec_b32 s41, s0
	s_cbranch_execnz .LBB177_50
; %bb.34:                               ;   in Loop: Header=BB177_33 Depth=1
	s_or_b32 exec_lo, exec_lo, s41
	s_and_saveexec_b32 s41, s1
	s_cbranch_execnz .LBB177_51
.LBB177_35:                             ;   in Loop: Header=BB177_33 Depth=1
	s_or_b32 exec_lo, exec_lo, s41
	s_and_saveexec_b32 s41, s2
	s_cbranch_execnz .LBB177_52
.LBB177_36:                             ;   in Loop: Header=BB177_33 Depth=1
	s_or_b32 exec_lo, exec_lo, s41
	s_and_saveexec_b32 s41, s3
	s_cbranch_execnz .LBB177_53
.LBB177_37:                             ;   in Loop: Header=BB177_33 Depth=1
	s_or_b32 exec_lo, exec_lo, s41
	s_and_saveexec_b32 s41, s4
	s_cbranch_execnz .LBB177_54
.LBB177_38:                             ;   in Loop: Header=BB177_33 Depth=1
	s_or_b32 exec_lo, exec_lo, s41
	s_and_saveexec_b32 s41, s5
	s_cbranch_execnz .LBB177_55
.LBB177_39:                             ;   in Loop: Header=BB177_33 Depth=1
	s_or_b32 exec_lo, exec_lo, s41
	s_and_saveexec_b32 s41, s6
	s_cbranch_execnz .LBB177_56
.LBB177_40:                             ;   in Loop: Header=BB177_33 Depth=1
	s_or_b32 exec_lo, exec_lo, s41
	s_and_saveexec_b32 s41, s7
	s_cbranch_execnz .LBB177_57
.LBB177_41:                             ;   in Loop: Header=BB177_33 Depth=1
	s_or_b32 exec_lo, exec_lo, s41
	s_and_saveexec_b32 s41, s8
	s_cbranch_execnz .LBB177_58
.LBB177_42:                             ;   in Loop: Header=BB177_33 Depth=1
	s_or_b32 exec_lo, exec_lo, s41
	s_and_saveexec_b32 s41, s9
	s_cbranch_execnz .LBB177_59
.LBB177_43:                             ;   in Loop: Header=BB177_33 Depth=1
	s_or_b32 exec_lo, exec_lo, s41
	s_and_saveexec_b32 s41, s10
	s_cbranch_execnz .LBB177_60
.LBB177_44:                             ;   in Loop: Header=BB177_33 Depth=1
	s_or_b32 exec_lo, exec_lo, s41
	s_and_saveexec_b32 s41, s11
	s_cbranch_execnz .LBB177_61
.LBB177_45:                             ;   in Loop: Header=BB177_33 Depth=1
	s_or_b32 exec_lo, exec_lo, s41
	s_and_saveexec_b32 s41, s12
	s_cbranch_execnz .LBB177_62
.LBB177_46:                             ;   in Loop: Header=BB177_33 Depth=1
	s_or_b32 exec_lo, exec_lo, s41
	s_and_saveexec_b32 s41, s13
	s_cbranch_execnz .LBB177_63
.LBB177_47:                             ;   in Loop: Header=BB177_33 Depth=1
	s_or_b32 exec_lo, exec_lo, s41
	s_and_saveexec_b32 s41, s14
	s_cbranch_execnz .LBB177_64
.LBB177_48:                             ;   in Loop: Header=BB177_33 Depth=1
	s_or_b32 exec_lo, exec_lo, s41
	s_and_saveexec_b32 s41, s15
	s_cbranch_execnz .LBB177_65
.LBB177_49:                             ;   in Loop: Header=BB177_33 Depth=1
	s_or_b32 exec_lo, exec_lo, s41
	s_and_saveexec_b32 s15, vcc_lo
	s_cbranch_execz .LBB177_32
	s_branch .LBB177_66
.LBB177_50:                             ;   in Loop: Header=BB177_33 Depth=1
	v_mov_b32_e32 v8, s17
	ds_load_b32 v8, v8
	s_waitcnt lgkmcnt(0)
	v_add_nc_u32_e32 v7, v8, v7
	s_or_b32 exec_lo, exec_lo, s41
	s_and_saveexec_b32 s41, s1
	s_cbranch_execz .LBB177_35
.LBB177_51:                             ;   in Loop: Header=BB177_33 Depth=1
	v_mov_b32_e32 v8, s18
	ds_load_b32 v8, v8
	s_waitcnt lgkmcnt(0)
	v_add_nc_u32_e32 v7, v8, v7
	s_or_b32 exec_lo, exec_lo, s41
	s_and_saveexec_b32 s41, s2
	s_cbranch_execz .LBB177_36
.LBB177_52:                             ;   in Loop: Header=BB177_33 Depth=1
	v_mov_b32_e32 v8, s19
	ds_load_b32 v8, v8
	s_waitcnt lgkmcnt(0)
	v_add_nc_u32_e32 v7, v8, v7
	s_or_b32 exec_lo, exec_lo, s41
	s_and_saveexec_b32 s41, s3
	s_cbranch_execz .LBB177_37
.LBB177_53:                             ;   in Loop: Header=BB177_33 Depth=1
	v_mov_b32_e32 v8, s20
	ds_load_b32 v8, v8
	s_waitcnt lgkmcnt(0)
	v_add_nc_u32_e32 v7, v8, v7
	s_or_b32 exec_lo, exec_lo, s41
	s_and_saveexec_b32 s41, s4
	s_cbranch_execz .LBB177_38
.LBB177_54:                             ;   in Loop: Header=BB177_33 Depth=1
	v_mov_b32_e32 v8, s21
	ds_load_b32 v8, v8
	s_waitcnt lgkmcnt(0)
	v_add_nc_u32_e32 v7, v8, v7
	s_or_b32 exec_lo, exec_lo, s41
	s_and_saveexec_b32 s41, s5
	s_cbranch_execz .LBB177_39
.LBB177_55:                             ;   in Loop: Header=BB177_33 Depth=1
	v_mov_b32_e32 v8, s24
	ds_load_b32 v8, v8
	s_waitcnt lgkmcnt(0)
	v_add_nc_u32_e32 v7, v8, v7
	s_or_b32 exec_lo, exec_lo, s41
	s_and_saveexec_b32 s41, s6
	s_cbranch_execz .LBB177_40
.LBB177_56:                             ;   in Loop: Header=BB177_33 Depth=1
	v_mov_b32_e32 v8, s25
	ds_load_b32 v8, v8
	s_waitcnt lgkmcnt(0)
	v_add_nc_u32_e32 v7, v8, v7
	s_or_b32 exec_lo, exec_lo, s41
	s_and_saveexec_b32 s41, s7
	s_cbranch_execz .LBB177_41
.LBB177_57:                             ;   in Loop: Header=BB177_33 Depth=1
	v_mov_b32_e32 v8, s27
	ds_load_b32 v8, v8
	s_waitcnt lgkmcnt(0)
	v_add_nc_u32_e32 v7, v8, v7
	s_or_b32 exec_lo, exec_lo, s41
	s_and_saveexec_b32 s41, s8
	s_cbranch_execz .LBB177_42
.LBB177_58:                             ;   in Loop: Header=BB177_33 Depth=1
	v_mov_b32_e32 v8, s28
	ds_load_b32 v8, v8
	s_waitcnt lgkmcnt(0)
	v_add_nc_u32_e32 v7, v8, v7
	s_or_b32 exec_lo, exec_lo, s41
	s_and_saveexec_b32 s41, s9
	s_cbranch_execz .LBB177_43
.LBB177_59:                             ;   in Loop: Header=BB177_33 Depth=1
	v_mov_b32_e32 v8, s29
	ds_load_b32 v8, v8
	s_waitcnt lgkmcnt(0)
	v_add_nc_u32_e32 v7, v8, v7
	s_or_b32 exec_lo, exec_lo, s41
	s_and_saveexec_b32 s41, s10
	s_cbranch_execz .LBB177_44
.LBB177_60:                             ;   in Loop: Header=BB177_33 Depth=1
	v_mov_b32_e32 v8, s30
	ds_load_b32 v8, v8
	s_waitcnt lgkmcnt(0)
	v_add_nc_u32_e32 v7, v8, v7
	s_or_b32 exec_lo, exec_lo, s41
	s_and_saveexec_b32 s41, s11
	s_cbranch_execz .LBB177_45
.LBB177_61:                             ;   in Loop: Header=BB177_33 Depth=1
	v_mov_b32_e32 v8, s37
	ds_load_b32 v8, v8
	s_waitcnt lgkmcnt(0)
	v_add_nc_u32_e32 v7, v8, v7
	s_or_b32 exec_lo, exec_lo, s41
	s_and_saveexec_b32 s41, s12
	s_cbranch_execz .LBB177_46
.LBB177_62:                             ;   in Loop: Header=BB177_33 Depth=1
	v_mov_b32_e32 v8, s38
	ds_load_b32 v8, v8
	s_waitcnt lgkmcnt(0)
	v_add_nc_u32_e32 v7, v8, v7
	s_or_b32 exec_lo, exec_lo, s41
	s_and_saveexec_b32 s41, s13
	s_cbranch_execz .LBB177_47
.LBB177_63:                             ;   in Loop: Header=BB177_33 Depth=1
	v_mov_b32_e32 v8, s39
	ds_load_b32 v8, v8
	s_waitcnt lgkmcnt(0)
	v_add_nc_u32_e32 v7, v8, v7
	s_or_b32 exec_lo, exec_lo, s41
	s_and_saveexec_b32 s41, s14
	s_cbranch_execz .LBB177_48
.LBB177_64:                             ;   in Loop: Header=BB177_33 Depth=1
	v_mov_b32_e32 v8, s40
	ds_load_b32 v8, v8
	s_waitcnt lgkmcnt(0)
	v_add_nc_u32_e32 v7, v8, v7
	s_or_b32 exec_lo, exec_lo, s41
	s_and_saveexec_b32 s41, s15
	s_cbranch_execz .LBB177_49
.LBB177_65:                             ;   in Loop: Header=BB177_33 Depth=1
	s_delay_alu instid0(VALU_DEP_1) | instskip(NEXT) | instid1(VALU_DEP_1)
	v_add3_u32 v8, v2, -1, v7
	v_lshl_add_u32 v8, v8, 2, 0
	s_delay_alu instid0(VALU_DEP_1)
	v_add_nc_u32_e32 v11, 0x20000, v8
	ds_store_b32 v8, v5
	ds_store_b32 v11, v6
	s_or_b32 exec_lo, exec_lo, s41
	s_and_saveexec_b32 s15, vcc_lo
	s_cbranch_execz .LBB177_32
.LBB177_66:                             ;   in Loop: Header=BB177_33 Depth=1
	v_mov_b32_e32 v5, s31
	ds_store_b32 v5, v7
	s_branch .LBB177_32
.LBB177_67:                             ;   in Loop: Header=BB177_68 Depth=1
	s_or_b32 exec_lo, exec_lo, s4
	v_add_co_u32 v1, vcc_lo, 0x400, v1
	v_add_co_ci_u32_e32 v2, vcc_lo, 0, v2, vcc_lo
	s_delay_alu instid0(VALU_DEP_1) | instskip(SKIP_1) | instid1(SALU_CYCLE_1)
	v_cmp_le_i64_e32 vcc_lo, s[0:1], v[1:2]
	s_or_b32 s3, vcc_lo, s3
	s_and_not1_b32 exec_lo, exec_lo, s3
	s_cbranch_execz .LBB177_30
.LBB177_68:                             ; =>This Loop Header: Depth=1
                                        ;     Child Loop BB177_70 Depth 2
	v_lshlrev_b64 v[3:4], 2, v[1:2]
	s_mov_b32 s4, 0
	s_delay_alu instid0(VALU_DEP_1) | instskip(NEXT) | instid1(VALU_DEP_2)
	v_add_co_u32 v5, vcc_lo, s18, v3
	v_add_co_ci_u32_e32 v6, vcc_lo, s19, v4, vcc_lo
	v_add_co_u32 v3, vcc_lo, s20, v3
	v_add_co_ci_u32_e32 v4, vcc_lo, s21, v4, vcc_lo
	global_load_b32 v5, v[5:6], off
	global_load_b32 v4, v[3:4], off
	s_waitcnt vmcnt(1)
	v_subrev_nc_u32_e32 v3, s27, v5
	s_delay_alu instid0(VALU_DEP_1) | instskip(SKIP_1) | instid1(VALU_DEP_1)
	v_mul_lo_u32 v5, 0x89, v3
	s_waitcnt vmcnt(0)
	v_dual_mul_f32 v4, v11, v4 :: v_dual_and_b32 v5, 0x7fff, v5
	s_branch .LBB177_70
.LBB177_69:                             ;   in Loop: Header=BB177_70 Depth=2
	s_or_b32 exec_lo, exec_lo, s5
	s_xor_b32 s5, s6, -1
	s_delay_alu instid0(SALU_CYCLE_1) | instskip(NEXT) | instid1(SALU_CYCLE_1)
	s_and_b32 s5, exec_lo, s5
	s_or_b32 s4, s5, s4
	s_delay_alu instid0(SALU_CYCLE_1)
	s_and_not1_b32 exec_lo, exec_lo, s4
	s_cbranch_execz .LBB177_67
.LBB177_70:                             ;   Parent Loop BB177_68 Depth=1
                                        ; =>  This Inner Loop Header: Depth=2
	s_delay_alu instid0(VALU_DEP_1)
	v_lshl_add_u32 v6, v5, 2, 0
	s_mov_b32 s5, exec_lo
                                        ; implicit-def: $sgpr6
	ds_load_b32 v7, v6
	s_waitcnt lgkmcnt(0)
	v_cmpx_ne_u32_e64 v7, v3
	s_xor_b32 s5, exec_lo, s5
	s_cbranch_execz .LBB177_78
; %bb.71:                               ;   in Loop: Header=BB177_70 Depth=2
	s_mov_b32 s7, exec_lo
                                        ; implicit-def: $sgpr6
	v_cmpx_ne_u32_e64 s33, v7
	s_xor_b32 s7, exec_lo, s7
; %bb.72:                               ;   in Loop: Header=BB177_70 Depth=2
	v_add_nc_u32_e32 v5, 1, v5
	s_mov_b32 s6, -1
                                        ; implicit-def: $vgpr6
	s_delay_alu instid0(VALU_DEP_1)
	v_and_b32_e32 v5, 0x7fff, v5
; %bb.73:                               ;   in Loop: Header=BB177_70 Depth=2
	s_and_not1_saveexec_b32 s7, s7
	s_cbranch_execz .LBB177_77
; %bb.74:                               ;   in Loop: Header=BB177_70 Depth=2
	v_mov_b32_e32 v7, s33
	s_mov_b32 s8, -1
	s_mov_b32 s9, exec_lo
	ds_cmpstore_rtn_b32 v6, v6, v3, v7
	s_waitcnt lgkmcnt(0)
	v_cmpx_eq_u32_e64 s33, v6
	s_cbranch_execz .LBB177_76
; %bb.75:                               ;   in Loop: Header=BB177_70 Depth=2
	v_lshlrev_b32_e32 v6, 2, v5
	s_xor_b32 s8, exec_lo, -1
	s_delay_alu instid0(VALU_DEP_1)
	v_add3_u32 v6, 0, v6, 0x20000
	ds_add_f32 v6, v4
.LBB177_76:                             ;   in Loop: Header=BB177_70 Depth=2
	s_or_b32 exec_lo, exec_lo, s9
	s_delay_alu instid0(SALU_CYCLE_1) | instskip(SKIP_1) | instid1(SALU_CYCLE_1)
	s_and_not1_b32 s6, s6, exec_lo
	s_and_b32 s8, s8, exec_lo
	s_or_b32 s6, s6, s8
.LBB177_77:                             ;   in Loop: Header=BB177_70 Depth=2
	s_or_b32 exec_lo, exec_lo, s7
	s_delay_alu instid0(SALU_CYCLE_1)
	s_and_b32 s6, s6, exec_lo
.LBB177_78:                             ;   in Loop: Header=BB177_70 Depth=2
	s_and_not1_saveexec_b32 s5, s5
	s_cbranch_execz .LBB177_69
; %bb.79:                               ;   in Loop: Header=BB177_70 Depth=2
	v_lshlrev_b32_e32 v6, 2, v5
	s_and_not1_b32 s6, s6, exec_lo
	s_delay_alu instid0(VALU_DEP_1)
	v_add3_u32 v6, 0, v6, 0x20000
	ds_add_f32 v6, v4
	s_branch .LBB177_69
.LBB177_80:
	s_or_b32 exec_lo, exec_lo, s16
	s_ashr_i32 s37, s36, 31
	s_mov_b32 s4, exec_lo
	s_lshl_b64 s[0:1], s[36:37], 3
	s_delay_alu instid0(SALU_CYCLE_1) | instskip(SKIP_4) | instid1(SALU_CYCLE_1)
	s_add_u32 s0, s22, s0
	s_addc_u32 s1, s23, s1
	s_load_b128 s[0:3], s[0:1], 0x0
	s_waitcnt lgkmcnt(0)
	s_sub_i32 s3, s2, s0
	v_cmpx_gt_i32_e64 s3, v0
	s_cbranch_execz .LBB177_90
; %bb.81:
	s_sub_u32 s4, s0, s26
	s_subb_u32 s5, s1, 0
	s_sub_i32 s0, s0, s2
	s_and_b32 s1, s3, 7
	s_cmp_lt_u32 s0, -7
	s_mov_b32 s8, 0
	s_cselect_b32 s2, -1, 0
	s_and_b32 s6, s3, -8
	s_cmp_lg_u32 s1, 0
	s_cselect_b32 s7, -1, 0
	s_branch .LBB177_83
.LBB177_82:                             ;   in Loop: Header=BB177_83 Depth=1
	s_delay_alu instid0(VALU_DEP_1) | instskip(SKIP_1) | instid1(VALU_DEP_1)
	v_lshlrev_b64 v[1:2], 2, v[1:2]
	v_add_nc_u32_e32 v0, 0x400, v0
	v_cmp_le_i32_e32 vcc_lo, s3, v0
	s_delay_alu instid0(VALU_DEP_3) | instskip(NEXT) | instid1(VALU_DEP_1)
	v_add_co_u32 v1, s0, s34, v1
	v_add_co_ci_u32_e64 v2, s0, s35, v2, s0
	s_or_b32 s8, vcc_lo, s8
	s_waitcnt lgkmcnt(0)
	global_store_b32 v[1:2], v3, off
	s_and_not1_b32 exec_lo, exec_lo, s8
	s_cbranch_execz .LBB177_90
.LBB177_83:                             ; =>This Loop Header: Depth=1
                                        ;     Child Loop BB177_85 Depth 2
                                        ;     Child Loop BB177_89 Depth 2
	v_lshl_add_u32 v1, v0, 2, 0
	s_and_not1_b32 vcc_lo, exec_lo, s2
	s_mov_b32 s0, 0
	s_delay_alu instid0(VALU_DEP_1)
	v_add_nc_u32_e32 v2, 0x20000, v1
	ds_load_b32 v4, v1
	ds_load_b32 v3, v2
	v_dual_mov_b32 v1, s4 :: v_dual_mov_b32 v2, s5
	s_cbranch_vccnz .LBB177_87
; %bb.84:                               ;   in Loop: Header=BB177_83 Depth=1
	v_dual_mov_b32 v1, s4 :: v_dual_mov_b32 v2, s5
	s_mov_b32 s9, 0
	s_mov_b32 s10, 0
.LBB177_85:                             ;   Parent Loop BB177_83 Depth=1
                                        ; =>  This Inner Loop Header: Depth=2
	s_delay_alu instid0(SALU_CYCLE_1)
	v_mov_b32_e32 v11, s10
	s_add_i32 s9, s9, 8
	s_add_i32 s10, s10, 32
	s_cmp_eq_u32 s6, s9
	ds_load_2addr_b32 v[5:6], v11 offset1:1
	ds_load_2addr_b32 v[7:8], v11 offset0:2 offset1:3
	ds_load_2addr_b32 v[9:10], v11 offset0:4 offset1:5
	;; [unrolled: 1-line block ×3, first 2 shown]
	s_waitcnt lgkmcnt(3)
	v_cmp_gt_i32_e32 vcc_lo, v4, v5
	v_cndmask_b32_e64 v5, 0, 1, vcc_lo
	v_cmp_gt_i32_e32 vcc_lo, v4, v6
	v_cndmask_b32_e64 v6, 0, 1, vcc_lo
	s_waitcnt lgkmcnt(2)
	v_cmp_gt_i32_e32 vcc_lo, v4, v7
	v_cndmask_b32_e64 v7, 0, 1, vcc_lo
	v_cmp_gt_i32_e32 vcc_lo, v4, v8
	v_cndmask_b32_e64 v8, 0, 1, vcc_lo
	s_waitcnt lgkmcnt(1)
	v_cmp_gt_i32_e32 vcc_lo, v4, v9
	v_cndmask_b32_e64 v9, 0, 1, vcc_lo
	v_add_co_u32 v1, vcc_lo, v1, v5
	v_add_co_ci_u32_e32 v2, vcc_lo, 0, v2, vcc_lo
	v_cmp_gt_i32_e32 vcc_lo, v4, v10
	s_delay_alu instid0(VALU_DEP_3) | instskip(NEXT) | instid1(VALU_DEP_1)
	v_add_co_u32 v1, s0, v1, v6
	v_add_co_ci_u32_e64 v2, s0, 0, v2, s0
	v_cndmask_b32_e64 v5, 0, 1, vcc_lo
	s_delay_alu instid0(VALU_DEP_3) | instskip(NEXT) | instid1(VALU_DEP_3)
	v_add_co_u32 v1, vcc_lo, v1, v7
	v_add_co_ci_u32_e32 v2, vcc_lo, 0, v2, vcc_lo
	s_waitcnt lgkmcnt(0)
	v_cmp_gt_i32_e32 vcc_lo, v4, v11
	s_delay_alu instid0(VALU_DEP_3) | instskip(NEXT) | instid1(VALU_DEP_1)
	v_add_co_u32 v1, s0, v1, v8
	v_add_co_ci_u32_e64 v2, s0, 0, v2, s0
	v_cndmask_b32_e64 v6, 0, 1, vcc_lo
	s_delay_alu instid0(VALU_DEP_3) | instskip(NEXT) | instid1(VALU_DEP_3)
	v_add_co_u32 v1, vcc_lo, v1, v9
	v_add_co_ci_u32_e32 v2, vcc_lo, 0, v2, vcc_lo
	v_cmp_gt_i32_e32 vcc_lo, v4, v12
	s_delay_alu instid0(VALU_DEP_3) | instskip(NEXT) | instid1(VALU_DEP_1)
	v_add_co_u32 v1, s0, v1, v5
	v_add_co_ci_u32_e64 v2, s0, 0, v2, s0
	v_cndmask_b32_e64 v5, 0, 1, vcc_lo
	s_delay_alu instid0(VALU_DEP_3) | instskip(NEXT) | instid1(VALU_DEP_3)
	v_add_co_u32 v1, vcc_lo, v1, v6
	v_add_co_ci_u32_e32 v2, vcc_lo, 0, v2, vcc_lo
	s_delay_alu instid0(VALU_DEP_2) | instskip(NEXT) | instid1(VALU_DEP_2)
	v_add_co_u32 v1, vcc_lo, v1, v5
	v_add_co_ci_u32_e32 v2, vcc_lo, 0, v2, vcc_lo
	s_cbranch_scc0 .LBB177_85
; %bb.86:                               ;   in Loop: Header=BB177_83 Depth=1
	s_mov_b32 s0, s6
.LBB177_87:                             ;   in Loop: Header=BB177_83 Depth=1
	s_and_not1_b32 vcc_lo, exec_lo, s7
	s_cbranch_vccnz .LBB177_82
; %bb.88:                               ;   in Loop: Header=BB177_83 Depth=1
	s_lshl_b32 s0, s0, 2
	s_mov_b32 s9, s1
	s_add_i32 s0, s0, 0
.LBB177_89:                             ;   Parent Loop BB177_83 Depth=1
                                        ; =>  This Inner Loop Header: Depth=2
	s_delay_alu instid0(SALU_CYCLE_1)
	v_mov_b32_e32 v5, s0
	s_add_i32 s9, s9, -1
	s_add_i32 s0, s0, 4
	s_cmp_lg_u32 s9, 0
	ds_load_b32 v5, v5
	s_waitcnt lgkmcnt(0)
	v_cmp_gt_i32_e32 vcc_lo, v4, v5
	v_cndmask_b32_e64 v5, 0, 1, vcc_lo
	s_delay_alu instid0(VALU_DEP_1)
	v_add_co_u32 v1, vcc_lo, v1, v5
	v_add_co_ci_u32_e32 v2, vcc_lo, 0, v2, vcc_lo
	s_cbranch_scc1 .LBB177_89
	s_branch .LBB177_82
.LBB177_90:
	s_nop 0
	s_sendmsg sendmsg(MSG_DEALLOC_VGPRS)
	s_endpgm
	.section	.rodata,"a",@progbits
	.p2align	6, 0x0
	.amdhsa_kernel _ZN9rocsparseL41csrgemm_numeric_fill_block_per_row_kernelILj1024ELj64ELj32768ELj137ELj64ElifEEvT5_PKS1_S3_NS_24const_host_device_scalarIT6_EEPKT4_S3_PKS5_S9_S3_SB_S6_S9_S3_SB_S9_S3_PS5_21rocsparse_index_base_SD_SD_SD_bbb
		.amdhsa_group_segment_fixed_size 0
		.amdhsa_private_segment_fixed_size 0
		.amdhsa_kernarg_size 156
		.amdhsa_user_sgpr_count 15
		.amdhsa_user_sgpr_dispatch_ptr 0
		.amdhsa_user_sgpr_queue_ptr 0
		.amdhsa_user_sgpr_kernarg_segment_ptr 1
		.amdhsa_user_sgpr_dispatch_id 0
		.amdhsa_user_sgpr_private_segment_size 0
		.amdhsa_wavefront_size32 1
		.amdhsa_uses_dynamic_stack 0
		.amdhsa_enable_private_segment 0
		.amdhsa_system_sgpr_workgroup_id_x 1
		.amdhsa_system_sgpr_workgroup_id_y 0
		.amdhsa_system_sgpr_workgroup_id_z 0
		.amdhsa_system_sgpr_workgroup_info 0
		.amdhsa_system_vgpr_workitem_id 0
		.amdhsa_next_free_vgpr 20
		.amdhsa_next_free_sgpr 42
		.amdhsa_reserve_vcc 1
		.amdhsa_float_round_mode_32 0
		.amdhsa_float_round_mode_16_64 0
		.amdhsa_float_denorm_mode_32 3
		.amdhsa_float_denorm_mode_16_64 3
		.amdhsa_dx10_clamp 1
		.amdhsa_ieee_mode 1
		.amdhsa_fp16_overflow 0
		.amdhsa_workgroup_processor_mode 1
		.amdhsa_memory_ordered 1
		.amdhsa_forward_progress 0
		.amdhsa_shared_vgpr_count 0
		.amdhsa_exception_fp_ieee_invalid_op 0
		.amdhsa_exception_fp_denorm_src 0
		.amdhsa_exception_fp_ieee_div_zero 0
		.amdhsa_exception_fp_ieee_overflow 0
		.amdhsa_exception_fp_ieee_underflow 0
		.amdhsa_exception_fp_ieee_inexact 0
		.amdhsa_exception_int_div_zero 0
	.end_amdhsa_kernel
	.section	.text._ZN9rocsparseL41csrgemm_numeric_fill_block_per_row_kernelILj1024ELj64ELj32768ELj137ELj64ElifEEvT5_PKS1_S3_NS_24const_host_device_scalarIT6_EEPKT4_S3_PKS5_S9_S3_SB_S6_S9_S3_SB_S9_S3_PS5_21rocsparse_index_base_SD_SD_SD_bbb,"axG",@progbits,_ZN9rocsparseL41csrgemm_numeric_fill_block_per_row_kernelILj1024ELj64ELj32768ELj137ELj64ElifEEvT5_PKS1_S3_NS_24const_host_device_scalarIT6_EEPKT4_S3_PKS5_S9_S3_SB_S6_S9_S3_SB_S9_S3_PS5_21rocsparse_index_base_SD_SD_SD_bbb,comdat
.Lfunc_end177:
	.size	_ZN9rocsparseL41csrgemm_numeric_fill_block_per_row_kernelILj1024ELj64ELj32768ELj137ELj64ElifEEvT5_PKS1_S3_NS_24const_host_device_scalarIT6_EEPKT4_S3_PKS5_S9_S3_SB_S6_S9_S3_SB_S9_S3_PS5_21rocsparse_index_base_SD_SD_SD_bbb, .Lfunc_end177-_ZN9rocsparseL41csrgemm_numeric_fill_block_per_row_kernelILj1024ELj64ELj32768ELj137ELj64ElifEEvT5_PKS1_S3_NS_24const_host_device_scalarIT6_EEPKT4_S3_PKS5_S9_S3_SB_S6_S9_S3_SB_S9_S3_PS5_21rocsparse_index_base_SD_SD_SD_bbb
                                        ; -- End function
	.section	.AMDGPU.csdata,"",@progbits
; Kernel info:
; codeLenInByte = 3616
; NumSgprs: 44
; NumVgprs: 20
; ScratchSize: 0
; MemoryBound: 0
; FloatMode: 240
; IeeeMode: 1
; LDSByteSize: 0 bytes/workgroup (compile time only)
; SGPRBlocks: 5
; VGPRBlocks: 2
; NumSGPRsForWavesPerEU: 44
; NumVGPRsForWavesPerEU: 20
; Occupancy: 16
; WaveLimiterHint : 1
; COMPUTE_PGM_RSRC2:SCRATCH_EN: 0
; COMPUTE_PGM_RSRC2:USER_SGPR: 15
; COMPUTE_PGM_RSRC2:TRAP_HANDLER: 0
; COMPUTE_PGM_RSRC2:TGID_X_EN: 1
; COMPUTE_PGM_RSRC2:TGID_Y_EN: 0
; COMPUTE_PGM_RSRC2:TGID_Z_EN: 0
; COMPUTE_PGM_RSRC2:TIDIG_COMP_CNT: 0
	.section	.text._ZN9rocsparseL51csrgemm_numeric_fill_block_per_row_multipass_kernelILj512ELj16ELj2048ELj32ElifEEvT4_PKS1_S3_NS_24const_host_device_scalarIT5_EEPKT3_S3_PKS5_S9_S3_SB_S6_S9_S3_SB_S9_S3_PS5_PS7_21rocsparse_index_base_SE_SE_SE_bbb,"axG",@progbits,_ZN9rocsparseL51csrgemm_numeric_fill_block_per_row_multipass_kernelILj512ELj16ELj2048ELj32ElifEEvT4_PKS1_S3_NS_24const_host_device_scalarIT5_EEPKT3_S3_PKS5_S9_S3_SB_S6_S9_S3_SB_S9_S3_PS5_PS7_21rocsparse_index_base_SE_SE_SE_bbb,comdat
	.globl	_ZN9rocsparseL51csrgemm_numeric_fill_block_per_row_multipass_kernelILj512ELj16ELj2048ELj32ElifEEvT4_PKS1_S3_NS_24const_host_device_scalarIT5_EEPKT3_S3_PKS5_S9_S3_SB_S6_S9_S3_SB_S9_S3_PS5_PS7_21rocsparse_index_base_SE_SE_SE_bbb ; -- Begin function _ZN9rocsparseL51csrgemm_numeric_fill_block_per_row_multipass_kernelILj512ELj16ELj2048ELj32ElifEEvT4_PKS1_S3_NS_24const_host_device_scalarIT5_EEPKT3_S3_PKS5_S9_S3_SB_S6_S9_S3_SB_S9_S3_PS5_PS7_21rocsparse_index_base_SE_SE_SE_bbb
	.p2align	8
	.type	_ZN9rocsparseL51csrgemm_numeric_fill_block_per_row_multipass_kernelILj512ELj16ELj2048ELj32ElifEEvT4_PKS1_S3_NS_24const_host_device_scalarIT5_EEPKT3_S3_PKS5_S9_S3_SB_S6_S9_S3_SB_S9_S3_PS5_PS7_21rocsparse_index_base_SE_SE_SE_bbb,@function
_ZN9rocsparseL51csrgemm_numeric_fill_block_per_row_multipass_kernelILj512ELj16ELj2048ELj32ElifEEvT4_PKS1_S3_NS_24const_host_device_scalarIT5_EEPKT3_S3_PKS5_S9_S3_SB_S6_S9_S3_SB_S9_S3_PS5_PS7_21rocsparse_index_base_SE_SE_SE_bbb: ; @_ZN9rocsparseL51csrgemm_numeric_fill_block_per_row_multipass_kernelILj512ELj16ELj2048ELj32ElifEEvT4_PKS1_S3_NS_24const_host_device_scalarIT5_EEPKT3_S3_PKS5_S9_S3_SB_S6_S9_S3_SB_S9_S3_PS5_PS7_21rocsparse_index_base_SE_SE_SE_bbb
; %bb.0:
	s_clause 0x4
	s_load_b32 s10, s[0:1], 0xa0
	s_load_b128 s[4:7], s[0:1], 0x8
	s_load_b64 s[8:9], s[0:1], 0x18
	s_load_b128 s[28:31], s[0:1], 0x90
	s_load_b64 s[2:3], s[0:1], 0x50
	s_waitcnt lgkmcnt(0)
	s_bitcmp1_b32 s10, 0
	s_cselect_b32 s18, -1, 0
	s_bitcmp1_b32 s10, 16
	s_cselect_b32 s11, -1, 0
	s_xor_b32 s12, s18, -1
	s_delay_alu instid0(SALU_CYCLE_1) | instskip(NEXT) | instid1(SALU_CYCLE_1)
	s_or_b32 s12, s12, s11
	s_and_b32 vcc_lo, exec_lo, s12
	s_cbranch_vccnz .LBB178_2
; %bb.1:
	s_load_b32 s8, s[8:9], 0x0
	s_waitcnt lgkmcnt(0)
	v_mov_b32_e32 v24, s8
	s_branch .LBB178_3
.LBB178_2:
	v_cndmask_b32_e64 v24, 0, s8, s18
.LBB178_3:
	s_load_b64 s[8:9], s[0:1], 0x20
	s_bitcmp1_b32 s10, 8
	s_cselect_b32 s33, -1, 0
	s_delay_alu instid0(SALU_CYCLE_1) | instskip(NEXT) | instid1(SALU_CYCLE_1)
	s_xor_b32 s10, s33, -1
	s_or_b32 s10, s10, s11
	s_delay_alu instid0(SALU_CYCLE_1)
	s_and_b32 vcc_lo, exec_lo, s10
	s_cbranch_vccnz .LBB178_5
; %bb.4:
	s_load_b32 s2, s[2:3], 0x0
	s_waitcnt lgkmcnt(0)
	v_mov_b32_e32 v25, s2
	s_branch .LBB178_6
.LBB178_5:
	v_cndmask_b32_e64 v25, 0, s2, s33
.LBB178_6:
	s_load_b32 s2, s[4:5], 0x0
	s_mov_b32 s3, 0
	s_mov_b64 s[34:35], 0
	s_waitcnt lgkmcnt(0)
	s_add_i32 s2, s2, s15
	s_delay_alu instid0(SALU_CYCLE_1) | instskip(NEXT) | instid1(SALU_CYCLE_1)
	s_lshl_b64 s[2:3], s[2:3], 2
	s_add_u32 s2, s6, s2
	s_addc_u32 s3, s7, s3
	s_and_not1_b32 vcc_lo, exec_lo, s18
	s_load_b32 s4, s[2:3], 0x0
	s_mov_b64 s[2:3], 0
	s_cbranch_vccz .LBB178_9
; %bb.7:
	s_and_not1_b32 vcc_lo, exec_lo, s18
	s_cbranch_vccz .LBB178_10
.LBB178_8:
	s_load_b32 s50, s[0:1], 0x0
	s_waitcnt lgkmcnt(0)
	s_cmp_lt_i32 s50, 1
	s_cbranch_scc0 .LBB178_11
	s_branch .LBB178_64
.LBB178_9:
	s_waitcnt lgkmcnt(0)
	s_ashr_i32 s5, s4, 31
	s_delay_alu instid0(SALU_CYCLE_1) | instskip(NEXT) | instid1(SALU_CYCLE_1)
	s_lshl_b64 s[2:3], s[4:5], 3
	s_add_u32 s2, s8, s2
	s_addc_u32 s3, s9, s3
	s_load_b64 s[2:3], s[2:3], 0x0
	s_waitcnt lgkmcnt(0)
	s_sub_u32 s2, s2, s28
	s_subb_u32 s3, s3, 0
	s_and_not1_b32 vcc_lo, exec_lo, s18
	s_cbranch_vccnz .LBB178_8
.LBB178_10:
	s_waitcnt lgkmcnt(0)
	s_ashr_i32 s5, s4, 31
	s_delay_alu instid0(SALU_CYCLE_1) | instskip(NEXT) | instid1(SALU_CYCLE_1)
	s_lshl_b64 s[6:7], s[4:5], 3
	s_add_u32 s6, s8, s6
	s_addc_u32 s7, s9, s7
	s_load_b64 s[6:7], s[6:7], 0x8
	s_waitcnt lgkmcnt(0)
	s_sub_u32 s34, s6, s28
	s_subb_u32 s35, s7, 0
	s_load_b32 s50, s[0:1], 0x0
	s_waitcnt lgkmcnt(0)
	s_cmp_lt_i32 s50, 1
	s_cbranch_scc1 .LBB178_64
.LBB178_11:
	s_clause 0x3
	s_load_b256 s[20:27], s[0:1], 0x58
	s_load_b128 s[44:47], s[0:1], 0x80
	s_load_b64 s[48:49], s[0:1], 0x48
	s_load_b256 s[36:43], s[0:1], 0x28
	v_mbcnt_lo_u32_b32 v3, -1, 0
	v_lshrrev_b32_e32 v1, 4, v0
	s_ashr_i32 s5, s4, 31
	v_sub_co_u32 v28, s1, v0, s31
	s_delay_alu instid0(VALU_DEP_3)
	v_xor_b32_e32 v4, 8, v3
	s_lshl_b64 s[4:5], s[4:5], 3
	v_sub_co_ci_u32_e64 v29, null, 0, 0, s1
	v_add_co_u32 v1, s1, s2, v1
	v_xor_b32_e32 v6, 4, v3
	v_cmp_gt_i32_e64 s2, 32, v4
	v_xor_b32_e32 v7, 2, v3
	v_xor_b32_e32 v8, 1, v3
	v_add_co_ci_u32_e64 v2, null, s3, 0, s1
	s_waitcnt lgkmcnt(0)
	s_add_u32 s6, s26, s4
	s_addc_u32 s7, s27, s5
	v_cndmask_b32_e64 v4, v3, v4, s2
	s_load_b64 s[6:7], s[6:7], 0x0
	v_cmp_gt_i32_e64 s2, 32, v6
	v_xor_b32_e32 v9, 63, v3
	v_lshrrev_b32_e32 v5, 3, v0
	v_dual_mov_b32 v27, 0 :: v_dual_and_b32 v26, 15, v0
	s_delay_alu instid0(VALU_DEP_4)
	v_cndmask_b32_e64 v6, v3, v6, s2
	v_cmp_gt_i32_e64 s2, 32, v7
	v_cmp_gt_i64_e32 vcc_lo, s[34:35], v[1:2]
	v_and_b32_e32 v34, 60, v5
	v_cmp_eq_u32_e64 s0, 0, v0
	v_cmp_eq_u32_e64 s1, 15, v26
	v_cndmask_b32_e64 v7, v3, v7, s2
	v_cmp_gt_i32_e64 s2, 32, v8
	v_dual_mov_b32 v38, 0x800 :: v_dual_lshlrev_b32 v31, 2, v6
	v_cmp_gt_u32_e64 s3, 32, v0
	s_delay_alu instid0(VALU_DEP_4) | instskip(NEXT) | instid1(VALU_DEP_4)
	v_dual_mov_b32 v37, 0 :: v_dual_lshlrev_b32 v32, 2, v7
	v_cndmask_b32_e64 v3, v3, v8, s2
	s_waitcnt lgkmcnt(0)
	s_sub_u32 s54, s6, s30
	s_subb_u32 s55, s7, 0
	v_lshlrev_b32_e32 v30, 2, v4
	s_add_u32 s26, s20, s4
	v_lshlrev_b32_e32 v33, 2, v3
	v_lshrrev_b64 v[3:4], v9, -1
	v_mov_b32_e32 v4, s54
	s_addc_u32 s27, s21, s5
	v_cmp_eq_u32_e64 s2, 0x1ff, v0
	v_cmp_gt_u32_e64 s4, 64, v0
	v_cmp_gt_u32_e64 s5, 0x60, v0
	;; [unrolled: 1-line block ×14, first 2 shown]
	v_or_b32_e32 v35, 0xfffffe00, v0
	v_dual_mov_b32 v5, s55 :: v_dual_lshlrev_b32 v0, 2, v0
	v_mov_b32_e32 v36, 1
	s_and_b32 s30, s18, vcc_lo
	s_add_u32 s53, s40, 8
	s_mov_b32 s51, s29
	s_mov_b32 s52, s31
	s_addc_u32 s54, s41, 0
	s_branch .LBB178_13
.LBB178_12:                             ;   in Loop: Header=BB178_13 Depth=1
	s_or_b32 exec_lo, exec_lo, s19
	ds_load_b32 v37, v27 offset:10240
	s_waitcnt lgkmcnt(0)
	s_barrier
	buffer_gl0_inv
	v_cmp_le_i32_e32 vcc_lo, s50, v37
	v_add_nc_u32_e32 v38, 0x800, v37
	s_cbranch_vccnz .LBB178_64
.LBB178_13:                             ; =>This Loop Header: Depth=1
                                        ;     Child Loop BB178_14 Depth 2
                                        ;     Child Loop BB178_20 Depth 2
                                        ;       Child Loop BB178_26 Depth 3
                                        ;     Child Loop BB178_43 Depth 2
                                        ;     Child Loop BB178_55 Depth 2
	;; [unrolled: 1-line block ×3, first 2 shown]
	v_dual_mov_b32 v6, v0 :: v_dual_mov_b32 v7, v35
	s_mov_b32 s18, 0
.LBB178_14:                             ;   Parent Loop BB178_13 Depth=1
                                        ; =>  This Inner Loop Header: Depth=2
	ds_store_b8 v7, v27 offset:8704
	v_add_nc_u32_e32 v7, 0x200, v7
	ds_store_b32 v6, v27
	v_add_nc_u32_e32 v6, 0x800, v6
	v_cmp_lt_u32_e32 vcc_lo, 0x5ff, v7
	s_or_b32 s18, vcc_lo, s18
	s_delay_alu instid0(SALU_CYCLE_1)
	s_and_not1_b32 exec_lo, exec_lo, s18
	s_cbranch_execnz .LBB178_14
; %bb.15:                               ;   in Loop: Header=BB178_13 Depth=1
	s_or_b32 exec_lo, exec_lo, s18
	s_and_saveexec_b32 s18, s0
	s_cbranch_execz .LBB178_17
; %bb.16:                               ;   in Loop: Header=BB178_13 Depth=1
	v_mov_b32_e32 v6, s50
	ds_store_b32 v27, v6 offset:10240
.LBB178_17:                             ;   in Loop: Header=BB178_13 Depth=1
	s_or_b32 exec_lo, exec_lo, s18
	v_mov_b32_e32 v39, s50
	s_waitcnt lgkmcnt(0)
	s_barrier
	buffer_gl0_inv
	s_and_saveexec_b32 s21, s30
	s_cbranch_execz .LBB178_39
; %bb.18:                               ;   in Loop: Header=BB178_13 Depth=1
	v_mov_b32_e32 v7, v2
	v_cmp_ne_u32_e64 s18, 0, v37
	v_dual_mov_b32 v39, s50 :: v_dual_mov_b32 v6, v1
	s_mov_b32 s55, 0
	s_branch .LBB178_20
.LBB178_19:                             ;   in Loop: Header=BB178_20 Depth=2
	s_or_b32 exec_lo, exec_lo, s20
	v_add_co_u32 v6, vcc_lo, v6, 32
	v_add_co_ci_u32_e32 v7, vcc_lo, 0, v7, vcc_lo
	s_delay_alu instid0(VALU_DEP_1) | instskip(SKIP_1) | instid1(SALU_CYCLE_1)
	v_cmp_le_i64_e32 vcc_lo, s[34:35], v[6:7]
	s_or_b32 s55, vcc_lo, s55
	s_and_not1_b32 exec_lo, exec_lo, s55
	s_cbranch_execz .LBB178_38
.LBB178_20:                             ;   Parent Loop BB178_13 Depth=1
                                        ; =>  This Loop Header: Depth=2
                                        ;       Child Loop BB178_26 Depth 3
	s_delay_alu instid0(VALU_DEP_1) | instskip(NEXT) | instid1(VALU_DEP_1)
	v_lshlrev_b64 v[8:9], 2, v[6:7]
	v_add_co_u32 v10, vcc_lo, s36, v8
	s_delay_alu instid0(VALU_DEP_2)
	v_add_co_ci_u32_e32 v11, vcc_lo, s37, v9, vcc_lo
	v_add_co_u32 v8, vcc_lo, s38, v8
	v_add_co_ci_u32_e32 v9, vcc_lo, s39, v9, vcc_lo
	global_load_b32 v10, v[10:11], off
	s_and_b32 vcc_lo, exec_lo, s18
	global_load_b32 v16, v[8:9], off
	v_lshlrev_b64 v[8:9], 3, v[6:7]
	s_waitcnt vmcnt(1)
	v_subrev_nc_u32_e32 v10, s28, v10
	s_delay_alu instid0(VALU_DEP_1)
	v_ashrrev_i32_e32 v11, 31, v10
	s_cbranch_vccz .LBB178_37
; %bb.21:                               ;   in Loop: Header=BB178_20 Depth=2
	s_waitcnt lgkmcnt(0)
	v_add_co_u32 v12, vcc_lo, s46, v8
	v_add_co_ci_u32_e32 v13, vcc_lo, s47, v9, vcc_lo
	global_load_b64 v[14:15], v[12:13], off
	s_cbranch_execnz .LBB178_23
.LBB178_22:                             ;   in Loop: Header=BB178_20 Depth=2
	s_waitcnt lgkmcnt(0)
	s_delay_alu instid0(VALU_DEP_1) | instskip(NEXT) | instid1(VALU_DEP_1)
	v_lshlrev_b64 v[12:13], 3, v[10:11]
	v_add_co_u32 v12, vcc_lo, s40, v12
	s_delay_alu instid0(VALU_DEP_2)
	v_add_co_ci_u32_e32 v13, vcc_lo, s41, v13, vcc_lo
	global_load_b64 v[12:13], v[12:13], off
	s_waitcnt vmcnt(0)
	v_sub_co_u32 v14, vcc_lo, v12, s51
	v_subrev_co_ci_u32_e32 v15, vcc_lo, 0, v13, vcc_lo
.LBB178_23:                             ;   in Loop: Header=BB178_20 Depth=2
	v_lshlrev_b64 v[10:11], 3, v[10:11]
	s_mov_b32 s56, exec_lo
	s_delay_alu instid0(VALU_DEP_1) | instskip(NEXT) | instid1(VALU_DEP_2)
	v_add_co_u32 v10, vcc_lo, s53, v10
	v_add_co_ci_u32_e32 v11, vcc_lo, s54, v11, vcc_lo
	global_load_b64 v[10:11], v[10:11], off
	s_waitcnt vmcnt(0) lgkmcnt(0)
	v_sub_co_u32 v12, vcc_lo, v10, s51
	v_subrev_co_ci_u32_e32 v13, vcc_lo, 0, v11, vcc_lo
	v_add_co_u32 v10, vcc_lo, v14, v26
	v_add_co_ci_u32_e32 v11, vcc_lo, 0, v15, vcc_lo
	s_delay_alu instid0(VALU_DEP_1)
	v_cmpx_lt_i64_e64 v[10:11], v[12:13]
	s_cbranch_execz .LBB178_35
; %bb.24:                               ;   in Loop: Header=BB178_20 Depth=2
	v_lshlrev_b64 v[17:18], 2, v[10:11]
	v_mul_f32_e32 v40, v24, v16
	s_mov_b32 s58, 0
                                        ; implicit-def: $sgpr57
                                        ; implicit-def: $sgpr59
	s_delay_alu instid0(VALU_DEP_2) | instskip(NEXT) | instid1(VALU_DEP_3)
	v_add_co_u32 v14, vcc_lo, s42, v17
	v_add_co_ci_u32_e32 v15, vcc_lo, s43, v18, vcc_lo
	v_add_co_u32 v16, vcc_lo, s48, v17
	v_add_co_ci_u32_e32 v17, vcc_lo, s49, v18, vcc_lo
	v_dual_mov_b32 v19, v11 :: v_dual_mov_b32 v18, v10
	s_branch .LBB178_26
.LBB178_25:                             ;   in Loop: Header=BB178_26 Depth=3
	s_or_b32 exec_lo, exec_lo, s20
	s_delay_alu instid0(SALU_CYCLE_1) | instskip(SKIP_4) | instid1(SALU_CYCLE_1)
	s_and_b32 s19, exec_lo, s60
	v_dual_mov_b32 v18, v20 :: v_dual_mov_b32 v19, v21
	s_or_b32 s58, s19, s58
	s_and_not1_b32 s19, s57, exec_lo
	s_and_b32 s20, s59, exec_lo
	s_or_b32 s57, s19, s20
	s_and_not1_b32 exec_lo, exec_lo, s58
	s_cbranch_execz .LBB178_32
.LBB178_26:                             ;   Parent Loop BB178_13 Depth=1
                                        ;     Parent Loop BB178_20 Depth=2
                                        ; =>    This Inner Loop Header: Depth=3
	global_load_b32 v20, v[14:15], off
	s_waitcnt vmcnt(0)
	v_subrev_nc_u32_e32 v41, s29, v20
	s_delay_alu instid0(VALU_DEP_1) | instskip(SKIP_2) | instid1(VALU_DEP_2)
	v_cmp_lt_i32_e64 s19, v41, v37
	v_cmp_ge_i32_e64 s20, v41, v38
	v_cmp_lt_i32_e32 vcc_lo, v41, v38
	s_or_b32 s60, s19, s20
	s_mov_b32 s19, 0
                                        ; implicit-def: $sgpr20
	s_and_saveexec_b32 s61, s60
	s_delay_alu instid0(SALU_CYCLE_1)
	s_xor_b32 s60, exec_lo, s61
; %bb.27:                               ;   in Loop: Header=BB178_26 Depth=3
	s_mov_b32 s20, -1
	s_and_b32 s19, vcc_lo, exec_lo
; %bb.28:                               ;   in Loop: Header=BB178_26 Depth=3
	s_and_not1_saveexec_b32 s60, s60
	s_cbranch_execz .LBB178_30
; %bb.29:                               ;   in Loop: Header=BB178_26 Depth=3
	global_load_b32 v20, v[16:17], off
	v_sub_nc_u32_e32 v21, v41, v37
	s_or_b32 s19, s19, exec_lo
	s_delay_alu instid0(VALU_DEP_1)
	v_lshlrev_b32_e32 v22, 2, v21
	ds_store_b8 v21, v36 offset:8192
	s_waitcnt vmcnt(0)
	v_mul_f32_e32 v20, v40, v20
	ds_add_f32 v22, v20
.LBB178_30:                             ;   in Loop: Header=BB178_26 Depth=3
	s_or_b32 exec_lo, exec_lo, s60
	v_dual_mov_b32 v23, v19 :: v_dual_mov_b32 v22, v18
	s_and_not1_b32 s59, s59, exec_lo
	s_and_b32 s20, s20, exec_lo
	s_mov_b32 s60, -1
	s_or_b32 s59, s59, s20
                                        ; implicit-def: $vgpr20_vgpr21
	s_and_saveexec_b32 s20, s19
	s_cbranch_execz .LBB178_25
; %bb.31:                               ;   in Loop: Header=BB178_26 Depth=3
	v_add_co_u32 v20, vcc_lo, v18, 16
	v_add_co_ci_u32_e32 v21, vcc_lo, 0, v19, vcc_lo
	v_add_co_u32 v14, vcc_lo, v14, 64
	v_add_co_ci_u32_e32 v15, vcc_lo, 0, v15, vcc_lo
	s_delay_alu instid0(VALU_DEP_3) | instskip(SKIP_1) | instid1(VALU_DEP_1)
	v_cmp_ge_i64_e32 vcc_lo, v[20:21], v[12:13]
	v_add_co_u32 v16, s19, v16, 64
	v_add_co_ci_u32_e64 v17, s19, 0, v17, s19
	v_dual_mov_b32 v23, v19 :: v_dual_mov_b32 v22, v18
	s_and_not1_b32 s59, s59, exec_lo
	s_or_not1_b32 s60, vcc_lo, exec_lo
	s_branch .LBB178_25
.LBB178_32:                             ;   in Loop: Header=BB178_20 Depth=2
	s_or_b32 exec_lo, exec_lo, s58
	s_and_saveexec_b32 s19, s57
	s_delay_alu instid0(SALU_CYCLE_1)
	s_xor_b32 s19, exec_lo, s19
; %bb.33:                               ;   in Loop: Header=BB178_20 Depth=2
	v_min_i32_e32 v39, v41, v39
	v_dual_mov_b32 v10, v22 :: v_dual_mov_b32 v11, v23
; %bb.34:                               ;   in Loop: Header=BB178_20 Depth=2
	s_or_b32 exec_lo, exec_lo, s19
.LBB178_35:                             ;   in Loop: Header=BB178_20 Depth=2
	s_delay_alu instid0(SALU_CYCLE_1)
	s_or_b32 exec_lo, exec_lo, s56
	ds_bpermute_b32 v12, v30, v10
	ds_bpermute_b32 v13, v30, v11
	s_waitcnt lgkmcnt(0)
	v_cmp_lt_i64_e32 vcc_lo, v[12:13], v[10:11]
	v_dual_cndmask_b32 v11, v11, v13 :: v_dual_cndmask_b32 v10, v10, v12
	ds_bpermute_b32 v13, v31, v11
	ds_bpermute_b32 v12, v31, v10
	s_waitcnt lgkmcnt(0)
	v_cmp_lt_i64_e32 vcc_lo, v[12:13], v[10:11]
	v_dual_cndmask_b32 v11, v11, v13 :: v_dual_cndmask_b32 v10, v10, v12
	;; [unrolled: 5-line block ×3, first 2 shown]
	ds_bpermute_b32 v13, v33, v11
	ds_bpermute_b32 v12, v33, v10
	s_and_saveexec_b32 s20, s1
	s_cbranch_execz .LBB178_19
; %bb.36:                               ;   in Loop: Header=BB178_20 Depth=2
	s_waitcnt lgkmcnt(0)
	v_cmp_lt_i64_e32 vcc_lo, v[12:13], v[10:11]
	v_add_co_u32 v8, s19, s46, v8
	s_delay_alu instid0(VALU_DEP_1)
	v_add_co_ci_u32_e64 v9, s19, s47, v9, s19
	v_dual_cndmask_b32 v11, v11, v13 :: v_dual_cndmask_b32 v10, v10, v12
	global_store_b64 v[8:9], v[10:11], off
	s_branch .LBB178_19
.LBB178_37:                             ;   in Loop: Header=BB178_20 Depth=2
                                        ; implicit-def: $vgpr14_vgpr15
	s_branch .LBB178_22
.LBB178_38:                             ;   in Loop: Header=BB178_13 Depth=1
	s_or_b32 exec_lo, exec_lo, s55
.LBB178_39:                             ;   in Loop: Header=BB178_13 Depth=1
	s_delay_alu instid0(SALU_CYCLE_1) | instskip(NEXT) | instid1(SALU_CYCLE_1)
	s_or_b32 exec_lo, exec_lo, s21
	s_and_not1_b32 vcc_lo, exec_lo, s33
	s_cbranch_vccnz .LBB178_53
; %bb.40:                               ;   in Loop: Header=BB178_13 Depth=1
	s_load_b128 s[56:59], s[26:27], 0x0
	s_mov_b32 s55, exec_lo
	s_waitcnt lgkmcnt(0)
	v_add_co_u32 v6, vcc_lo, s56, v28
	v_add_co_ci_u32_e32 v7, vcc_lo, s57, v29, vcc_lo
	s_sub_u32 s20, s58, s52
	s_subb_u32 s21, s59, 0
	s_delay_alu instid0(VALU_DEP_1) | instid1(SALU_CYCLE_1)
	v_cmpx_gt_i64_e64 s[20:21], v[6:7]
	s_cbranch_execz .LBB178_52
; %bb.41:                               ;   in Loop: Header=BB178_13 Depth=1
	v_lshlrev_b64 v[10:11], 2, v[6:7]
	s_mov_b32 s56, 0
                                        ; implicit-def: $sgpr57
                                        ; implicit-def: $sgpr58
	s_delay_alu instid0(VALU_DEP_1) | instskip(NEXT) | instid1(VALU_DEP_2)
	v_add_co_u32 v8, vcc_lo, s22, v10
	v_add_co_ci_u32_e32 v9, vcc_lo, s23, v11, vcc_lo
	v_add_co_u32 v10, vcc_lo, s24, v10
	v_add_co_ci_u32_e32 v11, vcc_lo, s25, v11, vcc_lo
	s_branch .LBB178_43
.LBB178_42:                             ;   in Loop: Header=BB178_43 Depth=2
	s_or_b32 exec_lo, exec_lo, s19
	s_delay_alu instid0(SALU_CYCLE_1) | instskip(NEXT) | instid1(SALU_CYCLE_1)
	s_and_b32 s18, exec_lo, s59
	s_or_b32 s56, s18, s56
	s_and_not1_b32 s18, s57, exec_lo
	s_and_b32 s19, s58, exec_lo
	s_delay_alu instid0(SALU_CYCLE_1)
	s_or_b32 s57, s18, s19
	s_and_not1_b32 exec_lo, exec_lo, s56
	s_cbranch_execz .LBB178_49
.LBB178_43:                             ;   Parent Loop BB178_13 Depth=1
                                        ; =>  This Inner Loop Header: Depth=2
	global_load_b32 v12, v[8:9], off
	s_waitcnt vmcnt(0)
	v_subrev_nc_u32_e32 v12, s31, v12
	s_delay_alu instid0(VALU_DEP_1) | instskip(SKIP_2) | instid1(VALU_DEP_2)
	v_cmp_lt_i32_e64 s18, v12, v37
	v_cmp_ge_i32_e64 s19, v12, v38
	v_cmp_lt_i32_e32 vcc_lo, v12, v38
	s_or_b32 s59, s18, s19
	s_mov_b32 s18, 0
                                        ; implicit-def: $sgpr19
	s_and_saveexec_b32 s60, s59
	s_delay_alu instid0(SALU_CYCLE_1)
	s_xor_b32 s59, exec_lo, s60
; %bb.44:                               ;   in Loop: Header=BB178_43 Depth=2
	s_mov_b32 s19, -1
	s_and_b32 s18, vcc_lo, exec_lo
; %bb.45:                               ;   in Loop: Header=BB178_43 Depth=2
	s_and_not1_saveexec_b32 s59, s59
	s_cbranch_execz .LBB178_47
; %bb.46:                               ;   in Loop: Header=BB178_43 Depth=2
	global_load_b32 v13, v[10:11], off
	v_sub_nc_u32_e32 v14, v12, v37
	s_or_b32 s18, s18, exec_lo
	s_delay_alu instid0(VALU_DEP_1)
	v_lshlrev_b32_e32 v15, 2, v14
	ds_store_b8 v14, v36 offset:8192
	s_waitcnt vmcnt(0)
	v_mul_f32_e32 v13, v25, v13
	ds_add_f32 v15, v13
.LBB178_47:                             ;   in Loop: Header=BB178_43 Depth=2
	s_or_b32 exec_lo, exec_lo, s59
	s_delay_alu instid0(SALU_CYCLE_1)
	s_and_not1_b32 s58, s58, exec_lo
	s_and_b32 s19, s19, exec_lo
	s_mov_b32 s59, -1
	s_or_b32 s58, s58, s19
	s_and_saveexec_b32 s19, s18
	s_cbranch_execz .LBB178_42
; %bb.48:                               ;   in Loop: Header=BB178_43 Depth=2
	v_add_co_u32 v6, vcc_lo, 0x200, v6
	v_add_co_ci_u32_e32 v7, vcc_lo, 0, v7, vcc_lo
	v_add_co_u32 v8, vcc_lo, 0x800, v8
	v_add_co_ci_u32_e32 v9, vcc_lo, 0, v9, vcc_lo
	s_delay_alu instid0(VALU_DEP_3) | instskip(SKIP_1) | instid1(VALU_DEP_1)
	v_cmp_le_i64_e32 vcc_lo, s[20:21], v[6:7]
	v_add_co_u32 v10, s18, 0x800, v10
	v_add_co_ci_u32_e64 v11, s18, 0, v11, s18
	s_and_not1_b32 s58, s58, exec_lo
	s_or_not1_b32 s59, vcc_lo, exec_lo
	s_branch .LBB178_42
.LBB178_49:                             ;   in Loop: Header=BB178_13 Depth=1
	s_or_b32 exec_lo, exec_lo, s56
	s_and_saveexec_b32 s18, s57
	s_delay_alu instid0(SALU_CYCLE_1)
	s_xor_b32 s18, exec_lo, s18
; %bb.50:                               ;   in Loop: Header=BB178_13 Depth=1
	v_min_i32_e32 v39, v12, v39
; %bb.51:                               ;   in Loop: Header=BB178_13 Depth=1
	s_or_b32 exec_lo, exec_lo, s18
.LBB178_52:                             ;   in Loop: Header=BB178_13 Depth=1
	s_delay_alu instid0(SALU_CYCLE_1)
	s_or_b32 exec_lo, exec_lo, s55
.LBB178_53:                             ;   in Loop: Header=BB178_13 Depth=1
	ds_bpermute_b32 v6, v30, v39
	s_waitcnt lgkmcnt(0)
	v_min_i32_e32 v6, v6, v39
	ds_bpermute_b32 v7, v31, v6
	s_waitcnt lgkmcnt(0)
	v_min_i32_e32 v6, v7, v6
	;; [unrolled: 3-line block ×3, first 2 shown]
	ds_bpermute_b32 v7, v33, v6
	s_and_saveexec_b32 s18, s1
	s_cbranch_execz .LBB178_58
; %bb.54:                               ;   in Loop: Header=BB178_13 Depth=1
	s_waitcnt lgkmcnt(0)
	v_min_i32_e32 v6, v7, v6
	s_mov_b32 s20, exec_lo
	s_brev_b32 s19, -2
.LBB178_55:                             ;   Parent Loop BB178_13 Depth=1
                                        ; =>  This Inner Loop Header: Depth=2
	s_ctz_i32_b32 s21, s20
	s_delay_alu instid0(VALU_DEP_1) | instid1(SALU_CYCLE_1)
	v_readlane_b32 s55, v6, s21
	s_lshl_b32 s21, 1, s21
	s_delay_alu instid0(SALU_CYCLE_1) | instskip(NEXT) | instid1(VALU_DEP_1)
	s_and_not1_b32 s20, s20, s21
	s_min_i32 s19, s19, s55
	s_cmp_lg_u32 s20, 0
	s_cbranch_scc1 .LBB178_55
; %bb.56:                               ;   in Loop: Header=BB178_13 Depth=1
	v_mbcnt_lo_u32_b32 v6, exec_lo, 0
	s_mov_b32 s20, exec_lo
	s_delay_alu instid0(VALU_DEP_1)
	v_cmpx_eq_u32_e32 0, v6
	s_xor_b32 s20, exec_lo, s20
	s_cbranch_execz .LBB178_58
; %bb.57:                               ;   in Loop: Header=BB178_13 Depth=1
	v_mov_b32_e32 v6, s19
	ds_min_i32 v27, v6 offset:10240
.LBB178_58:                             ;   in Loop: Header=BB178_13 Depth=1
	s_or_b32 exec_lo, exec_lo, s18
	v_dual_mov_b32 v8, v0 :: v_dual_mov_b32 v9, v35
	s_mov_b32 s19, 0
	s_waitcnt lgkmcnt(0)
	s_waitcnt_vscnt null, 0x0
	s_barrier
	buffer_gl0_inv
	s_branch .LBB178_60
.LBB178_59:                             ;   in Loop: Header=BB178_60 Depth=2
	s_or_b32 exec_lo, exec_lo, s18
	s_waitcnt lgkmcnt(0)
	s_waitcnt_vscnt null, 0x0
	s_barrier
	buffer_gl0_inv
	ds_load_b32 v6, v27 offset:60
	v_add_nc_u32_e32 v9, 0x200, v9
	v_add_nc_u32_e32 v8, 0x800, v8
	s_delay_alu instid0(VALU_DEP_2) | instskip(SKIP_4) | instid1(VALU_DEP_1)
	v_cmp_lt_u32_e32 vcc_lo, 0x5ff, v9
	s_or_b32 s19, vcc_lo, s19
	s_waitcnt lgkmcnt(0)
	v_ashrrev_i32_e32 v7, 31, v6
	v_add_co_u32 v4, s18, v4, v6
	v_add_co_ci_u32_e64 v5, s18, v5, v7, s18
	s_and_not1_b32 exec_lo, exec_lo, s19
	s_cbranch_execz .LBB178_12
.LBB178_60:                             ;   Parent Loop BB178_13 Depth=1
                                        ; =>  This Inner Loop Header: Depth=2
	ds_load_u8 v6, v9 offset:8704
	ds_load_b32 v10, v8
	s_waitcnt lgkmcnt(0)
	s_barrier
	buffer_gl0_inv
	v_cmp_ne_u16_e32 vcc_lo, 0, v6
	s_bcnt1_i32_b32 s18, vcc_lo
	s_delay_alu instid0(SALU_CYCLE_1)
	v_mov_b32_e32 v7, s18
	s_mov_b32 s18, exec_lo
	ds_store_b32 v34, v7
	s_waitcnt lgkmcnt(0)
	s_barrier
	buffer_gl0_inv
	ds_load_b128 v[11:14], v27
	ds_load_b128 v[15:18], v27 offset:16
	v_and_b32_e32 v7, vcc_lo, v3
	ds_load_b128 v[19:22], v27 offset:32
	s_waitcnt lgkmcnt(2)
	v_cndmask_b32_e64 v11, v11, 0, s3
	v_cndmask_b32_e64 v23, v12, 0, s4
	;; [unrolled: 1-line block ×4, first 2 shown]
	s_waitcnt lgkmcnt(1)
	v_cndmask_b32_e64 v15, v15, 0, s7
	v_bcnt_u32_b32 v7, v7, v11
	ds_load_b96 v[11:13], v27 offset:48
	v_cndmask_b32_e64 v16, v16, 0, s8
	v_cndmask_b32_e64 v17, v17, 0, s9
	v_add3_u32 v7, v7, v23, v37
	s_delay_alu instid0(VALU_DEP_1) | instskip(SKIP_3) | instid1(VALU_DEP_3)
	v_add3_u32 v7, v7, v14, v15
	v_cndmask_b32_e64 v14, v18, 0, s10
	s_waitcnt lgkmcnt(1)
	v_cndmask_b32_e64 v15, v19, 0, s11
	v_add3_u32 v7, v7, v16, v17
	v_cndmask_b32_e64 v16, v20, 0, s12
	v_cndmask_b32_e64 v17, v21, 0, s13
	s_delay_alu instid0(VALU_DEP_3)
	v_add3_u32 v7, v7, v14, v15
	v_cndmask_b32_e64 v14, v22, 0, s14
	s_waitcnt lgkmcnt(0)
	v_cndmask_b32_e64 v11, v11, 0, s15
	v_cndmask_b32_e64 v12, v12, 0, s16
	v_cndmask_b32_e64 v13, v13, 0, s17
	v_add3_u32 v7, v7, v16, v17
	s_delay_alu instid0(VALU_DEP_1) | instskip(SKIP_1) | instid1(VALU_DEP_2)
	v_add3_u32 v7, v7, v14, v11
	v_and_b32_e32 v11, 1, v6
	v_add3_u32 v6, v7, v12, v13
	s_delay_alu instid0(VALU_DEP_2)
	v_cmpx_eq_u32_e32 1, v11
	s_cbranch_execz .LBB178_62
; %bb.61:                               ;   in Loop: Header=BB178_60 Depth=2
	s_delay_alu instid0(VALU_DEP_2) | instskip(SKIP_1) | instid1(VALU_DEP_2)
	v_ashrrev_i32_e32 v7, 31, v6
	v_lshlrev_b64 v[11:12], 2, v[4:5]
	v_lshlrev_b64 v[13:14], 2, v[6:7]
	s_delay_alu instid0(VALU_DEP_2) | instskip(NEXT) | instid1(VALU_DEP_3)
	v_add_co_u32 v7, vcc_lo, s44, v11
	v_add_co_ci_u32_e32 v12, vcc_lo, s45, v12, vcc_lo
	s_delay_alu instid0(VALU_DEP_2) | instskip(NEXT) | instid1(VALU_DEP_2)
	v_add_co_u32 v11, vcc_lo, v7, v13
	v_add_co_ci_u32_e32 v12, vcc_lo, v12, v14, vcc_lo
	global_store_b32 v[11:12], v10, off offset:-4
.LBB178_62:                             ;   in Loop: Header=BB178_60 Depth=2
	s_or_b32 exec_lo, exec_lo, s18
	s_and_saveexec_b32 s18, s2
	s_cbranch_execz .LBB178_59
; %bb.63:                               ;   in Loop: Header=BB178_60 Depth=2
	ds_store_b32 v27, v6 offset:60
	s_branch .LBB178_59
.LBB178_64:
	s_endpgm
	.section	.rodata,"a",@progbits
	.p2align	6, 0x0
	.amdhsa_kernel _ZN9rocsparseL51csrgemm_numeric_fill_block_per_row_multipass_kernelILj512ELj16ELj2048ELj32ElifEEvT4_PKS1_S3_NS_24const_host_device_scalarIT5_EEPKT3_S3_PKS5_S9_S3_SB_S6_S9_S3_SB_S9_S3_PS5_PS7_21rocsparse_index_base_SE_SE_SE_bbb
		.amdhsa_group_segment_fixed_size 10244
		.amdhsa_private_segment_fixed_size 0
		.amdhsa_kernarg_size 164
		.amdhsa_user_sgpr_count 15
		.amdhsa_user_sgpr_dispatch_ptr 0
		.amdhsa_user_sgpr_queue_ptr 0
		.amdhsa_user_sgpr_kernarg_segment_ptr 1
		.amdhsa_user_sgpr_dispatch_id 0
		.amdhsa_user_sgpr_private_segment_size 0
		.amdhsa_wavefront_size32 1
		.amdhsa_uses_dynamic_stack 0
		.amdhsa_enable_private_segment 0
		.amdhsa_system_sgpr_workgroup_id_x 1
		.amdhsa_system_sgpr_workgroup_id_y 0
		.amdhsa_system_sgpr_workgroup_id_z 0
		.amdhsa_system_sgpr_workgroup_info 0
		.amdhsa_system_vgpr_workitem_id 0
		.amdhsa_next_free_vgpr 42
		.amdhsa_next_free_sgpr 62
		.amdhsa_reserve_vcc 1
		.amdhsa_float_round_mode_32 0
		.amdhsa_float_round_mode_16_64 0
		.amdhsa_float_denorm_mode_32 3
		.amdhsa_float_denorm_mode_16_64 3
		.amdhsa_dx10_clamp 1
		.amdhsa_ieee_mode 1
		.amdhsa_fp16_overflow 0
		.amdhsa_workgroup_processor_mode 1
		.amdhsa_memory_ordered 1
		.amdhsa_forward_progress 0
		.amdhsa_shared_vgpr_count 0
		.amdhsa_exception_fp_ieee_invalid_op 0
		.amdhsa_exception_fp_denorm_src 0
		.amdhsa_exception_fp_ieee_div_zero 0
		.amdhsa_exception_fp_ieee_overflow 0
		.amdhsa_exception_fp_ieee_underflow 0
		.amdhsa_exception_fp_ieee_inexact 0
		.amdhsa_exception_int_div_zero 0
	.end_amdhsa_kernel
	.section	.text._ZN9rocsparseL51csrgemm_numeric_fill_block_per_row_multipass_kernelILj512ELj16ELj2048ELj32ElifEEvT4_PKS1_S3_NS_24const_host_device_scalarIT5_EEPKT3_S3_PKS5_S9_S3_SB_S6_S9_S3_SB_S9_S3_PS5_PS7_21rocsparse_index_base_SE_SE_SE_bbb,"axG",@progbits,_ZN9rocsparseL51csrgemm_numeric_fill_block_per_row_multipass_kernelILj512ELj16ELj2048ELj32ElifEEvT4_PKS1_S3_NS_24const_host_device_scalarIT5_EEPKT3_S3_PKS5_S9_S3_SB_S6_S9_S3_SB_S9_S3_PS5_PS7_21rocsparse_index_base_SE_SE_SE_bbb,comdat
.Lfunc_end178:
	.size	_ZN9rocsparseL51csrgemm_numeric_fill_block_per_row_multipass_kernelILj512ELj16ELj2048ELj32ElifEEvT4_PKS1_S3_NS_24const_host_device_scalarIT5_EEPKT3_S3_PKS5_S9_S3_SB_S6_S9_S3_SB_S9_S3_PS5_PS7_21rocsparse_index_base_SE_SE_SE_bbb, .Lfunc_end178-_ZN9rocsparseL51csrgemm_numeric_fill_block_per_row_multipass_kernelILj512ELj16ELj2048ELj32ElifEEvT4_PKS1_S3_NS_24const_host_device_scalarIT5_EEPKT3_S3_PKS5_S9_S3_SB_S6_S9_S3_SB_S9_S3_PS5_PS7_21rocsparse_index_base_SE_SE_SE_bbb
                                        ; -- End function
	.section	.AMDGPU.csdata,"",@progbits
; Kernel info:
; codeLenInByte = 3084
; NumSgprs: 64
; NumVgprs: 42
; ScratchSize: 0
; MemoryBound: 0
; FloatMode: 240
; IeeeMode: 1
; LDSByteSize: 10244 bytes/workgroup (compile time only)
; SGPRBlocks: 7
; VGPRBlocks: 5
; NumSGPRsForWavesPerEU: 64
; NumVGPRsForWavesPerEU: 42
; Occupancy: 16
; WaveLimiterHint : 1
; COMPUTE_PGM_RSRC2:SCRATCH_EN: 0
; COMPUTE_PGM_RSRC2:USER_SGPR: 15
; COMPUTE_PGM_RSRC2:TRAP_HANDLER: 0
; COMPUTE_PGM_RSRC2:TGID_X_EN: 1
; COMPUTE_PGM_RSRC2:TGID_Y_EN: 0
; COMPUTE_PGM_RSRC2:TGID_Z_EN: 0
; COMPUTE_PGM_RSRC2:TIDIG_COMP_CNT: 0
	.section	.text._ZN9rocsparseL51csrgemm_numeric_fill_block_per_row_multipass_kernelILj512ELj16ELj2048ELj64ElifEEvT4_PKS1_S3_NS_24const_host_device_scalarIT5_EEPKT3_S3_PKS5_S9_S3_SB_S6_S9_S3_SB_S9_S3_PS5_PS7_21rocsparse_index_base_SE_SE_SE_bbb,"axG",@progbits,_ZN9rocsparseL51csrgemm_numeric_fill_block_per_row_multipass_kernelILj512ELj16ELj2048ELj64ElifEEvT4_PKS1_S3_NS_24const_host_device_scalarIT5_EEPKT3_S3_PKS5_S9_S3_SB_S6_S9_S3_SB_S9_S3_PS5_PS7_21rocsparse_index_base_SE_SE_SE_bbb,comdat
	.globl	_ZN9rocsparseL51csrgemm_numeric_fill_block_per_row_multipass_kernelILj512ELj16ELj2048ELj64ElifEEvT4_PKS1_S3_NS_24const_host_device_scalarIT5_EEPKT3_S3_PKS5_S9_S3_SB_S6_S9_S3_SB_S9_S3_PS5_PS7_21rocsparse_index_base_SE_SE_SE_bbb ; -- Begin function _ZN9rocsparseL51csrgemm_numeric_fill_block_per_row_multipass_kernelILj512ELj16ELj2048ELj64ElifEEvT4_PKS1_S3_NS_24const_host_device_scalarIT5_EEPKT3_S3_PKS5_S9_S3_SB_S6_S9_S3_SB_S9_S3_PS5_PS7_21rocsparse_index_base_SE_SE_SE_bbb
	.p2align	8
	.type	_ZN9rocsparseL51csrgemm_numeric_fill_block_per_row_multipass_kernelILj512ELj16ELj2048ELj64ElifEEvT4_PKS1_S3_NS_24const_host_device_scalarIT5_EEPKT3_S3_PKS5_S9_S3_SB_S6_S9_S3_SB_S9_S3_PS5_PS7_21rocsparse_index_base_SE_SE_SE_bbb,@function
_ZN9rocsparseL51csrgemm_numeric_fill_block_per_row_multipass_kernelILj512ELj16ELj2048ELj64ElifEEvT4_PKS1_S3_NS_24const_host_device_scalarIT5_EEPKT3_S3_PKS5_S9_S3_SB_S6_S9_S3_SB_S9_S3_PS5_PS7_21rocsparse_index_base_SE_SE_SE_bbb: ; @_ZN9rocsparseL51csrgemm_numeric_fill_block_per_row_multipass_kernelILj512ELj16ELj2048ELj64ElifEEvT4_PKS1_S3_NS_24const_host_device_scalarIT5_EEPKT3_S3_PKS5_S9_S3_SB_S6_S9_S3_SB_S9_S3_PS5_PS7_21rocsparse_index_base_SE_SE_SE_bbb
; %bb.0:
	s_clause 0x4
	s_load_b32 s11, s[0:1], 0xa0
	s_load_b128 s[4:7], s[0:1], 0x8
	s_load_b64 s[8:9], s[0:1], 0x18
	s_load_b128 s[28:31], s[0:1], 0x90
	s_load_b64 s[2:3], s[0:1], 0x50
	s_waitcnt lgkmcnt(0)
	s_bitcmp1_b32 s11, 0
	s_cselect_b32 s10, -1, 0
	s_bitcmp1_b32 s11, 16
	s_cselect_b32 s12, -1, 0
	s_xor_b32 s13, s10, -1
	s_delay_alu instid0(SALU_CYCLE_1) | instskip(NEXT) | instid1(SALU_CYCLE_1)
	s_or_b32 s13, s13, s12
	s_and_b32 vcc_lo, exec_lo, s13
	s_cbranch_vccnz .LBB179_2
; %bb.1:
	s_load_b32 s8, s[8:9], 0x0
	s_waitcnt lgkmcnt(0)
	v_mov_b32_e32 v24, s8
	s_branch .LBB179_3
.LBB179_2:
	v_cndmask_b32_e64 v24, 0, s8, s10
.LBB179_3:
	s_load_b64 s[8:9], s[0:1], 0x20
	s_bitcmp1_b32 s11, 8
	s_cselect_b32 s33, -1, 0
	s_delay_alu instid0(SALU_CYCLE_1) | instskip(NEXT) | instid1(SALU_CYCLE_1)
	s_xor_b32 s11, s33, -1
	s_or_b32 s11, s11, s12
	s_delay_alu instid0(SALU_CYCLE_1)
	s_and_b32 vcc_lo, exec_lo, s11
	s_cbranch_vccnz .LBB179_5
; %bb.4:
	s_load_b32 s2, s[2:3], 0x0
	s_waitcnt lgkmcnt(0)
	v_mov_b32_e32 v25, s2
	s_branch .LBB179_6
.LBB179_5:
	v_cndmask_b32_e64 v25, 0, s2, s33
.LBB179_6:
	s_load_b32 s2, s[4:5], 0x0
	s_mov_b32 s3, 0
	s_mov_b64 s[34:35], 0
	s_mov_b64 s[4:5], 0
	s_waitcnt lgkmcnt(0)
	s_add_i32 s2, s2, s15
	s_delay_alu instid0(SALU_CYCLE_1) | instskip(NEXT) | instid1(SALU_CYCLE_1)
	s_lshl_b64 s[2:3], s[2:3], 2
	s_add_u32 s2, s6, s2
	s_addc_u32 s3, s7, s3
	s_and_not1_b32 vcc_lo, exec_lo, s10
	s_load_b32 s2, s[2:3], 0x0
	s_cbranch_vccz .LBB179_9
; %bb.7:
	s_and_not1_b32 vcc_lo, exec_lo, s10
	s_cbranch_vccz .LBB179_10
.LBB179_8:
	s_load_b32 s42, s[0:1], 0x0
	s_waitcnt lgkmcnt(0)
	s_cmp_lt_i32 s42, 1
	s_cbranch_scc0 .LBB179_11
	s_branch .LBB179_64
.LBB179_9:
	s_waitcnt lgkmcnt(0)
	s_ashr_i32 s3, s2, 31
	s_delay_alu instid0(SALU_CYCLE_1) | instskip(NEXT) | instid1(SALU_CYCLE_1)
	s_lshl_b64 s[4:5], s[2:3], 3
	s_add_u32 s4, s8, s4
	s_addc_u32 s5, s9, s5
	s_load_b64 s[4:5], s[4:5], 0x0
	s_waitcnt lgkmcnt(0)
	s_sub_u32 s4, s4, s28
	s_subb_u32 s5, s5, 0
	s_and_not1_b32 vcc_lo, exec_lo, s10
	s_cbranch_vccnz .LBB179_8
.LBB179_10:
	s_waitcnt lgkmcnt(0)
	s_ashr_i32 s3, s2, 31
	s_delay_alu instid0(SALU_CYCLE_1) | instskip(NEXT) | instid1(SALU_CYCLE_1)
	s_lshl_b64 s[6:7], s[2:3], 3
	s_add_u32 s6, s8, s6
	s_addc_u32 s7, s9, s7
	s_load_b64 s[6:7], s[6:7], 0x8
	s_waitcnt lgkmcnt(0)
	s_sub_u32 s34, s6, s28
	s_subb_u32 s35, s7, 0
	s_load_b32 s42, s[0:1], 0x0
	s_waitcnt lgkmcnt(0)
	s_cmp_lt_i32 s42, 1
	s_cbranch_scc1 .LBB179_64
.LBB179_11:
	s_clause 0x3
	s_load_b256 s[12:19], s[0:1], 0x58
	s_load_b128 s[36:39], s[0:1], 0x80
	s_load_b64 s[40:41], s[0:1], 0x48
	s_load_b256 s[20:27], s[0:1], 0x28
	v_mbcnt_lo_u32_b32 v3, -1, 0
	v_lshrrev_b32_e32 v5, 4, v0
	s_ashr_i32 s3, s2, 31
	v_sub_co_u32 v28, s1, v0, s31
	s_delay_alu instid0(VALU_DEP_3) | instskip(SKIP_3) | instid1(VALU_DEP_3)
	v_xor_b32_e32 v4, 8, v3
	s_lshl_b64 s[2:3], s[2:3], 3
	v_xor_b32_e32 v6, 4, v3
	v_sub_co_ci_u32_e64 v29, null, 0, 0, s1
	v_cmp_gt_i32_e32 vcc_lo, 32, v4
	v_add_co_u32 v1, s1, s4, v5
	s_delay_alu instid0(VALU_DEP_1)
	v_add_co_ci_u32_e64 v2, null, s5, 0, s1
	v_xor_b32_e32 v7, 2, v3
	s_waitcnt lgkmcnt(0)
	s_add_u32 s6, s18, s2
	s_addc_u32 s7, s19, s3
	v_cndmask_b32_e32 v4, v3, v4, vcc_lo
	s_load_b64 s[4:5], s[6:7], 0x0
	v_cmp_gt_i32_e32 vcc_lo, 32, v6
	v_xor_b32_e32 v8, 1, v3
	v_xor_b32_e32 v9, 63, v3
	v_dual_mov_b32 v27, 0 :: v_dual_and_b32 v26, 15, v0
	v_cndmask_b32_e32 v6, v3, v6, vcc_lo
	v_cmp_gt_i32_e32 vcc_lo, 32, v7
	v_cmp_eq_u32_e64 s0, 0, v0
	s_delay_alu instid0(VALU_DEP_4)
	v_cmp_eq_u32_e64 s1, 15, v26
	v_cmp_gt_u32_e64 s6, 0x100, v0
	v_cmp_gt_u32_e64 s7, 0x140, v0
	v_cndmask_b32_e32 v7, v3, v7, vcc_lo
	v_cmp_gt_i32_e32 vcc_lo, 32, v8
	v_cmp_gt_u32_e64 s8, 0x180, v0
	v_cmp_gt_u32_e64 s9, 0x1c0, v0
	v_or_b32_e32 v35, 0xfffffe00, v0
	v_dual_mov_b32 v38, 0x800 :: v_dual_cndmask_b32 v3, v3, v8
	v_cmp_gt_i64_e32 vcc_lo, s[34:35], v[1:2]
	s_waitcnt lgkmcnt(0)
	s_sub_u32 s46, s4, s30
	s_subb_u32 s47, s5, 0
	s_add_u32 s18, s12, s2
	v_lshlrev_b32_e32 v33, 2, v3
	v_lshlrev_b32_e32 v31, 2, v6
	v_lshlrev_b32_e32 v30, 2, v4
	v_lshlrev_b32_e32 v32, 2, v7
	v_lshrrev_b64 v[3:4], v9, -1
	v_and_b32_e32 v34, 28, v5
	v_dual_mov_b32 v4, s46 :: v_dual_mov_b32 v5, s47
	s_addc_u32 s19, s13, s3
	v_cmp_eq_u32_e64 s2, 0x1ff, v0
	v_cmp_gt_u32_e64 s3, 64, v0
	v_cmp_gt_u32_e64 s4, 0x80, v0
	;; [unrolled: 1-line block ×3, first 2 shown]
	v_dual_mov_b32 v37, 0 :: v_dual_lshlrev_b32 v0, 2, v0
	v_mov_b32_e32 v36, 1
	s_and_b32 s30, s10, vcc_lo
	s_add_u32 s45, s24, 8
	s_mov_b32 s43, s29
	s_mov_b32 s44, s31
	s_addc_u32 s46, s25, 0
	s_branch .LBB179_13
.LBB179_12:                             ;   in Loop: Header=BB179_13 Depth=1
	s_or_b32 exec_lo, exec_lo, s11
	ds_load_b32 v37, v27 offset:10240
	s_waitcnt lgkmcnt(0)
	s_barrier
	buffer_gl0_inv
	v_cmp_le_i32_e32 vcc_lo, s42, v37
	v_add_nc_u32_e32 v38, 0x800, v37
	s_cbranch_vccnz .LBB179_64
.LBB179_13:                             ; =>This Loop Header: Depth=1
                                        ;     Child Loop BB179_14 Depth 2
                                        ;     Child Loop BB179_20 Depth 2
                                        ;       Child Loop BB179_26 Depth 3
                                        ;     Child Loop BB179_43 Depth 2
                                        ;     Child Loop BB179_55 Depth 2
	;; [unrolled: 1-line block ×3, first 2 shown]
	v_dual_mov_b32 v6, v0 :: v_dual_mov_b32 v7, v35
	s_mov_b32 s10, 0
.LBB179_14:                             ;   Parent Loop BB179_13 Depth=1
                                        ; =>  This Inner Loop Header: Depth=2
	ds_store_b8 v7, v27 offset:8704
	v_add_nc_u32_e32 v7, 0x200, v7
	ds_store_b32 v6, v27
	v_add_nc_u32_e32 v6, 0x800, v6
	v_cmp_lt_u32_e32 vcc_lo, 0x5ff, v7
	s_or_b32 s10, vcc_lo, s10
	s_delay_alu instid0(SALU_CYCLE_1)
	s_and_not1_b32 exec_lo, exec_lo, s10
	s_cbranch_execnz .LBB179_14
; %bb.15:                               ;   in Loop: Header=BB179_13 Depth=1
	s_or_b32 exec_lo, exec_lo, s10
	s_and_saveexec_b32 s10, s0
	s_cbranch_execz .LBB179_17
; %bb.16:                               ;   in Loop: Header=BB179_13 Depth=1
	v_mov_b32_e32 v6, s42
	ds_store_b32 v27, v6 offset:10240
.LBB179_17:                             ;   in Loop: Header=BB179_13 Depth=1
	s_or_b32 exec_lo, exec_lo, s10
	v_mov_b32_e32 v39, s42
	s_waitcnt lgkmcnt(0)
	s_barrier
	buffer_gl0_inv
	s_and_saveexec_b32 s13, s30
	s_cbranch_execz .LBB179_39
; %bb.18:                               ;   in Loop: Header=BB179_13 Depth=1
	v_mov_b32_e32 v7, v2
	v_cmp_ne_u32_e64 s10, 0, v37
	v_dual_mov_b32 v39, s42 :: v_dual_mov_b32 v6, v1
	s_mov_b32 s47, 0
	s_branch .LBB179_20
.LBB179_19:                             ;   in Loop: Header=BB179_20 Depth=2
	s_or_b32 exec_lo, exec_lo, s12
	v_add_co_u32 v6, vcc_lo, v6, 32
	v_add_co_ci_u32_e32 v7, vcc_lo, 0, v7, vcc_lo
	s_delay_alu instid0(VALU_DEP_1) | instskip(SKIP_1) | instid1(SALU_CYCLE_1)
	v_cmp_le_i64_e32 vcc_lo, s[34:35], v[6:7]
	s_or_b32 s47, vcc_lo, s47
	s_and_not1_b32 exec_lo, exec_lo, s47
	s_cbranch_execz .LBB179_38
.LBB179_20:                             ;   Parent Loop BB179_13 Depth=1
                                        ; =>  This Loop Header: Depth=2
                                        ;       Child Loop BB179_26 Depth 3
	s_delay_alu instid0(VALU_DEP_1) | instskip(NEXT) | instid1(VALU_DEP_1)
	v_lshlrev_b64 v[8:9], 2, v[6:7]
	v_add_co_u32 v10, vcc_lo, s20, v8
	s_delay_alu instid0(VALU_DEP_2)
	v_add_co_ci_u32_e32 v11, vcc_lo, s21, v9, vcc_lo
	v_add_co_u32 v8, vcc_lo, s22, v8
	v_add_co_ci_u32_e32 v9, vcc_lo, s23, v9, vcc_lo
	global_load_b32 v10, v[10:11], off
	s_and_b32 vcc_lo, exec_lo, s10
	global_load_b32 v16, v[8:9], off
	v_lshlrev_b64 v[8:9], 3, v[6:7]
	s_waitcnt vmcnt(1)
	v_subrev_nc_u32_e32 v10, s28, v10
	s_delay_alu instid0(VALU_DEP_1)
	v_ashrrev_i32_e32 v11, 31, v10
	s_cbranch_vccz .LBB179_37
; %bb.21:                               ;   in Loop: Header=BB179_20 Depth=2
	s_waitcnt lgkmcnt(0)
	v_add_co_u32 v12, vcc_lo, s38, v8
	v_add_co_ci_u32_e32 v13, vcc_lo, s39, v9, vcc_lo
	global_load_b64 v[14:15], v[12:13], off
	s_cbranch_execnz .LBB179_23
.LBB179_22:                             ;   in Loop: Header=BB179_20 Depth=2
	s_waitcnt lgkmcnt(0)
	s_delay_alu instid0(VALU_DEP_1) | instskip(NEXT) | instid1(VALU_DEP_1)
	v_lshlrev_b64 v[12:13], 3, v[10:11]
	v_add_co_u32 v12, vcc_lo, s24, v12
	s_delay_alu instid0(VALU_DEP_2)
	v_add_co_ci_u32_e32 v13, vcc_lo, s25, v13, vcc_lo
	global_load_b64 v[12:13], v[12:13], off
	s_waitcnt vmcnt(0)
	v_sub_co_u32 v14, vcc_lo, v12, s43
	v_subrev_co_ci_u32_e32 v15, vcc_lo, 0, v13, vcc_lo
.LBB179_23:                             ;   in Loop: Header=BB179_20 Depth=2
	v_lshlrev_b64 v[10:11], 3, v[10:11]
	s_mov_b32 s48, exec_lo
	s_delay_alu instid0(VALU_DEP_1) | instskip(NEXT) | instid1(VALU_DEP_2)
	v_add_co_u32 v10, vcc_lo, s45, v10
	v_add_co_ci_u32_e32 v11, vcc_lo, s46, v11, vcc_lo
	global_load_b64 v[10:11], v[10:11], off
	s_waitcnt vmcnt(0) lgkmcnt(0)
	v_sub_co_u32 v12, vcc_lo, v10, s43
	v_subrev_co_ci_u32_e32 v13, vcc_lo, 0, v11, vcc_lo
	v_add_co_u32 v10, vcc_lo, v14, v26
	v_add_co_ci_u32_e32 v11, vcc_lo, 0, v15, vcc_lo
	s_delay_alu instid0(VALU_DEP_1)
	v_cmpx_lt_i64_e64 v[10:11], v[12:13]
	s_cbranch_execz .LBB179_35
; %bb.24:                               ;   in Loop: Header=BB179_20 Depth=2
	v_lshlrev_b64 v[17:18], 2, v[10:11]
	v_mul_f32_e32 v40, v24, v16
	s_mov_b32 s50, 0
                                        ; implicit-def: $sgpr49
                                        ; implicit-def: $sgpr51
	s_delay_alu instid0(VALU_DEP_2) | instskip(NEXT) | instid1(VALU_DEP_3)
	v_add_co_u32 v14, vcc_lo, s26, v17
	v_add_co_ci_u32_e32 v15, vcc_lo, s27, v18, vcc_lo
	v_add_co_u32 v16, vcc_lo, s40, v17
	v_add_co_ci_u32_e32 v17, vcc_lo, s41, v18, vcc_lo
	v_dual_mov_b32 v19, v11 :: v_dual_mov_b32 v18, v10
	s_branch .LBB179_26
.LBB179_25:                             ;   in Loop: Header=BB179_26 Depth=3
	s_or_b32 exec_lo, exec_lo, s12
	s_delay_alu instid0(SALU_CYCLE_1) | instskip(SKIP_4) | instid1(SALU_CYCLE_1)
	s_and_b32 s11, exec_lo, s52
	v_dual_mov_b32 v18, v20 :: v_dual_mov_b32 v19, v21
	s_or_b32 s50, s11, s50
	s_and_not1_b32 s11, s49, exec_lo
	s_and_b32 s12, s51, exec_lo
	s_or_b32 s49, s11, s12
	s_and_not1_b32 exec_lo, exec_lo, s50
	s_cbranch_execz .LBB179_32
.LBB179_26:                             ;   Parent Loop BB179_13 Depth=1
                                        ;     Parent Loop BB179_20 Depth=2
                                        ; =>    This Inner Loop Header: Depth=3
	global_load_b32 v20, v[14:15], off
	s_waitcnt vmcnt(0)
	v_subrev_nc_u32_e32 v41, s29, v20
	s_delay_alu instid0(VALU_DEP_1) | instskip(SKIP_2) | instid1(VALU_DEP_2)
	v_cmp_lt_i32_e64 s11, v41, v37
	v_cmp_ge_i32_e64 s12, v41, v38
	v_cmp_lt_i32_e32 vcc_lo, v41, v38
	s_or_b32 s52, s11, s12
	s_mov_b32 s11, 0
                                        ; implicit-def: $sgpr12
	s_and_saveexec_b32 s53, s52
	s_delay_alu instid0(SALU_CYCLE_1)
	s_xor_b32 s52, exec_lo, s53
; %bb.27:                               ;   in Loop: Header=BB179_26 Depth=3
	s_mov_b32 s12, -1
	s_and_b32 s11, vcc_lo, exec_lo
; %bb.28:                               ;   in Loop: Header=BB179_26 Depth=3
	s_and_not1_saveexec_b32 s52, s52
	s_cbranch_execz .LBB179_30
; %bb.29:                               ;   in Loop: Header=BB179_26 Depth=3
	global_load_b32 v20, v[16:17], off
	v_sub_nc_u32_e32 v21, v41, v37
	s_or_b32 s11, s11, exec_lo
	s_delay_alu instid0(VALU_DEP_1)
	v_lshlrev_b32_e32 v22, 2, v21
	ds_store_b8 v21, v36 offset:8192
	s_waitcnt vmcnt(0)
	v_mul_f32_e32 v20, v40, v20
	ds_add_f32 v22, v20
.LBB179_30:                             ;   in Loop: Header=BB179_26 Depth=3
	s_or_b32 exec_lo, exec_lo, s52
	v_dual_mov_b32 v23, v19 :: v_dual_mov_b32 v22, v18
	s_and_not1_b32 s51, s51, exec_lo
	s_and_b32 s12, s12, exec_lo
	s_mov_b32 s52, -1
	s_or_b32 s51, s51, s12
                                        ; implicit-def: $vgpr20_vgpr21
	s_and_saveexec_b32 s12, s11
	s_cbranch_execz .LBB179_25
; %bb.31:                               ;   in Loop: Header=BB179_26 Depth=3
	v_add_co_u32 v20, vcc_lo, v18, 16
	v_add_co_ci_u32_e32 v21, vcc_lo, 0, v19, vcc_lo
	v_add_co_u32 v14, vcc_lo, v14, 64
	v_add_co_ci_u32_e32 v15, vcc_lo, 0, v15, vcc_lo
	s_delay_alu instid0(VALU_DEP_3) | instskip(SKIP_1) | instid1(VALU_DEP_1)
	v_cmp_ge_i64_e32 vcc_lo, v[20:21], v[12:13]
	v_add_co_u32 v16, s11, v16, 64
	v_add_co_ci_u32_e64 v17, s11, 0, v17, s11
	v_dual_mov_b32 v23, v19 :: v_dual_mov_b32 v22, v18
	s_and_not1_b32 s51, s51, exec_lo
	s_or_not1_b32 s52, vcc_lo, exec_lo
	s_branch .LBB179_25
.LBB179_32:                             ;   in Loop: Header=BB179_20 Depth=2
	s_or_b32 exec_lo, exec_lo, s50
	s_and_saveexec_b32 s11, s49
	s_delay_alu instid0(SALU_CYCLE_1)
	s_xor_b32 s11, exec_lo, s11
; %bb.33:                               ;   in Loop: Header=BB179_20 Depth=2
	v_min_i32_e32 v39, v41, v39
	v_dual_mov_b32 v10, v22 :: v_dual_mov_b32 v11, v23
; %bb.34:                               ;   in Loop: Header=BB179_20 Depth=2
	s_or_b32 exec_lo, exec_lo, s11
.LBB179_35:                             ;   in Loop: Header=BB179_20 Depth=2
	s_delay_alu instid0(SALU_CYCLE_1)
	s_or_b32 exec_lo, exec_lo, s48
	ds_bpermute_b32 v12, v30, v10
	ds_bpermute_b32 v13, v30, v11
	s_waitcnt lgkmcnt(0)
	v_cmp_lt_i64_e32 vcc_lo, v[12:13], v[10:11]
	v_dual_cndmask_b32 v11, v11, v13 :: v_dual_cndmask_b32 v10, v10, v12
	ds_bpermute_b32 v13, v31, v11
	ds_bpermute_b32 v12, v31, v10
	s_waitcnt lgkmcnt(0)
	v_cmp_lt_i64_e32 vcc_lo, v[12:13], v[10:11]
	v_dual_cndmask_b32 v11, v11, v13 :: v_dual_cndmask_b32 v10, v10, v12
	;; [unrolled: 5-line block ×3, first 2 shown]
	ds_bpermute_b32 v13, v33, v11
	ds_bpermute_b32 v12, v33, v10
	s_and_saveexec_b32 s12, s1
	s_cbranch_execz .LBB179_19
; %bb.36:                               ;   in Loop: Header=BB179_20 Depth=2
	s_waitcnt lgkmcnt(0)
	v_cmp_lt_i64_e32 vcc_lo, v[12:13], v[10:11]
	v_add_co_u32 v8, s11, s38, v8
	s_delay_alu instid0(VALU_DEP_1)
	v_add_co_ci_u32_e64 v9, s11, s39, v9, s11
	v_dual_cndmask_b32 v11, v11, v13 :: v_dual_cndmask_b32 v10, v10, v12
	global_store_b64 v[8:9], v[10:11], off
	s_branch .LBB179_19
.LBB179_37:                             ;   in Loop: Header=BB179_20 Depth=2
                                        ; implicit-def: $vgpr14_vgpr15
	s_branch .LBB179_22
.LBB179_38:                             ;   in Loop: Header=BB179_13 Depth=1
	s_or_b32 exec_lo, exec_lo, s47
.LBB179_39:                             ;   in Loop: Header=BB179_13 Depth=1
	s_delay_alu instid0(SALU_CYCLE_1) | instskip(NEXT) | instid1(SALU_CYCLE_1)
	s_or_b32 exec_lo, exec_lo, s13
	s_and_not1_b32 vcc_lo, exec_lo, s33
	s_cbranch_vccnz .LBB179_53
; %bb.40:                               ;   in Loop: Header=BB179_13 Depth=1
	s_load_b128 s[48:51], s[18:19], 0x0
	s_mov_b32 s47, exec_lo
	s_waitcnt lgkmcnt(0)
	v_add_co_u32 v6, vcc_lo, s48, v28
	v_add_co_ci_u32_e32 v7, vcc_lo, s49, v29, vcc_lo
	s_sub_u32 s12, s50, s44
	s_subb_u32 s13, s51, 0
	s_delay_alu instid0(VALU_DEP_1) | instid1(SALU_CYCLE_1)
	v_cmpx_gt_i64_e64 s[12:13], v[6:7]
	s_cbranch_execz .LBB179_52
; %bb.41:                               ;   in Loop: Header=BB179_13 Depth=1
	v_lshlrev_b64 v[10:11], 2, v[6:7]
	s_mov_b32 s48, 0
                                        ; implicit-def: $sgpr49
                                        ; implicit-def: $sgpr50
	s_delay_alu instid0(VALU_DEP_1) | instskip(NEXT) | instid1(VALU_DEP_2)
	v_add_co_u32 v8, vcc_lo, s14, v10
	v_add_co_ci_u32_e32 v9, vcc_lo, s15, v11, vcc_lo
	v_add_co_u32 v10, vcc_lo, s16, v10
	v_add_co_ci_u32_e32 v11, vcc_lo, s17, v11, vcc_lo
	s_branch .LBB179_43
.LBB179_42:                             ;   in Loop: Header=BB179_43 Depth=2
	s_or_b32 exec_lo, exec_lo, s11
	s_delay_alu instid0(SALU_CYCLE_1) | instskip(NEXT) | instid1(SALU_CYCLE_1)
	s_and_b32 s10, exec_lo, s51
	s_or_b32 s48, s10, s48
	s_and_not1_b32 s10, s49, exec_lo
	s_and_b32 s11, s50, exec_lo
	s_delay_alu instid0(SALU_CYCLE_1)
	s_or_b32 s49, s10, s11
	s_and_not1_b32 exec_lo, exec_lo, s48
	s_cbranch_execz .LBB179_49
.LBB179_43:                             ;   Parent Loop BB179_13 Depth=1
                                        ; =>  This Inner Loop Header: Depth=2
	global_load_b32 v12, v[8:9], off
	s_waitcnt vmcnt(0)
	v_subrev_nc_u32_e32 v12, s31, v12
	s_delay_alu instid0(VALU_DEP_1) | instskip(SKIP_2) | instid1(VALU_DEP_2)
	v_cmp_lt_i32_e64 s10, v12, v37
	v_cmp_ge_i32_e64 s11, v12, v38
	v_cmp_lt_i32_e32 vcc_lo, v12, v38
	s_or_b32 s51, s10, s11
	s_mov_b32 s10, 0
                                        ; implicit-def: $sgpr11
	s_and_saveexec_b32 s52, s51
	s_delay_alu instid0(SALU_CYCLE_1)
	s_xor_b32 s51, exec_lo, s52
; %bb.44:                               ;   in Loop: Header=BB179_43 Depth=2
	s_mov_b32 s11, -1
	s_and_b32 s10, vcc_lo, exec_lo
; %bb.45:                               ;   in Loop: Header=BB179_43 Depth=2
	s_and_not1_saveexec_b32 s51, s51
	s_cbranch_execz .LBB179_47
; %bb.46:                               ;   in Loop: Header=BB179_43 Depth=2
	global_load_b32 v13, v[10:11], off
	v_sub_nc_u32_e32 v14, v12, v37
	s_or_b32 s10, s10, exec_lo
	s_delay_alu instid0(VALU_DEP_1)
	v_lshlrev_b32_e32 v15, 2, v14
	ds_store_b8 v14, v36 offset:8192
	s_waitcnt vmcnt(0)
	v_mul_f32_e32 v13, v25, v13
	ds_add_f32 v15, v13
.LBB179_47:                             ;   in Loop: Header=BB179_43 Depth=2
	s_or_b32 exec_lo, exec_lo, s51
	s_delay_alu instid0(SALU_CYCLE_1)
	s_and_not1_b32 s50, s50, exec_lo
	s_and_b32 s11, s11, exec_lo
	s_mov_b32 s51, -1
	s_or_b32 s50, s50, s11
	s_and_saveexec_b32 s11, s10
	s_cbranch_execz .LBB179_42
; %bb.48:                               ;   in Loop: Header=BB179_43 Depth=2
	v_add_co_u32 v6, vcc_lo, 0x200, v6
	v_add_co_ci_u32_e32 v7, vcc_lo, 0, v7, vcc_lo
	v_add_co_u32 v8, vcc_lo, 0x800, v8
	v_add_co_ci_u32_e32 v9, vcc_lo, 0, v9, vcc_lo
	s_delay_alu instid0(VALU_DEP_3) | instskip(SKIP_1) | instid1(VALU_DEP_1)
	v_cmp_le_i64_e32 vcc_lo, s[12:13], v[6:7]
	v_add_co_u32 v10, s10, 0x800, v10
	v_add_co_ci_u32_e64 v11, s10, 0, v11, s10
	s_and_not1_b32 s50, s50, exec_lo
	s_or_not1_b32 s51, vcc_lo, exec_lo
	s_branch .LBB179_42
.LBB179_49:                             ;   in Loop: Header=BB179_13 Depth=1
	s_or_b32 exec_lo, exec_lo, s48
	s_and_saveexec_b32 s10, s49
	s_delay_alu instid0(SALU_CYCLE_1)
	s_xor_b32 s10, exec_lo, s10
; %bb.50:                               ;   in Loop: Header=BB179_13 Depth=1
	v_min_i32_e32 v39, v12, v39
; %bb.51:                               ;   in Loop: Header=BB179_13 Depth=1
	s_or_b32 exec_lo, exec_lo, s10
.LBB179_52:                             ;   in Loop: Header=BB179_13 Depth=1
	s_delay_alu instid0(SALU_CYCLE_1)
	s_or_b32 exec_lo, exec_lo, s47
.LBB179_53:                             ;   in Loop: Header=BB179_13 Depth=1
	ds_bpermute_b32 v6, v30, v39
	s_waitcnt lgkmcnt(0)
	v_min_i32_e32 v6, v6, v39
	ds_bpermute_b32 v7, v31, v6
	s_waitcnt lgkmcnt(0)
	v_min_i32_e32 v6, v7, v6
	;; [unrolled: 3-line block ×3, first 2 shown]
	ds_bpermute_b32 v7, v33, v6
	s_and_saveexec_b32 s10, s1
	s_cbranch_execz .LBB179_58
; %bb.54:                               ;   in Loop: Header=BB179_13 Depth=1
	s_waitcnt lgkmcnt(0)
	v_min_i32_e32 v6, v7, v6
	s_mov_b32 s12, exec_lo
	s_brev_b32 s11, -2
.LBB179_55:                             ;   Parent Loop BB179_13 Depth=1
                                        ; =>  This Inner Loop Header: Depth=2
	s_ctz_i32_b32 s13, s12
	s_delay_alu instid0(VALU_DEP_1) | instid1(SALU_CYCLE_1)
	v_readlane_b32 s47, v6, s13
	s_lshl_b32 s13, 1, s13
	s_delay_alu instid0(SALU_CYCLE_1) | instskip(NEXT) | instid1(VALU_DEP_1)
	s_and_not1_b32 s12, s12, s13
	s_min_i32 s11, s11, s47
	s_cmp_lg_u32 s12, 0
	s_cbranch_scc1 .LBB179_55
; %bb.56:                               ;   in Loop: Header=BB179_13 Depth=1
	v_mbcnt_lo_u32_b32 v6, exec_lo, 0
	s_mov_b32 s12, exec_lo
	s_delay_alu instid0(VALU_DEP_1)
	v_cmpx_eq_u32_e32 0, v6
	s_xor_b32 s12, exec_lo, s12
	s_cbranch_execz .LBB179_58
; %bb.57:                               ;   in Loop: Header=BB179_13 Depth=1
	v_mov_b32_e32 v6, s11
	ds_min_i32 v27, v6 offset:10240
.LBB179_58:                             ;   in Loop: Header=BB179_13 Depth=1
	s_or_b32 exec_lo, exec_lo, s10
	v_dual_mov_b32 v8, v0 :: v_dual_mov_b32 v9, v35
	s_mov_b32 s11, 0
	s_waitcnt lgkmcnt(0)
	s_waitcnt_vscnt null, 0x0
	s_barrier
	buffer_gl0_inv
	s_branch .LBB179_60
.LBB179_59:                             ;   in Loop: Header=BB179_60 Depth=2
	s_or_b32 exec_lo, exec_lo, s10
	s_waitcnt lgkmcnt(0)
	s_waitcnt_vscnt null, 0x0
	s_barrier
	buffer_gl0_inv
	ds_load_b32 v6, v27 offset:28
	v_add_nc_u32_e32 v9, 0x200, v9
	v_add_nc_u32_e32 v8, 0x800, v8
	s_delay_alu instid0(VALU_DEP_2) | instskip(SKIP_4) | instid1(VALU_DEP_1)
	v_cmp_lt_u32_e32 vcc_lo, 0x5ff, v9
	s_or_b32 s11, vcc_lo, s11
	s_waitcnt lgkmcnt(0)
	v_ashrrev_i32_e32 v7, 31, v6
	v_add_co_u32 v4, s10, v4, v6
	v_add_co_ci_u32_e64 v5, s10, v5, v7, s10
	s_and_not1_b32 exec_lo, exec_lo, s11
	s_cbranch_execz .LBB179_12
.LBB179_60:                             ;   Parent Loop BB179_13 Depth=1
                                        ; =>  This Inner Loop Header: Depth=2
	ds_load_u8 v6, v9 offset:8704
	ds_load_b32 v10, v8
	s_waitcnt lgkmcnt(0)
	s_barrier
	buffer_gl0_inv
	v_cmp_ne_u16_e32 vcc_lo, 0, v6
	s_bcnt1_i32_b32 s10, vcc_lo
	s_delay_alu instid0(SALU_CYCLE_1)
	v_mov_b32_e32 v7, s10
	s_mov_b32 s10, exec_lo
	ds_store_b32 v34, v7
	s_waitcnt lgkmcnt(0)
	s_barrier
	buffer_gl0_inv
	ds_load_b128 v[11:14], v27
	ds_load_b96 v[15:17], v27 offset:16
	v_and_b32_e32 v7, vcc_lo, v3
	s_waitcnt lgkmcnt(1)
	v_cndmask_b32_e64 v11, v11, 0, s3
	v_cndmask_b32_e64 v12, v12, 0, s4
	;; [unrolled: 1-line block ×3, first 2 shown]
	s_delay_alu instid0(VALU_DEP_3) | instskip(SKIP_3) | instid1(VALU_DEP_3)
	v_bcnt_u32_b32 v7, v7, v11
	v_cndmask_b32_e64 v11, v14, 0, s6
	s_waitcnt lgkmcnt(0)
	v_cndmask_b32_e64 v14, v15, 0, s7
	v_add3_u32 v7, v7, v12, v13
	v_cndmask_b32_e64 v12, v16, 0, s8
	v_cndmask_b32_e64 v13, v17, 0, s9
	s_delay_alu instid0(VALU_DEP_3) | instskip(SKIP_1) | instid1(VALU_DEP_2)
	v_add3_u32 v7, v7, v11, v14
	v_and_b32_e32 v11, 1, v6
	v_add3_u32 v6, v7, v12, v13
	s_delay_alu instid0(VALU_DEP_2)
	v_cmpx_eq_u32_e32 1, v11
	s_cbranch_execz .LBB179_62
; %bb.61:                               ;   in Loop: Header=BB179_60 Depth=2
	s_delay_alu instid0(VALU_DEP_2) | instskip(SKIP_1) | instid1(VALU_DEP_2)
	v_ashrrev_i32_e32 v7, 31, v6
	v_lshlrev_b64 v[11:12], 2, v[4:5]
	v_lshlrev_b64 v[13:14], 2, v[6:7]
	s_delay_alu instid0(VALU_DEP_2) | instskip(NEXT) | instid1(VALU_DEP_3)
	v_add_co_u32 v7, vcc_lo, s36, v11
	v_add_co_ci_u32_e32 v12, vcc_lo, s37, v12, vcc_lo
	s_delay_alu instid0(VALU_DEP_2) | instskip(NEXT) | instid1(VALU_DEP_2)
	v_add_co_u32 v11, vcc_lo, v7, v13
	v_add_co_ci_u32_e32 v12, vcc_lo, v12, v14, vcc_lo
	global_store_b32 v[11:12], v10, off offset:-4
.LBB179_62:                             ;   in Loop: Header=BB179_60 Depth=2
	s_or_b32 exec_lo, exec_lo, s10
	s_and_saveexec_b32 s10, s2
	s_cbranch_execz .LBB179_59
; %bb.63:                               ;   in Loop: Header=BB179_60 Depth=2
	ds_store_b32 v27, v6 offset:28
	s_branch .LBB179_59
.LBB179_64:
	s_endpgm
	.section	.rodata,"a",@progbits
	.p2align	6, 0x0
	.amdhsa_kernel _ZN9rocsparseL51csrgemm_numeric_fill_block_per_row_multipass_kernelILj512ELj16ELj2048ELj64ElifEEvT4_PKS1_S3_NS_24const_host_device_scalarIT5_EEPKT3_S3_PKS5_S9_S3_SB_S6_S9_S3_SB_S9_S3_PS5_PS7_21rocsparse_index_base_SE_SE_SE_bbb
		.amdhsa_group_segment_fixed_size 10244
		.amdhsa_private_segment_fixed_size 0
		.amdhsa_kernarg_size 164
		.amdhsa_user_sgpr_count 15
		.amdhsa_user_sgpr_dispatch_ptr 0
		.amdhsa_user_sgpr_queue_ptr 0
		.amdhsa_user_sgpr_kernarg_segment_ptr 1
		.amdhsa_user_sgpr_dispatch_id 0
		.amdhsa_user_sgpr_private_segment_size 0
		.amdhsa_wavefront_size32 1
		.amdhsa_uses_dynamic_stack 0
		.amdhsa_enable_private_segment 0
		.amdhsa_system_sgpr_workgroup_id_x 1
		.amdhsa_system_sgpr_workgroup_id_y 0
		.amdhsa_system_sgpr_workgroup_id_z 0
		.amdhsa_system_sgpr_workgroup_info 0
		.amdhsa_system_vgpr_workitem_id 0
		.amdhsa_next_free_vgpr 42
		.amdhsa_next_free_sgpr 54
		.amdhsa_reserve_vcc 1
		.amdhsa_float_round_mode_32 0
		.amdhsa_float_round_mode_16_64 0
		.amdhsa_float_denorm_mode_32 3
		.amdhsa_float_denorm_mode_16_64 3
		.amdhsa_dx10_clamp 1
		.amdhsa_ieee_mode 1
		.amdhsa_fp16_overflow 0
		.amdhsa_workgroup_processor_mode 1
		.amdhsa_memory_ordered 1
		.amdhsa_forward_progress 0
		.amdhsa_shared_vgpr_count 0
		.amdhsa_exception_fp_ieee_invalid_op 0
		.amdhsa_exception_fp_denorm_src 0
		.amdhsa_exception_fp_ieee_div_zero 0
		.amdhsa_exception_fp_ieee_overflow 0
		.amdhsa_exception_fp_ieee_underflow 0
		.amdhsa_exception_fp_ieee_inexact 0
		.amdhsa_exception_int_div_zero 0
	.end_amdhsa_kernel
	.section	.text._ZN9rocsparseL51csrgemm_numeric_fill_block_per_row_multipass_kernelILj512ELj16ELj2048ELj64ElifEEvT4_PKS1_S3_NS_24const_host_device_scalarIT5_EEPKT3_S3_PKS5_S9_S3_SB_S6_S9_S3_SB_S9_S3_PS5_PS7_21rocsparse_index_base_SE_SE_SE_bbb,"axG",@progbits,_ZN9rocsparseL51csrgemm_numeric_fill_block_per_row_multipass_kernelILj512ELj16ELj2048ELj64ElifEEvT4_PKS1_S3_NS_24const_host_device_scalarIT5_EEPKT3_S3_PKS5_S9_S3_SB_S6_S9_S3_SB_S9_S3_PS5_PS7_21rocsparse_index_base_SE_SE_SE_bbb,comdat
.Lfunc_end179:
	.size	_ZN9rocsparseL51csrgemm_numeric_fill_block_per_row_multipass_kernelILj512ELj16ELj2048ELj64ElifEEvT4_PKS1_S3_NS_24const_host_device_scalarIT5_EEPKT3_S3_PKS5_S9_S3_SB_S6_S9_S3_SB_S9_S3_PS5_PS7_21rocsparse_index_base_SE_SE_SE_bbb, .Lfunc_end179-_ZN9rocsparseL51csrgemm_numeric_fill_block_per_row_multipass_kernelILj512ELj16ELj2048ELj64ElifEEvT4_PKS1_S3_NS_24const_host_device_scalarIT5_EEPKT3_S3_PKS5_S9_S3_SB_S6_S9_S3_SB_S9_S3_PS5_PS7_21rocsparse_index_base_SE_SE_SE_bbb
                                        ; -- End function
	.section	.AMDGPU.csdata,"",@progbits
; Kernel info:
; codeLenInByte = 2832
; NumSgprs: 56
; NumVgprs: 42
; ScratchSize: 0
; MemoryBound: 0
; FloatMode: 240
; IeeeMode: 1
; LDSByteSize: 10244 bytes/workgroup (compile time only)
; SGPRBlocks: 6
; VGPRBlocks: 5
; NumSGPRsForWavesPerEU: 56
; NumVGPRsForWavesPerEU: 42
; Occupancy: 16
; WaveLimiterHint : 1
; COMPUTE_PGM_RSRC2:SCRATCH_EN: 0
; COMPUTE_PGM_RSRC2:USER_SGPR: 15
; COMPUTE_PGM_RSRC2:TRAP_HANDLER: 0
; COMPUTE_PGM_RSRC2:TGID_X_EN: 1
; COMPUTE_PGM_RSRC2:TGID_Y_EN: 0
; COMPUTE_PGM_RSRC2:TGID_Z_EN: 0
; COMPUTE_PGM_RSRC2:TIDIG_COMP_CNT: 0
	.section	.text._ZN9rocsparseL38csrgemm_numeric_fill_wf_per_row_kernelILj256ELj8ELj16ELj137ElidEEvT4_S1_PKS1_S3_NS_24const_host_device_scalarIT5_EEPKT3_S3_PKS5_S9_S3_SB_S6_S9_S3_SB_S9_S3_PS5_21rocsparse_index_base_SD_SD_SD_bbb,"axG",@progbits,_ZN9rocsparseL38csrgemm_numeric_fill_wf_per_row_kernelILj256ELj8ELj16ELj137ElidEEvT4_S1_PKS1_S3_NS_24const_host_device_scalarIT5_EEPKT3_S3_PKS5_S9_S3_SB_S6_S9_S3_SB_S9_S3_PS5_21rocsparse_index_base_SD_SD_SD_bbb,comdat
	.globl	_ZN9rocsparseL38csrgemm_numeric_fill_wf_per_row_kernelILj256ELj8ELj16ELj137ElidEEvT4_S1_PKS1_S3_NS_24const_host_device_scalarIT5_EEPKT3_S3_PKS5_S9_S3_SB_S6_S9_S3_SB_S9_S3_PS5_21rocsparse_index_base_SD_SD_SD_bbb ; -- Begin function _ZN9rocsparseL38csrgemm_numeric_fill_wf_per_row_kernelILj256ELj8ELj16ELj137ElidEEvT4_S1_PKS1_S3_NS_24const_host_device_scalarIT5_EEPKT3_S3_PKS5_S9_S3_SB_S6_S9_S3_SB_S9_S3_PS5_21rocsparse_index_base_SD_SD_SD_bbb
	.p2align	8
	.type	_ZN9rocsparseL38csrgemm_numeric_fill_wf_per_row_kernelILj256ELj8ELj16ELj137ElidEEvT4_S1_PKS1_S3_NS_24const_host_device_scalarIT5_EEPKT3_S3_PKS5_S9_S3_SB_S6_S9_S3_SB_S9_S3_PS5_21rocsparse_index_base_SD_SD_SD_bbb,@function
_ZN9rocsparseL38csrgemm_numeric_fill_wf_per_row_kernelILj256ELj8ELj16ELj137ElidEEvT4_S1_PKS1_S3_NS_24const_host_device_scalarIT5_EEPKT3_S3_PKS5_S9_S3_SB_S6_S9_S3_SB_S9_S3_PS5_21rocsparse_index_base_SD_SD_SD_bbb: ; @_ZN9rocsparseL38csrgemm_numeric_fill_wf_per_row_kernelILj256ELj8ELj16ELj137ElidEEvT4_S1_PKS1_S3_NS_24const_host_device_scalarIT5_EEPKT3_S3_PKS5_S9_S3_SB_S6_S9_S3_SB_S9_S3_PS5_21rocsparse_index_base_SD_SD_SD_bbb
; %bb.0:
	s_clause 0x3
	s_load_b32 s14, s[0:1], 0x98
	s_load_b64 s[2:3], s[0:1], 0x18
	s_load_b128 s[24:27], s[0:1], 0x88
	s_load_b64 s[12:13], s[0:1], 0x50
	s_waitcnt lgkmcnt(0)
	s_and_b32 s4, 1, s14
	s_bitcmp1_b32 s14, 16
	s_cselect_b32 s34, -1, 0
	s_cmp_eq_u32 s4, 1
	s_cselect_b32 s33, -1, 0
	s_delay_alu instid0(SALU_CYCLE_1)
	s_and_b32 s4, s33, exec_lo
	s_cselect_b32 s5, s3, 0
	s_cselect_b32 s4, s2, 0
	s_xor_b32 s6, s33, -1
	v_dual_mov_b32 v9, s5 :: v_dual_mov_b32 v8, s4
	s_or_b32 s6, s6, s34
	s_delay_alu instid0(SALU_CYCLE_1)
	s_and_b32 vcc_lo, exec_lo, s6
	s_cbranch_vccnz .LBB180_2
; %bb.1:
	v_dual_mov_b32 v1, s2 :: v_dual_mov_b32 v2, s3
	flat_load_b64 v[8:9], v[1:2]
.LBB180_2:
	s_clause 0x4
	s_load_b64 s[2:3], s[0:1], 0x80
	s_load_b256 s[4:11], s[0:1], 0x58
	s_load_b128 s[28:31], s[0:1], 0x40
	s_load_b128 s[36:39], s[0:1], 0x8
	s_load_b256 s[16:23], s[0:1], 0x20
	s_bitcmp1_b32 s14, 8
	s_cselect_b32 s14, -1, 0
	s_delay_alu instid0(SALU_CYCLE_1)
	s_and_b32 s35, s14, exec_lo
	s_cselect_b32 s41, s13, 0
	s_cselect_b32 s40, s12, 0
	s_xor_b32 s35, s14, -1
	v_dual_mov_b32 v4, s40 :: v_dual_mov_b32 v5, s41
	s_or_b32 s34, s35, s34
	s_delay_alu instid0(SALU_CYCLE_1)
	s_and_b32 vcc_lo, exec_lo, s34
	s_cbranch_vccnz .LBB180_4
; %bb.3:
	v_dual_mov_b32 v1, s12 :: v_dual_mov_b32 v2, s13
	flat_load_b64 v[4:5], v[1:2]
.LBB180_4:
	s_load_b64 s[0:1], s[0:1], 0x0
	v_and_b32_e32 v25, 7, v0
	v_lshrrev_b32_e32 v2, 3, v0
	v_mov_b32_e32 v0, 0
	s_mov_b32 s12, 0
	s_delay_alu instid0(VALU_DEP_3) | instskip(SKIP_2) | instid1(VALU_DEP_3)
	v_lshlrev_b32_e32 v6, 3, v25
	v_or_b32_e32 v22, -8, v25
	v_lshlrev_b32_e32 v3, 2, v25
	v_lshl_or_b32 v21, v2, 7, v6
	s_delay_alu instid0(VALU_DEP_3) | instskip(NEXT) | instid1(VALU_DEP_2)
	v_dual_mov_b32 v10, v22 :: v_dual_lshlrev_b32 v1, 6, v2
	v_mov_b32_e32 v6, v21
	s_delay_alu instid0(VALU_DEP_2) | instskip(SKIP_3) | instid1(VALU_DEP_3)
	v_or3_b32 v20, v1, v3, 0x1000
	v_mov_b32_e32 v1, v0
	s_waitcnt lgkmcnt(0)
	v_mov_b32_e32 v7, s1
	v_mov_b32_e32 v3, v20
.LBB180_5:                              ; =>This Inner Loop Header: Depth=1
	v_add_co_u32 v10, s13, v10, 8
	s_delay_alu instid0(VALU_DEP_1)
	s_xor_b32 s13, s13, -1
	ds_store_b32 v3, v7
	ds_store_b64 v6, v[0:1]
	v_add_nc_u32_e32 v6, 64, v6
	v_add_nc_u32_e32 v3, 32, v3
	s_and_b32 s13, exec_lo, s13
	s_delay_alu instid0(SALU_CYCLE_1) | instskip(NEXT) | instid1(SALU_CYCLE_1)
	s_or_b32 s12, s13, s12
	s_and_not1_b32 exec_lo, exec_lo, s12
	s_cbranch_execnz .LBB180_5
; %bb.6:
	s_or_b32 exec_lo, exec_lo, s12
	s_lshl_b32 s12, s15, 5
	s_waitcnt vmcnt(0) lgkmcnt(0)
	buffer_gl0_inv
	v_and_or_b32 v0, 0x1fffffe0, s12, v2
	s_delay_alu instid0(VALU_DEP_1)
	v_cmp_gt_i32_e32 vcc_lo, s0, v0
	s_and_saveexec_b32 s0, vcc_lo
	s_cbranch_execz .LBB180_57
; %bb.7:
	s_cmp_eq_u64 s[38:39], 0
	s_cbranch_scc1 .LBB180_9
; %bb.8:
	s_load_b32 s0, s[36:37], 0x0
	s_waitcnt lgkmcnt(0)
	v_add_nc_u32_e32 v0, s0, v0
	s_delay_alu instid0(VALU_DEP_1) | instskip(NEXT) | instid1(VALU_DEP_1)
	v_ashrrev_i32_e32 v1, 31, v0
	v_lshlrev_b64 v[0:1], 2, v[0:1]
	s_delay_alu instid0(VALU_DEP_1) | instskip(NEXT) | instid1(VALU_DEP_2)
	v_add_co_u32 v0, vcc_lo, s38, v0
	v_add_co_ci_u32_e32 v1, vcc_lo, s39, v1, vcc_lo
	global_load_b32 v0, v[0:1], off
.LBB180_9:
	s_waitcnt vmcnt(0)
	v_ashrrev_i32_e32 v1, 31, v0
	v_lshl_or_b32 v23, v2, 6, 0x1000
	v_lshlrev_b32_e32 v24, 7, v2
	s_and_not1_b32 vcc_lo, exec_lo, s33
	s_delay_alu instid0(VALU_DEP_3)
	v_lshlrev_b64 v[6:7], 3, v[0:1]
	s_cbranch_vccnz .LBB180_33
; %bb.10:
	s_delay_alu instid0(VALU_DEP_1) | instskip(NEXT) | instid1(VALU_DEP_2)
	v_add_co_u32 v0, vcc_lo, s16, v6
	v_add_co_ci_u32_e32 v1, vcc_lo, s17, v7, vcc_lo
	v_sub_co_u32 v12, s0, v25, s24
	s_delay_alu instid0(VALU_DEP_1)
	v_sub_co_ci_u32_e64 v13, null, 0, 0, s0
	global_load_b128 v[0:3], v[0:1], off
	s_mov_b32 s12, 0
	s_mov_b32 s0, exec_lo
	s_waitcnt vmcnt(0)
	v_sub_co_u32 v10, vcc_lo, v2, s24
	v_subrev_co_ci_u32_e32 v11, vcc_lo, 0, v3, vcc_lo
	v_add_co_u32 v12, vcc_lo, v0, v12
	v_add_co_ci_u32_e32 v13, vcc_lo, v1, v13, vcc_lo
	s_delay_alu instid0(VALU_DEP_1)
	v_cmpx_lt_i64_e64 v[12:13], v[10:11]
	s_cbranch_execz .LBB180_32
; %bb.11:
	s_mov_b32 s13, s25
	s_branch .LBB180_13
.LBB180_12:                             ;   in Loop: Header=BB180_13 Depth=1
	s_or_b32 exec_lo, exec_lo, s15
	v_add_co_u32 v12, vcc_lo, v12, 8
	v_add_co_ci_u32_e32 v13, vcc_lo, 0, v13, vcc_lo
	s_delay_alu instid0(VALU_DEP_1) | instskip(SKIP_1) | instid1(SALU_CYCLE_1)
	v_cmp_ge_i64_e32 vcc_lo, v[12:13], v[10:11]
	s_or_b32 s12, vcc_lo, s12
	s_and_not1_b32 exec_lo, exec_lo, s12
	s_cbranch_execz .LBB180_32
.LBB180_13:                             ; =>This Loop Header: Depth=1
                                        ;     Child Loop BB180_16 Depth 2
                                        ;       Child Loop BB180_18 Depth 3
                                        ;         Child Loop BB180_24 Depth 4
                                        ;         Child Loop BB180_30 Depth 4
	v_lshlrev_b64 v[0:1], 2, v[12:13]
	s_mov_b32 s15, exec_lo
	s_delay_alu instid0(VALU_DEP_1) | instskip(NEXT) | instid1(VALU_DEP_2)
	v_add_co_u32 v0, vcc_lo, s18, v0
	v_add_co_ci_u32_e32 v1, vcc_lo, s19, v1, vcc_lo
	global_load_b32 v0, v[0:1], off
	s_waitcnt vmcnt(0)
	v_subrev_nc_u32_e32 v0, s24, v0
	s_delay_alu instid0(VALU_DEP_1) | instskip(NEXT) | instid1(VALU_DEP_1)
	v_ashrrev_i32_e32 v1, 31, v0
	v_lshlrev_b64 v[0:1], 3, v[0:1]
	s_delay_alu instid0(VALU_DEP_1) | instskip(NEXT) | instid1(VALU_DEP_2)
	v_add_co_u32 v0, vcc_lo, s22, v0
	v_add_co_ci_u32_e32 v1, vcc_lo, s23, v1, vcc_lo
	global_load_b128 v[0:3], v[0:1], off
	s_waitcnt vmcnt(0)
	v_cmpx_lt_i64_e64 v[0:1], v[2:3]
	s_cbranch_execz .LBB180_12
; %bb.14:                               ;   in Loop: Header=BB180_13 Depth=1
	v_lshlrev_b64 v[14:15], 3, v[12:13]
	s_mov_b32 s16, 0
	s_delay_alu instid0(VALU_DEP_1) | instskip(NEXT) | instid1(VALU_DEP_2)
	v_add_co_u32 v14, vcc_lo, s20, v14
	v_add_co_ci_u32_e32 v15, vcc_lo, s21, v15, vcc_lo
	v_sub_co_u32 v2, vcc_lo, v2, s13
	v_subrev_co_ci_u32_e32 v3, vcc_lo, 0, v3, vcc_lo
	global_load_b64 v[14:15], v[14:15], off
	v_sub_co_u32 v0, vcc_lo, v0, s13
	v_subrev_co_ci_u32_e32 v1, vcc_lo, 0, v1, vcc_lo
	s_waitcnt vmcnt(0)
	v_mul_f64 v[14:15], v[8:9], v[14:15]
	s_branch .LBB180_16
.LBB180_15:                             ;   in Loop: Header=BB180_16 Depth=2
	s_or_b32 exec_lo, exec_lo, s17
	v_add_co_u32 v0, vcc_lo, v0, 1
	v_add_co_ci_u32_e32 v1, vcc_lo, 0, v1, vcc_lo
	s_delay_alu instid0(VALU_DEP_1) | instskip(SKIP_1) | instid1(SALU_CYCLE_1)
	v_cmp_ge_i64_e32 vcc_lo, v[0:1], v[2:3]
	s_or_b32 s16, vcc_lo, s16
	s_and_not1_b32 exec_lo, exec_lo, s16
	s_cbranch_execz .LBB180_12
.LBB180_16:                             ;   Parent Loop BB180_13 Depth=1
                                        ; =>  This Loop Header: Depth=2
                                        ;       Child Loop BB180_18 Depth 3
                                        ;         Child Loop BB180_24 Depth 4
                                        ;         Child Loop BB180_30 Depth 4
	s_delay_alu instid0(VALU_DEP_2) | instskip(SKIP_2) | instid1(VALU_DEP_2)
	v_lshlrev_b64 v[16:17], 3, v[0:1]
	v_lshlrev_b64 v[18:19], 2, v[0:1]
	s_mov_b32 s17, 0
	v_add_co_u32 v16, vcc_lo, s30, v16
	s_delay_alu instid0(VALU_DEP_3) | instskip(NEXT) | instid1(VALU_DEP_3)
	v_add_co_ci_u32_e32 v17, vcc_lo, s31, v17, vcc_lo
	v_add_co_u32 v18, vcc_lo, s28, v18
	s_delay_alu instid0(VALU_DEP_4)
	v_add_co_ci_u32_e32 v19, vcc_lo, s29, v19, vcc_lo
	global_load_b64 v[16:17], v[16:17], off
	global_load_b32 v18, v[18:19], off
	s_waitcnt vmcnt(1)
	v_mul_f64 v[16:17], v[14:15], v[16:17]
	s_waitcnt vmcnt(0)
	v_subrev_nc_u32_e32 v26, s25, v18
	s_delay_alu instid0(VALU_DEP_1) | instskip(NEXT) | instid1(VALU_DEP_1)
	v_lshl_add_u32 v18, v26, 3, v26
	v_and_b32_e32 v27, 15, v18
	s_branch .LBB180_18
.LBB180_17:                             ;   in Loop: Header=BB180_18 Depth=3
	s_or_b32 exec_lo, exec_lo, s33
	s_xor_b32 s33, s34, -1
	s_delay_alu instid0(SALU_CYCLE_1) | instskip(NEXT) | instid1(SALU_CYCLE_1)
	s_and_b32 s33, exec_lo, s33
	s_or_b32 s17, s33, s17
	s_delay_alu instid0(SALU_CYCLE_1)
	s_and_not1_b32 exec_lo, exec_lo, s17
	s_cbranch_execz .LBB180_15
.LBB180_18:                             ;   Parent Loop BB180_13 Depth=1
                                        ;     Parent Loop BB180_16 Depth=2
                                        ; =>    This Loop Header: Depth=3
                                        ;         Child Loop BB180_24 Depth 4
                                        ;         Child Loop BB180_30 Depth 4
	s_delay_alu instid0(VALU_DEP_1)
	v_lshl_add_u32 v18, v27, 2, v23
	s_mov_b32 s33, exec_lo
                                        ; implicit-def: $sgpr34
	ds_load_b32 v19, v18
	s_waitcnt lgkmcnt(0)
	v_cmpx_ne_u32_e64 v19, v26
	s_xor_b32 s33, exec_lo, s33
	s_cbranch_execz .LBB180_28
; %bb.19:                               ;   in Loop: Header=BB180_18 Depth=3
	s_mov_b32 s35, exec_lo
                                        ; implicit-def: $sgpr34
	v_cmpx_ne_u32_e64 s1, v19
	s_xor_b32 s35, exec_lo, s35
; %bb.20:                               ;   in Loop: Header=BB180_18 Depth=3
	v_add_nc_u32_e32 v18, 1, v27
	s_mov_b32 s34, -1
	s_delay_alu instid0(VALU_DEP_1)
	v_and_b32_e32 v27, 15, v18
                                        ; implicit-def: $vgpr18
; %bb.21:                               ;   in Loop: Header=BB180_18 Depth=3
	s_and_not1_saveexec_b32 s35, s35
	s_cbranch_execz .LBB180_27
; %bb.22:                               ;   in Loop: Header=BB180_18 Depth=3
	v_mov_b32_e32 v19, s1
	s_mov_b32 s37, -1
	s_mov_b32 s36, exec_lo
	ds_cmpstore_rtn_b32 v18, v18, v26, v19
	s_waitcnt lgkmcnt(0)
	v_cmpx_eq_u32_e64 s1, v18
	s_cbranch_execz .LBB180_26
; %bb.23:                               ;   in Loop: Header=BB180_18 Depth=3
	v_lshl_add_u32 v28, v27, 3, v24
	s_mov_b32 s37, 0
	ds_load_b64 v[18:19], v28
.LBB180_24:                             ;   Parent Loop BB180_13 Depth=1
                                        ;     Parent Loop BB180_16 Depth=2
                                        ;       Parent Loop BB180_18 Depth=3
                                        ; =>      This Inner Loop Header: Depth=4
	s_waitcnt lgkmcnt(0)
	v_add_f64 v[29:30], v[18:19], v[16:17]
	ds_cmpstore_rtn_b64 v[29:30], v28, v[29:30], v[18:19]
	s_waitcnt lgkmcnt(0)
	v_cmp_eq_u64_e32 vcc_lo, v[29:30], v[18:19]
	v_dual_mov_b32 v18, v29 :: v_dual_mov_b32 v19, v30
	s_or_b32 s37, vcc_lo, s37
	s_delay_alu instid0(SALU_CYCLE_1)
	s_and_not1_b32 exec_lo, exec_lo, s37
	s_cbranch_execnz .LBB180_24
; %bb.25:                               ;   in Loop: Header=BB180_18 Depth=3
	s_or_b32 exec_lo, exec_lo, s37
	s_delay_alu instid0(SALU_CYCLE_1)
	s_xor_b32 s37, exec_lo, -1
.LBB180_26:                             ;   in Loop: Header=BB180_18 Depth=3
	s_or_b32 exec_lo, exec_lo, s36
	s_delay_alu instid0(SALU_CYCLE_1) | instskip(SKIP_1) | instid1(SALU_CYCLE_1)
	s_and_not1_b32 s34, s34, exec_lo
	s_and_b32 s36, s37, exec_lo
	s_or_b32 s34, s34, s36
.LBB180_27:                             ;   in Loop: Header=BB180_18 Depth=3
	s_or_b32 exec_lo, exec_lo, s35
	s_delay_alu instid0(SALU_CYCLE_1)
	s_and_b32 s34, s34, exec_lo
.LBB180_28:                             ;   in Loop: Header=BB180_18 Depth=3
	s_and_not1_saveexec_b32 s33, s33
	s_cbranch_execz .LBB180_17
; %bb.29:                               ;   in Loop: Header=BB180_18 Depth=3
	v_lshl_add_u32 v28, v27, 3, v24
	s_mov_b32 s35, 0
	ds_load_b64 v[18:19], v28
.LBB180_30:                             ;   Parent Loop BB180_13 Depth=1
                                        ;     Parent Loop BB180_16 Depth=2
                                        ;       Parent Loop BB180_18 Depth=3
                                        ; =>      This Inner Loop Header: Depth=4
	s_waitcnt lgkmcnt(0)
	v_add_f64 v[29:30], v[18:19], v[16:17]
	ds_cmpstore_rtn_b64 v[29:30], v28, v[29:30], v[18:19]
	s_waitcnt lgkmcnt(0)
	v_cmp_eq_u64_e32 vcc_lo, v[29:30], v[18:19]
	v_dual_mov_b32 v18, v29 :: v_dual_mov_b32 v19, v30
	s_or_b32 s35, vcc_lo, s35
	s_delay_alu instid0(SALU_CYCLE_1)
	s_and_not1_b32 exec_lo, exec_lo, s35
	s_cbranch_execnz .LBB180_30
; %bb.31:                               ;   in Loop: Header=BB180_18 Depth=3
	s_or_b32 exec_lo, exec_lo, s35
	s_delay_alu instid0(SALU_CYCLE_1)
	s_and_not1_b32 s34, s34, exec_lo
	s_branch .LBB180_17
.LBB180_32:
	s_or_b32 exec_lo, exec_lo, s0
.LBB180_33:
	s_delay_alu instid0(SALU_CYCLE_1)
	s_and_not1_b32 vcc_lo, exec_lo, s14
	s_cbranch_vccnz .LBB180_36
; %bb.34:
	s_delay_alu instid0(VALU_DEP_1) | instskip(NEXT) | instid1(VALU_DEP_2)
	v_add_co_u32 v0, vcc_lo, s4, v6
	v_add_co_ci_u32_e32 v1, vcc_lo, s5, v7, vcc_lo
	v_sub_co_u32 v2, s0, v25, s27
	s_delay_alu instid0(VALU_DEP_1)
	v_sub_co_ci_u32_e64 v3, null, 0, 0, s0
	global_load_b128 v[8:11], v[0:1], off
	s_mov_b32 s4, 0
	s_mov_b32 s0, exec_lo
	s_waitcnt vmcnt(0)
	v_sub_co_u32 v0, vcc_lo, v10, s27
	v_subrev_co_ci_u32_e32 v1, vcc_lo, 0, v11, vcc_lo
	v_add_co_u32 v2, vcc_lo, v8, v2
	v_add_co_ci_u32_e32 v3, vcc_lo, v9, v3, vcc_lo
	s_delay_alu instid0(VALU_DEP_1)
	v_cmpx_lt_i64_e64 v[2:3], v[0:1]
	s_cbranch_execnz .LBB180_41
.LBB180_35:
	s_or_b32 exec_lo, exec_lo, s0
.LBB180_36:
	s_delay_alu instid0(VALU_DEP_1) | instskip(NEXT) | instid1(VALU_DEP_2)
	v_add_co_u32 v0, vcc_lo, s10, v6
	v_add_co_ci_u32_e32 v1, vcc_lo, s11, v7, vcc_lo
	buffer_gl0_inv
	s_mov_b32 s0, 0
	global_load_b64 v[0:1], v[0:1], off
	s_waitcnt vmcnt(0)
	v_sub_co_u32 v0, vcc_lo, v0, s26
	v_subrev_co_ci_u32_e32 v1, vcc_lo, 0, v1, vcc_lo
	s_delay_alu instid0(VALU_DEP_1) | instskip(NEXT) | instid1(VALU_DEP_1)
	v_lshlrev_b64 v[0:1], 3, v[0:1]
	v_add_co_u32 v0, vcc_lo, s2, v0
	s_delay_alu instid0(VALU_DEP_2)
	v_add_co_ci_u32_e32 v1, vcc_lo, s3, v1, vcc_lo
	s_branch .LBB180_38
.LBB180_37:                             ;   in Loop: Header=BB180_38 Depth=1
	s_or_b32 exec_lo, exec_lo, s2
	v_add_co_u32 v22, s2, v22, 8
	s_delay_alu instid0(VALU_DEP_1) | instskip(SKIP_3) | instid1(SALU_CYCLE_1)
	s_xor_b32 s2, s2, -1
	v_add_nc_u32_e32 v21, 64, v21
	v_add_nc_u32_e32 v20, 32, v20
	s_and_b32 s2, exec_lo, s2
	s_or_b32 s0, s2, s0
	s_delay_alu instid0(SALU_CYCLE_1)
	s_and_not1_b32 exec_lo, exec_lo, s0
	s_cbranch_execz .LBB180_57
.LBB180_38:                             ; =>This Inner Loop Header: Depth=1
	ds_load_b32 v2, v20
	s_mov_b32 s2, exec_lo
	s_waitcnt lgkmcnt(0)
	v_cmpx_gt_i32_e64 s1, v2
	s_cbranch_execz .LBB180_37
; %bb.39:                               ;   in Loop: Header=BB180_38 Depth=1
	ds_load_b128 v[3:6], v23
	ds_load_b128 v[7:10], v23 offset:16
	ds_load_b128 v[11:14], v23 offset:32
	;; [unrolled: 1-line block ×3, first 2 shown]
	ds_load_b64 v[24:25], v21
	s_waitcnt lgkmcnt(4)
	v_cmp_gt_i32_e32 vcc_lo, v2, v3
	v_cndmask_b32_e64 v3, 0, 1, vcc_lo
	v_cmp_gt_i32_e32 vcc_lo, v2, v4
	s_delay_alu instid0(VALU_DEP_2) | instskip(SKIP_2) | instid1(VALU_DEP_2)
	v_lshlrev_b32_e32 v3, 3, v3
	v_cndmask_b32_e64 v4, 0, 1, vcc_lo
	v_cmp_gt_i32_e32 vcc_lo, v2, v5
	v_lshlrev_b32_e32 v4, 3, v4
	v_cndmask_b32_e64 v5, 0, 1, vcc_lo
	v_cmp_gt_i32_e32 vcc_lo, v2, v6
	s_delay_alu instid0(VALU_DEP_2) | instskip(SKIP_3) | instid1(VALU_DEP_2)
	v_lshlrev_b32_e32 v5, 3, v5
	v_cndmask_b32_e64 v6, 0, 1, vcc_lo
	s_waitcnt lgkmcnt(3)
	v_cmp_gt_i32_e32 vcc_lo, v2, v7
	v_lshlrev_b32_e32 v6, 3, v6
	v_cndmask_b32_e64 v7, 0, 1, vcc_lo
	v_cmp_gt_i32_e32 vcc_lo, v2, v8
	v_cndmask_b32_e64 v8, 0, 1, vcc_lo
	v_cmp_gt_i32_e32 vcc_lo, v2, v9
	;; [unrolled: 2-line block ×3, first 2 shown]
	v_cndmask_b32_e64 v10, 0, 1, vcc_lo
	s_waitcnt lgkmcnt(2)
	v_cmp_gt_i32_e32 vcc_lo, v2, v11
	v_cndmask_b32_e64 v11, 0, 1, vcc_lo
	v_cmp_gt_i32_e32 vcc_lo, v2, v12
	v_cndmask_b32_e64 v12, 0, 1, vcc_lo
	v_add_co_u32 v3, vcc_lo, v0, v3
	v_add_co_ci_u32_e32 v19, vcc_lo, 0, v1, vcc_lo
	s_delay_alu instid0(VALU_DEP_2) | instskip(NEXT) | instid1(VALU_DEP_2)
	v_add_co_u32 v3, vcc_lo, v3, v4
	v_add_co_ci_u32_e32 v4, vcc_lo, 0, v19, vcc_lo
	s_delay_alu instid0(VALU_DEP_2) | instskip(NEXT) | instid1(VALU_DEP_2)
	v_add_co_u32 v3, vcc_lo, v3, v5
	v_add_co_ci_u32_e32 v4, vcc_lo, 0, v4, vcc_lo
	v_lshlrev_b32_e32 v5, 3, v7
	s_delay_alu instid0(VALU_DEP_3) | instskip(NEXT) | instid1(VALU_DEP_3)
	v_add_co_u32 v3, vcc_lo, v3, v6
	v_add_co_ci_u32_e32 v4, vcc_lo, 0, v4, vcc_lo
	v_lshlrev_b32_e32 v6, 3, v8
	s_delay_alu instid0(VALU_DEP_3) | instskip(NEXT) | instid1(VALU_DEP_3)
	;; [unrolled: 4-line block ×5, first 2 shown]
	v_add_co_u32 v3, vcc_lo, v3, v6
	v_add_co_ci_u32_e32 v4, vcc_lo, 0, v4, vcc_lo
	v_cmp_gt_i32_e32 vcc_lo, v2, v13
	v_cndmask_b32_e64 v6, 0, 1, vcc_lo
	s_delay_alu instid0(VALU_DEP_4) | instskip(NEXT) | instid1(VALU_DEP_4)
	v_add_co_u32 v3, vcc_lo, v3, v5
	v_add_co_ci_u32_e32 v4, vcc_lo, 0, v4, vcc_lo
	v_lshlrev_b32_e32 v5, 3, v12
	v_cmp_gt_i32_e32 vcc_lo, v2, v14
	v_lshlrev_b32_e32 v6, 3, v6
	v_cndmask_b32_e64 v7, 0, 1, vcc_lo
	s_delay_alu instid0(VALU_DEP_4) | instskip(SKIP_1) | instid1(VALU_DEP_3)
	v_add_co_u32 v3, vcc_lo, v3, v5
	v_add_co_ci_u32_e32 v4, vcc_lo, 0, v4, vcc_lo
	v_lshlrev_b32_e32 v5, 3, v7
	s_delay_alu instid0(VALU_DEP_3) | instskip(NEXT) | instid1(VALU_DEP_3)
	v_add_co_u32 v3, vcc_lo, v3, v6
	v_add_co_ci_u32_e32 v4, vcc_lo, 0, v4, vcc_lo
	s_waitcnt lgkmcnt(1)
	v_cmp_gt_i32_e32 vcc_lo, v2, v15
	v_cndmask_b32_e64 v6, 0, 1, vcc_lo
	v_add_co_u32 v3, vcc_lo, v3, v5
	v_add_co_ci_u32_e32 v4, vcc_lo, 0, v4, vcc_lo
	v_cmp_gt_i32_e32 vcc_lo, v2, v16
	s_delay_alu instid0(VALU_DEP_4) | instskip(SKIP_3) | instid1(VALU_DEP_4)
	v_lshlrev_b32_e32 v5, 3, v6
	v_cndmask_b32_e64 v6, 0, 1, vcc_lo
	v_cmp_gt_i32_e32 vcc_lo, v2, v17
	v_cndmask_b32_e64 v7, 0, 1, vcc_lo
	v_add_co_u32 v3, vcc_lo, v3, v5
	v_add_co_ci_u32_e32 v4, vcc_lo, 0, v4, vcc_lo
	v_lshlrev_b32_e32 v5, 3, v6
	v_cmp_gt_i32_e32 vcc_lo, v2, v18
	v_lshlrev_b32_e32 v6, 3, v7
	v_cndmask_b32_e64 v2, 0, 1, vcc_lo
	s_delay_alu instid0(VALU_DEP_4) | instskip(SKIP_1) | instid1(VALU_DEP_3)
	v_add_co_u32 v3, vcc_lo, v3, v5
	v_add_co_ci_u32_e32 v4, vcc_lo, 0, v4, vcc_lo
	v_lshlrev_b32_e32 v2, 3, v2
	s_delay_alu instid0(VALU_DEP_3) | instskip(NEXT) | instid1(VALU_DEP_3)
	v_add_co_u32 v3, vcc_lo, v3, v6
	v_add_co_ci_u32_e32 v4, vcc_lo, 0, v4, vcc_lo
	s_delay_alu instid0(VALU_DEP_2) | instskip(NEXT) | instid1(VALU_DEP_2)
	v_add_co_u32 v2, vcc_lo, v3, v2
	v_add_co_ci_u32_e32 v3, vcc_lo, 0, v4, vcc_lo
	s_waitcnt lgkmcnt(0)
	global_store_b64 v[2:3], v[24:25], off
	s_branch .LBB180_37
.LBB180_40:                             ;   in Loop: Header=BB180_41 Depth=1
	s_or_b32 exec_lo, exec_lo, s5
	v_add_co_u32 v2, vcc_lo, v2, 8
	v_add_co_ci_u32_e32 v3, vcc_lo, 0, v3, vcc_lo
	s_delay_alu instid0(VALU_DEP_1) | instskip(SKIP_1) | instid1(SALU_CYCLE_1)
	v_cmp_ge_i64_e32 vcc_lo, v[2:3], v[0:1]
	s_or_b32 s4, vcc_lo, s4
	s_and_not1_b32 exec_lo, exec_lo, s4
	s_cbranch_execz .LBB180_35
.LBB180_41:                             ; =>This Loop Header: Depth=1
                                        ;     Child Loop BB180_43 Depth 2
                                        ;       Child Loop BB180_49 Depth 3
                                        ;       Child Loop BB180_55 Depth 3
	v_lshlrev_b64 v[8:9], 3, v[2:3]
	v_lshlrev_b64 v[10:11], 2, v[2:3]
	s_mov_b32 s5, 0
	s_delay_alu instid0(VALU_DEP_2) | instskip(NEXT) | instid1(VALU_DEP_3)
	v_add_co_u32 v8, vcc_lo, s8, v8
	v_add_co_ci_u32_e32 v9, vcc_lo, s9, v9, vcc_lo
	s_delay_alu instid0(VALU_DEP_3) | instskip(NEXT) | instid1(VALU_DEP_4)
	v_add_co_u32 v10, vcc_lo, s6, v10
	v_add_co_ci_u32_e32 v11, vcc_lo, s7, v11, vcc_lo
	global_load_b64 v[8:9], v[8:9], off
	global_load_b32 v10, v[10:11], off
	s_waitcnt vmcnt(1)
	v_mul_f64 v[8:9], v[4:5], v[8:9]
	s_waitcnt vmcnt(0)
	v_subrev_nc_u32_e32 v12, s27, v10
	s_delay_alu instid0(VALU_DEP_1) | instskip(NEXT) | instid1(VALU_DEP_1)
	v_lshl_add_u32 v10, v12, 3, v12
	v_and_b32_e32 v13, 15, v10
	s_branch .LBB180_43
.LBB180_42:                             ;   in Loop: Header=BB180_43 Depth=2
	s_or_b32 exec_lo, exec_lo, s12
	s_xor_b32 s12, s13, -1
	s_delay_alu instid0(SALU_CYCLE_1) | instskip(NEXT) | instid1(SALU_CYCLE_1)
	s_and_b32 s12, exec_lo, s12
	s_or_b32 s5, s12, s5
	s_delay_alu instid0(SALU_CYCLE_1)
	s_and_not1_b32 exec_lo, exec_lo, s5
	s_cbranch_execz .LBB180_40
.LBB180_43:                             ;   Parent Loop BB180_41 Depth=1
                                        ; =>  This Loop Header: Depth=2
                                        ;       Child Loop BB180_49 Depth 3
                                        ;       Child Loop BB180_55 Depth 3
	s_delay_alu instid0(VALU_DEP_1)
	v_lshl_add_u32 v10, v13, 2, v23
	s_mov_b32 s12, exec_lo
                                        ; implicit-def: $sgpr13
	ds_load_b32 v11, v10
	s_waitcnt lgkmcnt(0)
	v_cmpx_ne_u32_e64 v11, v12
	s_xor_b32 s12, exec_lo, s12
	s_cbranch_execz .LBB180_53
; %bb.44:                               ;   in Loop: Header=BB180_43 Depth=2
	s_mov_b32 s14, exec_lo
                                        ; implicit-def: $sgpr13
	v_cmpx_ne_u32_e64 s1, v11
	s_xor_b32 s14, exec_lo, s14
; %bb.45:                               ;   in Loop: Header=BB180_43 Depth=2
	v_add_nc_u32_e32 v10, 1, v13
	s_mov_b32 s13, -1
	s_delay_alu instid0(VALU_DEP_1)
	v_and_b32_e32 v13, 15, v10
                                        ; implicit-def: $vgpr10
; %bb.46:                               ;   in Loop: Header=BB180_43 Depth=2
	s_and_not1_saveexec_b32 s14, s14
	s_cbranch_execz .LBB180_52
; %bb.47:                               ;   in Loop: Header=BB180_43 Depth=2
	v_mov_b32_e32 v11, s1
	s_mov_b32 s16, -1
	s_mov_b32 s15, exec_lo
	ds_cmpstore_rtn_b32 v10, v10, v12, v11
	s_waitcnt lgkmcnt(0)
	v_cmpx_eq_u32_e64 s1, v10
	s_cbranch_execz .LBB180_51
; %bb.48:                               ;   in Loop: Header=BB180_43 Depth=2
	v_lshl_add_u32 v14, v13, 3, v24
	s_mov_b32 s16, 0
	ds_load_b64 v[10:11], v14
.LBB180_49:                             ;   Parent Loop BB180_41 Depth=1
                                        ;     Parent Loop BB180_43 Depth=2
                                        ; =>    This Inner Loop Header: Depth=3
	s_waitcnt lgkmcnt(0)
	v_add_f64 v[15:16], v[10:11], v[8:9]
	ds_cmpstore_rtn_b64 v[15:16], v14, v[15:16], v[10:11]
	s_waitcnt lgkmcnt(0)
	v_cmp_eq_u64_e32 vcc_lo, v[15:16], v[10:11]
	v_dual_mov_b32 v10, v15 :: v_dual_mov_b32 v11, v16
	s_or_b32 s16, vcc_lo, s16
	s_delay_alu instid0(SALU_CYCLE_1)
	s_and_not1_b32 exec_lo, exec_lo, s16
	s_cbranch_execnz .LBB180_49
; %bb.50:                               ;   in Loop: Header=BB180_43 Depth=2
	s_or_b32 exec_lo, exec_lo, s16
	s_delay_alu instid0(SALU_CYCLE_1)
	s_xor_b32 s16, exec_lo, -1
.LBB180_51:                             ;   in Loop: Header=BB180_43 Depth=2
	s_or_b32 exec_lo, exec_lo, s15
	s_delay_alu instid0(SALU_CYCLE_1) | instskip(SKIP_1) | instid1(SALU_CYCLE_1)
	s_and_not1_b32 s13, s13, exec_lo
	s_and_b32 s15, s16, exec_lo
	s_or_b32 s13, s13, s15
.LBB180_52:                             ;   in Loop: Header=BB180_43 Depth=2
	s_or_b32 exec_lo, exec_lo, s14
	s_delay_alu instid0(SALU_CYCLE_1)
	s_and_b32 s13, s13, exec_lo
.LBB180_53:                             ;   in Loop: Header=BB180_43 Depth=2
	s_and_not1_saveexec_b32 s12, s12
	s_cbranch_execz .LBB180_42
; %bb.54:                               ;   in Loop: Header=BB180_43 Depth=2
	v_lshl_add_u32 v14, v13, 3, v24
	s_mov_b32 s14, 0
	ds_load_b64 v[10:11], v14
.LBB180_55:                             ;   Parent Loop BB180_41 Depth=1
                                        ;     Parent Loop BB180_43 Depth=2
                                        ; =>    This Inner Loop Header: Depth=3
	s_waitcnt lgkmcnt(0)
	v_add_f64 v[15:16], v[10:11], v[8:9]
	ds_cmpstore_rtn_b64 v[15:16], v14, v[15:16], v[10:11]
	s_waitcnt lgkmcnt(0)
	v_cmp_eq_u64_e32 vcc_lo, v[15:16], v[10:11]
	v_dual_mov_b32 v10, v15 :: v_dual_mov_b32 v11, v16
	s_or_b32 s14, vcc_lo, s14
	s_delay_alu instid0(SALU_CYCLE_1)
	s_and_not1_b32 exec_lo, exec_lo, s14
	s_cbranch_execnz .LBB180_55
; %bb.56:                               ;   in Loop: Header=BB180_43 Depth=2
	s_or_b32 exec_lo, exec_lo, s14
	s_delay_alu instid0(SALU_CYCLE_1)
	s_and_not1_b32 s13, s13, exec_lo
	s_branch .LBB180_42
.LBB180_57:
	s_nop 0
	s_sendmsg sendmsg(MSG_DEALLOC_VGPRS)
	s_endpgm
	.section	.rodata,"a",@progbits
	.p2align	6, 0x0
	.amdhsa_kernel _ZN9rocsparseL38csrgemm_numeric_fill_wf_per_row_kernelILj256ELj8ELj16ELj137ElidEEvT4_S1_PKS1_S3_NS_24const_host_device_scalarIT5_EEPKT3_S3_PKS5_S9_S3_SB_S6_S9_S3_SB_S9_S3_PS5_21rocsparse_index_base_SD_SD_SD_bbb
		.amdhsa_group_segment_fixed_size 6144
		.amdhsa_private_segment_fixed_size 0
		.amdhsa_kernarg_size 156
		.amdhsa_user_sgpr_count 15
		.amdhsa_user_sgpr_dispatch_ptr 0
		.amdhsa_user_sgpr_queue_ptr 0
		.amdhsa_user_sgpr_kernarg_segment_ptr 1
		.amdhsa_user_sgpr_dispatch_id 0
		.amdhsa_user_sgpr_private_segment_size 0
		.amdhsa_wavefront_size32 1
		.amdhsa_uses_dynamic_stack 0
		.amdhsa_enable_private_segment 0
		.amdhsa_system_sgpr_workgroup_id_x 1
		.amdhsa_system_sgpr_workgroup_id_y 0
		.amdhsa_system_sgpr_workgroup_id_z 0
		.amdhsa_system_sgpr_workgroup_info 0
		.amdhsa_system_vgpr_workitem_id 0
		.amdhsa_next_free_vgpr 31
		.amdhsa_next_free_sgpr 42
		.amdhsa_reserve_vcc 1
		.amdhsa_float_round_mode_32 0
		.amdhsa_float_round_mode_16_64 0
		.amdhsa_float_denorm_mode_32 3
		.amdhsa_float_denorm_mode_16_64 3
		.amdhsa_dx10_clamp 1
		.amdhsa_ieee_mode 1
		.amdhsa_fp16_overflow 0
		.amdhsa_workgroup_processor_mode 1
		.amdhsa_memory_ordered 1
		.amdhsa_forward_progress 0
		.amdhsa_shared_vgpr_count 0
		.amdhsa_exception_fp_ieee_invalid_op 0
		.amdhsa_exception_fp_denorm_src 0
		.amdhsa_exception_fp_ieee_div_zero 0
		.amdhsa_exception_fp_ieee_overflow 0
		.amdhsa_exception_fp_ieee_underflow 0
		.amdhsa_exception_fp_ieee_inexact 0
		.amdhsa_exception_int_div_zero 0
	.end_amdhsa_kernel
	.section	.text._ZN9rocsparseL38csrgemm_numeric_fill_wf_per_row_kernelILj256ELj8ELj16ELj137ElidEEvT4_S1_PKS1_S3_NS_24const_host_device_scalarIT5_EEPKT3_S3_PKS5_S9_S3_SB_S6_S9_S3_SB_S9_S3_PS5_21rocsparse_index_base_SD_SD_SD_bbb,"axG",@progbits,_ZN9rocsparseL38csrgemm_numeric_fill_wf_per_row_kernelILj256ELj8ELj16ELj137ElidEEvT4_S1_PKS1_S3_NS_24const_host_device_scalarIT5_EEPKT3_S3_PKS5_S9_S3_SB_S6_S9_S3_SB_S9_S3_PS5_21rocsparse_index_base_SD_SD_SD_bbb,comdat
.Lfunc_end180:
	.size	_ZN9rocsparseL38csrgemm_numeric_fill_wf_per_row_kernelILj256ELj8ELj16ELj137ElidEEvT4_S1_PKS1_S3_NS_24const_host_device_scalarIT5_EEPKT3_S3_PKS5_S9_S3_SB_S6_S9_S3_SB_S9_S3_PS5_21rocsparse_index_base_SD_SD_SD_bbb, .Lfunc_end180-_ZN9rocsparseL38csrgemm_numeric_fill_wf_per_row_kernelILj256ELj8ELj16ELj137ElidEEvT4_S1_PKS1_S3_NS_24const_host_device_scalarIT5_EEPKT3_S3_PKS5_S9_S3_SB_S6_S9_S3_SB_S9_S3_PS5_21rocsparse_index_base_SD_SD_SD_bbb
                                        ; -- End function
	.section	.AMDGPU.csdata,"",@progbits
; Kernel info:
; codeLenInByte = 2752
; NumSgprs: 44
; NumVgprs: 31
; ScratchSize: 0
; MemoryBound: 0
; FloatMode: 240
; IeeeMode: 1
; LDSByteSize: 6144 bytes/workgroup (compile time only)
; SGPRBlocks: 5
; VGPRBlocks: 3
; NumSGPRsForWavesPerEU: 44
; NumVGPRsForWavesPerEU: 31
; Occupancy: 16
; WaveLimiterHint : 1
; COMPUTE_PGM_RSRC2:SCRATCH_EN: 0
; COMPUTE_PGM_RSRC2:USER_SGPR: 15
; COMPUTE_PGM_RSRC2:TRAP_HANDLER: 0
; COMPUTE_PGM_RSRC2:TGID_X_EN: 1
; COMPUTE_PGM_RSRC2:TGID_Y_EN: 0
; COMPUTE_PGM_RSRC2:TGID_Z_EN: 0
; COMPUTE_PGM_RSRC2:TIDIG_COMP_CNT: 0
	.section	.text._ZN9rocsparseL38csrgemm_numeric_fill_wf_per_row_kernelILj256ELj16ELj32ELj137ElidEEvT4_S1_PKS1_S3_NS_24const_host_device_scalarIT5_EEPKT3_S3_PKS5_S9_S3_SB_S6_S9_S3_SB_S9_S3_PS5_21rocsparse_index_base_SD_SD_SD_bbb,"axG",@progbits,_ZN9rocsparseL38csrgemm_numeric_fill_wf_per_row_kernelILj256ELj16ELj32ELj137ElidEEvT4_S1_PKS1_S3_NS_24const_host_device_scalarIT5_EEPKT3_S3_PKS5_S9_S3_SB_S6_S9_S3_SB_S9_S3_PS5_21rocsparse_index_base_SD_SD_SD_bbb,comdat
	.globl	_ZN9rocsparseL38csrgemm_numeric_fill_wf_per_row_kernelILj256ELj16ELj32ELj137ElidEEvT4_S1_PKS1_S3_NS_24const_host_device_scalarIT5_EEPKT3_S3_PKS5_S9_S3_SB_S6_S9_S3_SB_S9_S3_PS5_21rocsparse_index_base_SD_SD_SD_bbb ; -- Begin function _ZN9rocsparseL38csrgemm_numeric_fill_wf_per_row_kernelILj256ELj16ELj32ELj137ElidEEvT4_S1_PKS1_S3_NS_24const_host_device_scalarIT5_EEPKT3_S3_PKS5_S9_S3_SB_S6_S9_S3_SB_S9_S3_PS5_21rocsparse_index_base_SD_SD_SD_bbb
	.p2align	8
	.type	_ZN9rocsparseL38csrgemm_numeric_fill_wf_per_row_kernelILj256ELj16ELj32ELj137ElidEEvT4_S1_PKS1_S3_NS_24const_host_device_scalarIT5_EEPKT3_S3_PKS5_S9_S3_SB_S6_S9_S3_SB_S9_S3_PS5_21rocsparse_index_base_SD_SD_SD_bbb,@function
_ZN9rocsparseL38csrgemm_numeric_fill_wf_per_row_kernelILj256ELj16ELj32ELj137ElidEEvT4_S1_PKS1_S3_NS_24const_host_device_scalarIT5_EEPKT3_S3_PKS5_S9_S3_SB_S6_S9_S3_SB_S9_S3_PS5_21rocsparse_index_base_SD_SD_SD_bbb: ; @_ZN9rocsparseL38csrgemm_numeric_fill_wf_per_row_kernelILj256ELj16ELj32ELj137ElidEEvT4_S1_PKS1_S3_NS_24const_host_device_scalarIT5_EEPKT3_S3_PKS5_S9_S3_SB_S6_S9_S3_SB_S9_S3_PS5_21rocsparse_index_base_SD_SD_SD_bbb
; %bb.0:
	s_clause 0x3
	s_load_b32 s14, s[0:1], 0x98
	s_load_b64 s[2:3], s[0:1], 0x18
	s_load_b128 s[24:27], s[0:1], 0x88
	s_load_b64 s[12:13], s[0:1], 0x50
	s_waitcnt lgkmcnt(0)
	s_and_b32 s4, 1, s14
	s_bitcmp1_b32 s14, 16
	s_cselect_b32 s34, -1, 0
	s_cmp_eq_u32 s4, 1
	s_cselect_b32 s33, -1, 0
	s_delay_alu instid0(SALU_CYCLE_1)
	s_and_b32 s4, s33, exec_lo
	s_cselect_b32 s5, s3, 0
	s_cselect_b32 s4, s2, 0
	s_xor_b32 s6, s33, -1
	v_dual_mov_b32 v9, s5 :: v_dual_mov_b32 v8, s4
	s_or_b32 s6, s6, s34
	s_delay_alu instid0(SALU_CYCLE_1)
	s_and_b32 vcc_lo, exec_lo, s6
	s_cbranch_vccnz .LBB181_2
; %bb.1:
	v_dual_mov_b32 v1, s2 :: v_dual_mov_b32 v2, s3
	flat_load_b64 v[8:9], v[1:2]
.LBB181_2:
	s_clause 0x4
	s_load_b64 s[2:3], s[0:1], 0x80
	s_load_b256 s[4:11], s[0:1], 0x58
	s_load_b128 s[28:31], s[0:1], 0x40
	s_load_b128 s[36:39], s[0:1], 0x8
	s_load_b256 s[16:23], s[0:1], 0x20
	s_bitcmp1_b32 s14, 8
	s_cselect_b32 s14, -1, 0
	s_delay_alu instid0(SALU_CYCLE_1)
	s_and_b32 s35, s14, exec_lo
	s_cselect_b32 s41, s13, 0
	s_cselect_b32 s40, s12, 0
	s_xor_b32 s35, s14, -1
	v_dual_mov_b32 v4, s40 :: v_dual_mov_b32 v5, s41
	s_or_b32 s34, s35, s34
	s_delay_alu instid0(SALU_CYCLE_1)
	s_and_b32 vcc_lo, exec_lo, s34
	s_cbranch_vccnz .LBB181_4
; %bb.3:
	v_dual_mov_b32 v1, s12 :: v_dual_mov_b32 v2, s13
	flat_load_b64 v[4:5], v[1:2]
.LBB181_4:
	s_load_b64 s[0:1], s[0:1], 0x0
	v_and_b32_e32 v25, 15, v0
	v_lshrrev_b32_e32 v2, 4, v0
	v_mov_b32_e32 v0, 0
	s_mov_b32 s12, 0
	s_delay_alu instid0(VALU_DEP_3) | instskip(SKIP_2) | instid1(VALU_DEP_3)
	v_lshlrev_b32_e32 v6, 3, v25
	v_or_b32_e32 v22, -16, v25
	v_lshlrev_b32_e32 v3, 2, v25
	v_lshl_or_b32 v21, v2, 8, v6
	s_delay_alu instid0(VALU_DEP_3) | instskip(NEXT) | instid1(VALU_DEP_2)
	v_dual_mov_b32 v10, v22 :: v_dual_lshlrev_b32 v1, 7, v2
	v_mov_b32_e32 v6, v21
	s_delay_alu instid0(VALU_DEP_2) | instskip(SKIP_3) | instid1(VALU_DEP_3)
	v_or3_b32 v20, v1, v3, 0x1000
	v_mov_b32_e32 v1, v0
	s_waitcnt lgkmcnt(0)
	v_mov_b32_e32 v7, s1
	v_mov_b32_e32 v3, v20
.LBB181_5:                              ; =>This Inner Loop Header: Depth=1
	v_add_co_u32 v10, s13, v10, 16
	s_delay_alu instid0(VALU_DEP_1)
	s_xor_b32 s13, s13, -1
	ds_store_b32 v3, v7
	ds_store_b64 v6, v[0:1]
	v_add_nc_u32_e32 v6, 0x80, v6
	v_add_nc_u32_e32 v3, 64, v3
	s_and_b32 s13, exec_lo, s13
	s_delay_alu instid0(SALU_CYCLE_1) | instskip(NEXT) | instid1(SALU_CYCLE_1)
	s_or_b32 s12, s13, s12
	s_and_not1_b32 exec_lo, exec_lo, s12
	s_cbranch_execnz .LBB181_5
; %bb.6:
	s_or_b32 exec_lo, exec_lo, s12
	s_lshl_b32 s12, s15, 4
	s_waitcnt vmcnt(0) lgkmcnt(0)
	buffer_gl0_inv
	v_and_or_b32 v0, 0xffffff0, s12, v2
	s_delay_alu instid0(VALU_DEP_1)
	v_cmp_gt_i32_e32 vcc_lo, s0, v0
	s_and_saveexec_b32 s0, vcc_lo
	s_cbranch_execz .LBB181_57
; %bb.7:
	s_cmp_eq_u64 s[38:39], 0
	s_cbranch_scc1 .LBB181_9
; %bb.8:
	s_load_b32 s0, s[36:37], 0x0
	s_waitcnt lgkmcnt(0)
	v_add_nc_u32_e32 v0, s0, v0
	s_delay_alu instid0(VALU_DEP_1) | instskip(NEXT) | instid1(VALU_DEP_1)
	v_ashrrev_i32_e32 v1, 31, v0
	v_lshlrev_b64 v[0:1], 2, v[0:1]
	s_delay_alu instid0(VALU_DEP_1) | instskip(NEXT) | instid1(VALU_DEP_2)
	v_add_co_u32 v0, vcc_lo, s38, v0
	v_add_co_ci_u32_e32 v1, vcc_lo, s39, v1, vcc_lo
	global_load_b32 v0, v[0:1], off
.LBB181_9:
	s_waitcnt vmcnt(0)
	v_ashrrev_i32_e32 v1, 31, v0
	v_lshl_or_b32 v23, v2, 7, 0x1000
	v_lshlrev_b32_e32 v24, 8, v2
	s_and_not1_b32 vcc_lo, exec_lo, s33
	s_delay_alu instid0(VALU_DEP_3)
	v_lshlrev_b64 v[6:7], 3, v[0:1]
	s_cbranch_vccnz .LBB181_33
; %bb.10:
	s_delay_alu instid0(VALU_DEP_1) | instskip(NEXT) | instid1(VALU_DEP_2)
	v_add_co_u32 v0, vcc_lo, s16, v6
	v_add_co_ci_u32_e32 v1, vcc_lo, s17, v7, vcc_lo
	v_sub_co_u32 v12, s0, v25, s24
	s_delay_alu instid0(VALU_DEP_1)
	v_sub_co_ci_u32_e64 v13, null, 0, 0, s0
	global_load_b128 v[0:3], v[0:1], off
	s_mov_b32 s12, 0
	s_mov_b32 s0, exec_lo
	s_waitcnt vmcnt(0)
	v_sub_co_u32 v10, vcc_lo, v2, s24
	v_subrev_co_ci_u32_e32 v11, vcc_lo, 0, v3, vcc_lo
	v_add_co_u32 v12, vcc_lo, v0, v12
	v_add_co_ci_u32_e32 v13, vcc_lo, v1, v13, vcc_lo
	s_delay_alu instid0(VALU_DEP_1)
	v_cmpx_lt_i64_e64 v[12:13], v[10:11]
	s_cbranch_execz .LBB181_32
; %bb.11:
	s_mov_b32 s13, s25
	s_branch .LBB181_13
.LBB181_12:                             ;   in Loop: Header=BB181_13 Depth=1
	s_or_b32 exec_lo, exec_lo, s15
	v_add_co_u32 v12, vcc_lo, v12, 16
	v_add_co_ci_u32_e32 v13, vcc_lo, 0, v13, vcc_lo
	s_delay_alu instid0(VALU_DEP_1) | instskip(SKIP_1) | instid1(SALU_CYCLE_1)
	v_cmp_ge_i64_e32 vcc_lo, v[12:13], v[10:11]
	s_or_b32 s12, vcc_lo, s12
	s_and_not1_b32 exec_lo, exec_lo, s12
	s_cbranch_execz .LBB181_32
.LBB181_13:                             ; =>This Loop Header: Depth=1
                                        ;     Child Loop BB181_16 Depth 2
                                        ;       Child Loop BB181_18 Depth 3
                                        ;         Child Loop BB181_24 Depth 4
                                        ;         Child Loop BB181_30 Depth 4
	v_lshlrev_b64 v[0:1], 2, v[12:13]
	s_mov_b32 s15, exec_lo
	s_delay_alu instid0(VALU_DEP_1) | instskip(NEXT) | instid1(VALU_DEP_2)
	v_add_co_u32 v0, vcc_lo, s18, v0
	v_add_co_ci_u32_e32 v1, vcc_lo, s19, v1, vcc_lo
	global_load_b32 v0, v[0:1], off
	s_waitcnt vmcnt(0)
	v_subrev_nc_u32_e32 v0, s24, v0
	s_delay_alu instid0(VALU_DEP_1) | instskip(NEXT) | instid1(VALU_DEP_1)
	v_ashrrev_i32_e32 v1, 31, v0
	v_lshlrev_b64 v[0:1], 3, v[0:1]
	s_delay_alu instid0(VALU_DEP_1) | instskip(NEXT) | instid1(VALU_DEP_2)
	v_add_co_u32 v0, vcc_lo, s22, v0
	v_add_co_ci_u32_e32 v1, vcc_lo, s23, v1, vcc_lo
	global_load_b128 v[0:3], v[0:1], off
	s_waitcnt vmcnt(0)
	v_cmpx_lt_i64_e64 v[0:1], v[2:3]
	s_cbranch_execz .LBB181_12
; %bb.14:                               ;   in Loop: Header=BB181_13 Depth=1
	v_lshlrev_b64 v[14:15], 3, v[12:13]
	s_mov_b32 s16, 0
	s_delay_alu instid0(VALU_DEP_1) | instskip(NEXT) | instid1(VALU_DEP_2)
	v_add_co_u32 v14, vcc_lo, s20, v14
	v_add_co_ci_u32_e32 v15, vcc_lo, s21, v15, vcc_lo
	v_sub_co_u32 v2, vcc_lo, v2, s13
	v_subrev_co_ci_u32_e32 v3, vcc_lo, 0, v3, vcc_lo
	global_load_b64 v[14:15], v[14:15], off
	v_sub_co_u32 v0, vcc_lo, v0, s13
	v_subrev_co_ci_u32_e32 v1, vcc_lo, 0, v1, vcc_lo
	s_waitcnt vmcnt(0)
	v_mul_f64 v[14:15], v[8:9], v[14:15]
	s_branch .LBB181_16
.LBB181_15:                             ;   in Loop: Header=BB181_16 Depth=2
	s_or_b32 exec_lo, exec_lo, s17
	v_add_co_u32 v0, vcc_lo, v0, 1
	v_add_co_ci_u32_e32 v1, vcc_lo, 0, v1, vcc_lo
	s_delay_alu instid0(VALU_DEP_1) | instskip(SKIP_1) | instid1(SALU_CYCLE_1)
	v_cmp_ge_i64_e32 vcc_lo, v[0:1], v[2:3]
	s_or_b32 s16, vcc_lo, s16
	s_and_not1_b32 exec_lo, exec_lo, s16
	s_cbranch_execz .LBB181_12
.LBB181_16:                             ;   Parent Loop BB181_13 Depth=1
                                        ; =>  This Loop Header: Depth=2
                                        ;       Child Loop BB181_18 Depth 3
                                        ;         Child Loop BB181_24 Depth 4
                                        ;         Child Loop BB181_30 Depth 4
	s_delay_alu instid0(VALU_DEP_2) | instskip(SKIP_2) | instid1(VALU_DEP_2)
	v_lshlrev_b64 v[16:17], 3, v[0:1]
	v_lshlrev_b64 v[18:19], 2, v[0:1]
	s_mov_b32 s17, 0
	v_add_co_u32 v16, vcc_lo, s30, v16
	s_delay_alu instid0(VALU_DEP_3) | instskip(NEXT) | instid1(VALU_DEP_3)
	v_add_co_ci_u32_e32 v17, vcc_lo, s31, v17, vcc_lo
	v_add_co_u32 v18, vcc_lo, s28, v18
	s_delay_alu instid0(VALU_DEP_4)
	v_add_co_ci_u32_e32 v19, vcc_lo, s29, v19, vcc_lo
	global_load_b64 v[16:17], v[16:17], off
	global_load_b32 v18, v[18:19], off
	s_waitcnt vmcnt(1)
	v_mul_f64 v[16:17], v[14:15], v[16:17]
	s_waitcnt vmcnt(0)
	v_subrev_nc_u32_e32 v26, s25, v18
	s_delay_alu instid0(VALU_DEP_1) | instskip(NEXT) | instid1(VALU_DEP_1)
	v_lshl_add_u32 v18, v26, 3, v26
	v_and_b32_e32 v27, 31, v18
	s_branch .LBB181_18
.LBB181_17:                             ;   in Loop: Header=BB181_18 Depth=3
	s_or_b32 exec_lo, exec_lo, s33
	s_xor_b32 s33, s34, -1
	s_delay_alu instid0(SALU_CYCLE_1) | instskip(NEXT) | instid1(SALU_CYCLE_1)
	s_and_b32 s33, exec_lo, s33
	s_or_b32 s17, s33, s17
	s_delay_alu instid0(SALU_CYCLE_1)
	s_and_not1_b32 exec_lo, exec_lo, s17
	s_cbranch_execz .LBB181_15
.LBB181_18:                             ;   Parent Loop BB181_13 Depth=1
                                        ;     Parent Loop BB181_16 Depth=2
                                        ; =>    This Loop Header: Depth=3
                                        ;         Child Loop BB181_24 Depth 4
                                        ;         Child Loop BB181_30 Depth 4
	s_delay_alu instid0(VALU_DEP_1)
	v_lshl_add_u32 v18, v27, 2, v23
	s_mov_b32 s33, exec_lo
                                        ; implicit-def: $sgpr34
	ds_load_b32 v19, v18
	s_waitcnt lgkmcnt(0)
	v_cmpx_ne_u32_e64 v19, v26
	s_xor_b32 s33, exec_lo, s33
	s_cbranch_execz .LBB181_28
; %bb.19:                               ;   in Loop: Header=BB181_18 Depth=3
	s_mov_b32 s35, exec_lo
                                        ; implicit-def: $sgpr34
	v_cmpx_ne_u32_e64 s1, v19
	s_xor_b32 s35, exec_lo, s35
; %bb.20:                               ;   in Loop: Header=BB181_18 Depth=3
	v_add_nc_u32_e32 v18, 1, v27
	s_mov_b32 s34, -1
	s_delay_alu instid0(VALU_DEP_1)
	v_and_b32_e32 v27, 31, v18
                                        ; implicit-def: $vgpr18
; %bb.21:                               ;   in Loop: Header=BB181_18 Depth=3
	s_and_not1_saveexec_b32 s35, s35
	s_cbranch_execz .LBB181_27
; %bb.22:                               ;   in Loop: Header=BB181_18 Depth=3
	v_mov_b32_e32 v19, s1
	s_mov_b32 s37, -1
	s_mov_b32 s36, exec_lo
	ds_cmpstore_rtn_b32 v18, v18, v26, v19
	s_waitcnt lgkmcnt(0)
	v_cmpx_eq_u32_e64 s1, v18
	s_cbranch_execz .LBB181_26
; %bb.23:                               ;   in Loop: Header=BB181_18 Depth=3
	v_lshl_add_u32 v28, v27, 3, v24
	s_mov_b32 s37, 0
	ds_load_b64 v[18:19], v28
.LBB181_24:                             ;   Parent Loop BB181_13 Depth=1
                                        ;     Parent Loop BB181_16 Depth=2
                                        ;       Parent Loop BB181_18 Depth=3
                                        ; =>      This Inner Loop Header: Depth=4
	s_waitcnt lgkmcnt(0)
	v_add_f64 v[29:30], v[18:19], v[16:17]
	ds_cmpstore_rtn_b64 v[29:30], v28, v[29:30], v[18:19]
	s_waitcnt lgkmcnt(0)
	v_cmp_eq_u64_e32 vcc_lo, v[29:30], v[18:19]
	v_dual_mov_b32 v18, v29 :: v_dual_mov_b32 v19, v30
	s_or_b32 s37, vcc_lo, s37
	s_delay_alu instid0(SALU_CYCLE_1)
	s_and_not1_b32 exec_lo, exec_lo, s37
	s_cbranch_execnz .LBB181_24
; %bb.25:                               ;   in Loop: Header=BB181_18 Depth=3
	s_or_b32 exec_lo, exec_lo, s37
	s_delay_alu instid0(SALU_CYCLE_1)
	s_xor_b32 s37, exec_lo, -1
.LBB181_26:                             ;   in Loop: Header=BB181_18 Depth=3
	s_or_b32 exec_lo, exec_lo, s36
	s_delay_alu instid0(SALU_CYCLE_1) | instskip(SKIP_1) | instid1(SALU_CYCLE_1)
	s_and_not1_b32 s34, s34, exec_lo
	s_and_b32 s36, s37, exec_lo
	s_or_b32 s34, s34, s36
.LBB181_27:                             ;   in Loop: Header=BB181_18 Depth=3
	s_or_b32 exec_lo, exec_lo, s35
	s_delay_alu instid0(SALU_CYCLE_1)
	s_and_b32 s34, s34, exec_lo
.LBB181_28:                             ;   in Loop: Header=BB181_18 Depth=3
	s_and_not1_saveexec_b32 s33, s33
	s_cbranch_execz .LBB181_17
; %bb.29:                               ;   in Loop: Header=BB181_18 Depth=3
	v_lshl_add_u32 v28, v27, 3, v24
	s_mov_b32 s35, 0
	ds_load_b64 v[18:19], v28
.LBB181_30:                             ;   Parent Loop BB181_13 Depth=1
                                        ;     Parent Loop BB181_16 Depth=2
                                        ;       Parent Loop BB181_18 Depth=3
                                        ; =>      This Inner Loop Header: Depth=4
	s_waitcnt lgkmcnt(0)
	v_add_f64 v[29:30], v[18:19], v[16:17]
	ds_cmpstore_rtn_b64 v[29:30], v28, v[29:30], v[18:19]
	s_waitcnt lgkmcnt(0)
	v_cmp_eq_u64_e32 vcc_lo, v[29:30], v[18:19]
	v_dual_mov_b32 v18, v29 :: v_dual_mov_b32 v19, v30
	s_or_b32 s35, vcc_lo, s35
	s_delay_alu instid0(SALU_CYCLE_1)
	s_and_not1_b32 exec_lo, exec_lo, s35
	s_cbranch_execnz .LBB181_30
; %bb.31:                               ;   in Loop: Header=BB181_18 Depth=3
	s_or_b32 exec_lo, exec_lo, s35
	s_delay_alu instid0(SALU_CYCLE_1)
	s_and_not1_b32 s34, s34, exec_lo
	s_branch .LBB181_17
.LBB181_32:
	s_or_b32 exec_lo, exec_lo, s0
.LBB181_33:
	s_delay_alu instid0(SALU_CYCLE_1)
	s_and_not1_b32 vcc_lo, exec_lo, s14
	s_cbranch_vccnz .LBB181_36
; %bb.34:
	s_delay_alu instid0(VALU_DEP_1) | instskip(NEXT) | instid1(VALU_DEP_2)
	v_add_co_u32 v0, vcc_lo, s4, v6
	v_add_co_ci_u32_e32 v1, vcc_lo, s5, v7, vcc_lo
	v_sub_co_u32 v2, s0, v25, s27
	s_delay_alu instid0(VALU_DEP_1)
	v_sub_co_ci_u32_e64 v3, null, 0, 0, s0
	global_load_b128 v[8:11], v[0:1], off
	s_mov_b32 s4, 0
	s_mov_b32 s0, exec_lo
	s_waitcnt vmcnt(0)
	v_sub_co_u32 v0, vcc_lo, v10, s27
	v_subrev_co_ci_u32_e32 v1, vcc_lo, 0, v11, vcc_lo
	v_add_co_u32 v2, vcc_lo, v8, v2
	v_add_co_ci_u32_e32 v3, vcc_lo, v9, v3, vcc_lo
	s_delay_alu instid0(VALU_DEP_1)
	v_cmpx_lt_i64_e64 v[2:3], v[0:1]
	s_cbranch_execnz .LBB181_41
.LBB181_35:
	s_or_b32 exec_lo, exec_lo, s0
.LBB181_36:
	s_delay_alu instid0(VALU_DEP_1) | instskip(NEXT) | instid1(VALU_DEP_2)
	v_add_co_u32 v0, vcc_lo, s10, v6
	v_add_co_ci_u32_e32 v1, vcc_lo, s11, v7, vcc_lo
	buffer_gl0_inv
	s_mov_b32 s0, 0
	global_load_b64 v[0:1], v[0:1], off
	s_waitcnt vmcnt(0)
	v_sub_co_u32 v0, vcc_lo, v0, s26
	v_subrev_co_ci_u32_e32 v1, vcc_lo, 0, v1, vcc_lo
	s_delay_alu instid0(VALU_DEP_1) | instskip(NEXT) | instid1(VALU_DEP_1)
	v_lshlrev_b64 v[0:1], 3, v[0:1]
	v_add_co_u32 v0, vcc_lo, s2, v0
	s_delay_alu instid0(VALU_DEP_2)
	v_add_co_ci_u32_e32 v1, vcc_lo, s3, v1, vcc_lo
	s_branch .LBB181_38
.LBB181_37:                             ;   in Loop: Header=BB181_38 Depth=1
	s_or_b32 exec_lo, exec_lo, s2
	v_add_co_u32 v22, s2, v22, 16
	s_delay_alu instid0(VALU_DEP_1) | instskip(SKIP_3) | instid1(SALU_CYCLE_1)
	s_xor_b32 s2, s2, -1
	v_add_nc_u32_e32 v21, 0x80, v21
	v_add_nc_u32_e32 v20, 64, v20
	s_and_b32 s2, exec_lo, s2
	s_or_b32 s0, s2, s0
	s_delay_alu instid0(SALU_CYCLE_1)
	s_and_not1_b32 exec_lo, exec_lo, s0
	s_cbranch_execz .LBB181_57
.LBB181_38:                             ; =>This Inner Loop Header: Depth=1
	ds_load_b32 v2, v20
	s_mov_b32 s2, exec_lo
	s_waitcnt lgkmcnt(0)
	v_cmpx_gt_i32_e64 s1, v2
	s_cbranch_execz .LBB181_37
; %bb.39:                               ;   in Loop: Header=BB181_38 Depth=1
	ds_load_b128 v[3:6], v23
	ds_load_b128 v[7:10], v23 offset:16
	ds_load_b128 v[11:14], v23 offset:32
	;; [unrolled: 1-line block ×7, first 2 shown]
	ds_load_b64 v[40:41], v21
	s_waitcnt lgkmcnt(8)
	v_cmp_gt_i32_e32 vcc_lo, v2, v3
	v_cndmask_b32_e64 v3, 0, 1, vcc_lo
	v_cmp_gt_i32_e32 vcc_lo, v2, v4
	s_delay_alu instid0(VALU_DEP_2) | instskip(SKIP_2) | instid1(VALU_DEP_2)
	v_lshlrev_b32_e32 v3, 3, v3
	v_cndmask_b32_e64 v4, 0, 1, vcc_lo
	v_cmp_gt_i32_e32 vcc_lo, v2, v5
	v_lshlrev_b32_e32 v4, 3, v4
	v_cndmask_b32_e64 v5, 0, 1, vcc_lo
	v_cmp_gt_i32_e32 vcc_lo, v2, v6
	s_delay_alu instid0(VALU_DEP_2) | instskip(SKIP_3) | instid1(VALU_DEP_2)
	v_lshlrev_b32_e32 v5, 3, v5
	v_cndmask_b32_e64 v6, 0, 1, vcc_lo
	s_waitcnt lgkmcnt(7)
	v_cmp_gt_i32_e32 vcc_lo, v2, v7
	v_lshlrev_b32_e32 v6, 3, v6
	v_cndmask_b32_e64 v7, 0, 1, vcc_lo
	v_cmp_gt_i32_e32 vcc_lo, v2, v8
	v_cndmask_b32_e64 v8, 0, 1, vcc_lo
	v_cmp_gt_i32_e32 vcc_lo, v2, v9
	;; [unrolled: 2-line block ×3, first 2 shown]
	v_cndmask_b32_e64 v10, 0, 1, vcc_lo
	v_add_co_u32 v3, vcc_lo, v0, v3
	v_add_co_ci_u32_e32 v19, vcc_lo, 0, v1, vcc_lo
	s_delay_alu instid0(VALU_DEP_2) | instskip(NEXT) | instid1(VALU_DEP_2)
	v_add_co_u32 v3, vcc_lo, v3, v4
	v_add_co_ci_u32_e32 v4, vcc_lo, 0, v19, vcc_lo
	s_delay_alu instid0(VALU_DEP_2) | instskip(NEXT) | instid1(VALU_DEP_2)
	v_add_co_u32 v3, vcc_lo, v3, v5
	v_add_co_ci_u32_e32 v4, vcc_lo, 0, v4, vcc_lo
	v_lshlrev_b32_e32 v5, 3, v7
	s_delay_alu instid0(VALU_DEP_3) | instskip(NEXT) | instid1(VALU_DEP_3)
	v_add_co_u32 v3, vcc_lo, v3, v6
	v_add_co_ci_u32_e32 v4, vcc_lo, 0, v4, vcc_lo
	v_lshlrev_b32_e32 v6, 3, v8
	s_delay_alu instid0(VALU_DEP_3) | instskip(NEXT) | instid1(VALU_DEP_3)
	;; [unrolled: 4-line block ×4, first 2 shown]
	v_add_co_u32 v3, vcc_lo, v3, v5
	v_add_co_ci_u32_e32 v4, vcc_lo, 0, v4, vcc_lo
	s_waitcnt lgkmcnt(6)
	v_cmp_gt_i32_e32 vcc_lo, v2, v11
	v_cndmask_b32_e64 v5, 0, 1, vcc_lo
	v_add_co_u32 v3, vcc_lo, v3, v6
	v_add_co_ci_u32_e32 v4, vcc_lo, 0, v4, vcc_lo
	v_cmp_gt_i32_e32 vcc_lo, v2, v12
	s_delay_alu instid0(VALU_DEP_4) | instskip(SKIP_3) | instid1(VALU_DEP_4)
	v_lshlrev_b32_e32 v5, 3, v5
	v_cndmask_b32_e64 v6, 0, 1, vcc_lo
	v_cmp_gt_i32_e32 vcc_lo, v2, v13
	v_cndmask_b32_e64 v7, 0, 1, vcc_lo
	v_add_co_u32 v3, vcc_lo, v3, v5
	v_add_co_ci_u32_e32 v4, vcc_lo, 0, v4, vcc_lo
	v_lshlrev_b32_e32 v5, 3, v6
	v_cmp_gt_i32_e32 vcc_lo, v2, v14
	v_lshlrev_b32_e32 v6, 3, v7
	v_cndmask_b32_e64 v7, 0, 1, vcc_lo
	s_delay_alu instid0(VALU_DEP_4) | instskip(SKIP_1) | instid1(VALU_DEP_3)
	v_add_co_u32 v3, vcc_lo, v3, v5
	v_add_co_ci_u32_e32 v4, vcc_lo, 0, v4, vcc_lo
	v_lshlrev_b32_e32 v5, 3, v7
	s_delay_alu instid0(VALU_DEP_3) | instskip(NEXT) | instid1(VALU_DEP_3)
	v_add_co_u32 v3, vcc_lo, v3, v6
	v_add_co_ci_u32_e32 v4, vcc_lo, 0, v4, vcc_lo
	s_waitcnt lgkmcnt(5)
	v_cmp_gt_i32_e32 vcc_lo, v2, v15
	v_cndmask_b32_e64 v6, 0, 1, vcc_lo
	v_add_co_u32 v3, vcc_lo, v3, v5
	v_add_co_ci_u32_e32 v4, vcc_lo, 0, v4, vcc_lo
	v_cmp_gt_i32_e32 vcc_lo, v2, v16
	s_delay_alu instid0(VALU_DEP_4) | instskip(SKIP_3) | instid1(VALU_DEP_4)
	v_lshlrev_b32_e32 v5, 3, v6
	v_cndmask_b32_e64 v6, 0, 1, vcc_lo
	v_cmp_gt_i32_e32 vcc_lo, v2, v17
	v_cndmask_b32_e64 v7, 0, 1, vcc_lo
	v_add_co_u32 v3, vcc_lo, v3, v5
	v_add_co_ci_u32_e32 v4, vcc_lo, 0, v4, vcc_lo
	v_lshlrev_b32_e32 v5, 3, v6
	v_cmp_gt_i32_e32 vcc_lo, v2, v18
	v_lshlrev_b32_e32 v6, 3, v7
	v_cndmask_b32_e64 v7, 0, 1, vcc_lo
	s_delay_alu instid0(VALU_DEP_4) | instskip(SKIP_1) | instid1(VALU_DEP_3)
	v_add_co_u32 v3, vcc_lo, v3, v5
	v_add_co_ci_u32_e32 v4, vcc_lo, 0, v4, vcc_lo
	v_lshlrev_b32_e32 v5, 3, v7
	s_delay_alu instid0(VALU_DEP_3) | instskip(NEXT) | instid1(VALU_DEP_3)
	;; [unrolled: 24-line block ×6, first 2 shown]
	v_add_co_u32 v3, vcc_lo, v3, v6
	v_add_co_ci_u32_e32 v4, vcc_lo, 0, v4, vcc_lo
	s_delay_alu instid0(VALU_DEP_2) | instskip(NEXT) | instid1(VALU_DEP_2)
	v_add_co_u32 v2, vcc_lo, v3, v2
	v_add_co_ci_u32_e32 v3, vcc_lo, 0, v4, vcc_lo
	s_waitcnt lgkmcnt(0)
	global_store_b64 v[2:3], v[40:41], off
	s_branch .LBB181_37
.LBB181_40:                             ;   in Loop: Header=BB181_41 Depth=1
	s_or_b32 exec_lo, exec_lo, s5
	v_add_co_u32 v2, vcc_lo, v2, 16
	v_add_co_ci_u32_e32 v3, vcc_lo, 0, v3, vcc_lo
	s_delay_alu instid0(VALU_DEP_1) | instskip(SKIP_1) | instid1(SALU_CYCLE_1)
	v_cmp_ge_i64_e32 vcc_lo, v[2:3], v[0:1]
	s_or_b32 s4, vcc_lo, s4
	s_and_not1_b32 exec_lo, exec_lo, s4
	s_cbranch_execz .LBB181_35
.LBB181_41:                             ; =>This Loop Header: Depth=1
                                        ;     Child Loop BB181_43 Depth 2
                                        ;       Child Loop BB181_49 Depth 3
                                        ;       Child Loop BB181_55 Depth 3
	v_lshlrev_b64 v[8:9], 3, v[2:3]
	v_lshlrev_b64 v[10:11], 2, v[2:3]
	s_mov_b32 s5, 0
	s_delay_alu instid0(VALU_DEP_2) | instskip(NEXT) | instid1(VALU_DEP_3)
	v_add_co_u32 v8, vcc_lo, s8, v8
	v_add_co_ci_u32_e32 v9, vcc_lo, s9, v9, vcc_lo
	s_delay_alu instid0(VALU_DEP_3) | instskip(NEXT) | instid1(VALU_DEP_4)
	v_add_co_u32 v10, vcc_lo, s6, v10
	v_add_co_ci_u32_e32 v11, vcc_lo, s7, v11, vcc_lo
	global_load_b64 v[8:9], v[8:9], off
	global_load_b32 v10, v[10:11], off
	s_waitcnt vmcnt(1)
	v_mul_f64 v[8:9], v[4:5], v[8:9]
	s_waitcnt vmcnt(0)
	v_subrev_nc_u32_e32 v12, s27, v10
	s_delay_alu instid0(VALU_DEP_1) | instskip(NEXT) | instid1(VALU_DEP_1)
	v_lshl_add_u32 v10, v12, 3, v12
	v_and_b32_e32 v13, 31, v10
	s_branch .LBB181_43
.LBB181_42:                             ;   in Loop: Header=BB181_43 Depth=2
	s_or_b32 exec_lo, exec_lo, s12
	s_xor_b32 s12, s13, -1
	s_delay_alu instid0(SALU_CYCLE_1) | instskip(NEXT) | instid1(SALU_CYCLE_1)
	s_and_b32 s12, exec_lo, s12
	s_or_b32 s5, s12, s5
	s_delay_alu instid0(SALU_CYCLE_1)
	s_and_not1_b32 exec_lo, exec_lo, s5
	s_cbranch_execz .LBB181_40
.LBB181_43:                             ;   Parent Loop BB181_41 Depth=1
                                        ; =>  This Loop Header: Depth=2
                                        ;       Child Loop BB181_49 Depth 3
                                        ;       Child Loop BB181_55 Depth 3
	s_delay_alu instid0(VALU_DEP_1)
	v_lshl_add_u32 v10, v13, 2, v23
	s_mov_b32 s12, exec_lo
                                        ; implicit-def: $sgpr13
	ds_load_b32 v11, v10
	s_waitcnt lgkmcnt(0)
	v_cmpx_ne_u32_e64 v11, v12
	s_xor_b32 s12, exec_lo, s12
	s_cbranch_execz .LBB181_53
; %bb.44:                               ;   in Loop: Header=BB181_43 Depth=2
	s_mov_b32 s14, exec_lo
                                        ; implicit-def: $sgpr13
	v_cmpx_ne_u32_e64 s1, v11
	s_xor_b32 s14, exec_lo, s14
; %bb.45:                               ;   in Loop: Header=BB181_43 Depth=2
	v_add_nc_u32_e32 v10, 1, v13
	s_mov_b32 s13, -1
	s_delay_alu instid0(VALU_DEP_1)
	v_and_b32_e32 v13, 31, v10
                                        ; implicit-def: $vgpr10
; %bb.46:                               ;   in Loop: Header=BB181_43 Depth=2
	s_and_not1_saveexec_b32 s14, s14
	s_cbranch_execz .LBB181_52
; %bb.47:                               ;   in Loop: Header=BB181_43 Depth=2
	v_mov_b32_e32 v11, s1
	s_mov_b32 s16, -1
	s_mov_b32 s15, exec_lo
	ds_cmpstore_rtn_b32 v10, v10, v12, v11
	s_waitcnt lgkmcnt(0)
	v_cmpx_eq_u32_e64 s1, v10
	s_cbranch_execz .LBB181_51
; %bb.48:                               ;   in Loop: Header=BB181_43 Depth=2
	v_lshl_add_u32 v14, v13, 3, v24
	s_mov_b32 s16, 0
	ds_load_b64 v[10:11], v14
.LBB181_49:                             ;   Parent Loop BB181_41 Depth=1
                                        ;     Parent Loop BB181_43 Depth=2
                                        ; =>    This Inner Loop Header: Depth=3
	s_waitcnt lgkmcnt(0)
	v_add_f64 v[15:16], v[10:11], v[8:9]
	ds_cmpstore_rtn_b64 v[15:16], v14, v[15:16], v[10:11]
	s_waitcnt lgkmcnt(0)
	v_cmp_eq_u64_e32 vcc_lo, v[15:16], v[10:11]
	v_dual_mov_b32 v10, v15 :: v_dual_mov_b32 v11, v16
	s_or_b32 s16, vcc_lo, s16
	s_delay_alu instid0(SALU_CYCLE_1)
	s_and_not1_b32 exec_lo, exec_lo, s16
	s_cbranch_execnz .LBB181_49
; %bb.50:                               ;   in Loop: Header=BB181_43 Depth=2
	s_or_b32 exec_lo, exec_lo, s16
	s_delay_alu instid0(SALU_CYCLE_1)
	s_xor_b32 s16, exec_lo, -1
.LBB181_51:                             ;   in Loop: Header=BB181_43 Depth=2
	s_or_b32 exec_lo, exec_lo, s15
	s_delay_alu instid0(SALU_CYCLE_1) | instskip(SKIP_1) | instid1(SALU_CYCLE_1)
	s_and_not1_b32 s13, s13, exec_lo
	s_and_b32 s15, s16, exec_lo
	s_or_b32 s13, s13, s15
.LBB181_52:                             ;   in Loop: Header=BB181_43 Depth=2
	s_or_b32 exec_lo, exec_lo, s14
	s_delay_alu instid0(SALU_CYCLE_1)
	s_and_b32 s13, s13, exec_lo
.LBB181_53:                             ;   in Loop: Header=BB181_43 Depth=2
	s_and_not1_saveexec_b32 s12, s12
	s_cbranch_execz .LBB181_42
; %bb.54:                               ;   in Loop: Header=BB181_43 Depth=2
	v_lshl_add_u32 v14, v13, 3, v24
	s_mov_b32 s14, 0
	ds_load_b64 v[10:11], v14
.LBB181_55:                             ;   Parent Loop BB181_41 Depth=1
                                        ;     Parent Loop BB181_43 Depth=2
                                        ; =>    This Inner Loop Header: Depth=3
	s_waitcnt lgkmcnt(0)
	v_add_f64 v[15:16], v[10:11], v[8:9]
	ds_cmpstore_rtn_b64 v[15:16], v14, v[15:16], v[10:11]
	s_waitcnt lgkmcnt(0)
	v_cmp_eq_u64_e32 vcc_lo, v[15:16], v[10:11]
	v_dual_mov_b32 v10, v15 :: v_dual_mov_b32 v11, v16
	s_or_b32 s14, vcc_lo, s14
	s_delay_alu instid0(SALU_CYCLE_1)
	s_and_not1_b32 exec_lo, exec_lo, s14
	s_cbranch_execnz .LBB181_55
; %bb.56:                               ;   in Loop: Header=BB181_43 Depth=2
	s_or_b32 exec_lo, exec_lo, s14
	s_delay_alu instid0(SALU_CYCLE_1)
	s_and_not1_b32 s13, s13, exec_lo
	s_branch .LBB181_42
.LBB181_57:
	s_nop 0
	s_sendmsg sendmsg(MSG_DEALLOC_VGPRS)
	s_endpgm
	.section	.rodata,"a",@progbits
	.p2align	6, 0x0
	.amdhsa_kernel _ZN9rocsparseL38csrgemm_numeric_fill_wf_per_row_kernelILj256ELj16ELj32ELj137ElidEEvT4_S1_PKS1_S3_NS_24const_host_device_scalarIT5_EEPKT3_S3_PKS5_S9_S3_SB_S6_S9_S3_SB_S9_S3_PS5_21rocsparse_index_base_SD_SD_SD_bbb
		.amdhsa_group_segment_fixed_size 6144
		.amdhsa_private_segment_fixed_size 0
		.amdhsa_kernarg_size 156
		.amdhsa_user_sgpr_count 15
		.amdhsa_user_sgpr_dispatch_ptr 0
		.amdhsa_user_sgpr_queue_ptr 0
		.amdhsa_user_sgpr_kernarg_segment_ptr 1
		.amdhsa_user_sgpr_dispatch_id 0
		.amdhsa_user_sgpr_private_segment_size 0
		.amdhsa_wavefront_size32 1
		.amdhsa_uses_dynamic_stack 0
		.amdhsa_enable_private_segment 0
		.amdhsa_system_sgpr_workgroup_id_x 1
		.amdhsa_system_sgpr_workgroup_id_y 0
		.amdhsa_system_sgpr_workgroup_id_z 0
		.amdhsa_system_sgpr_workgroup_info 0
		.amdhsa_system_vgpr_workitem_id 0
		.amdhsa_next_free_vgpr 42
		.amdhsa_next_free_sgpr 42
		.amdhsa_reserve_vcc 1
		.amdhsa_float_round_mode_32 0
		.amdhsa_float_round_mode_16_64 0
		.amdhsa_float_denorm_mode_32 3
		.amdhsa_float_denorm_mode_16_64 3
		.amdhsa_dx10_clamp 1
		.amdhsa_ieee_mode 1
		.amdhsa_fp16_overflow 0
		.amdhsa_workgroup_processor_mode 1
		.amdhsa_memory_ordered 1
		.amdhsa_forward_progress 0
		.amdhsa_shared_vgpr_count 0
		.amdhsa_exception_fp_ieee_invalid_op 0
		.amdhsa_exception_fp_denorm_src 0
		.amdhsa_exception_fp_ieee_div_zero 0
		.amdhsa_exception_fp_ieee_overflow 0
		.amdhsa_exception_fp_ieee_underflow 0
		.amdhsa_exception_fp_ieee_inexact 0
		.amdhsa_exception_int_div_zero 0
	.end_amdhsa_kernel
	.section	.text._ZN9rocsparseL38csrgemm_numeric_fill_wf_per_row_kernelILj256ELj16ELj32ELj137ElidEEvT4_S1_PKS1_S3_NS_24const_host_device_scalarIT5_EEPKT3_S3_PKS5_S9_S3_SB_S6_S9_S3_SB_S9_S3_PS5_21rocsparse_index_base_SD_SD_SD_bbb,"axG",@progbits,_ZN9rocsparseL38csrgemm_numeric_fill_wf_per_row_kernelILj256ELj16ELj32ELj137ElidEEvT4_S1_PKS1_S3_NS_24const_host_device_scalarIT5_EEPKT3_S3_PKS5_S9_S3_SB_S6_S9_S3_SB_S9_S3_PS5_21rocsparse_index_base_SD_SD_SD_bbb,comdat
.Lfunc_end181:
	.size	_ZN9rocsparseL38csrgemm_numeric_fill_wf_per_row_kernelILj256ELj16ELj32ELj137ElidEEvT4_S1_PKS1_S3_NS_24const_host_device_scalarIT5_EEPKT3_S3_PKS5_S9_S3_SB_S6_S9_S3_SB_S9_S3_PS5_21rocsparse_index_base_SD_SD_SD_bbb, .Lfunc_end181-_ZN9rocsparseL38csrgemm_numeric_fill_wf_per_row_kernelILj256ELj16ELj32ELj137ElidEEvT4_S1_PKS1_S3_NS_24const_host_device_scalarIT5_EEPKT3_S3_PKS5_S9_S3_SB_S6_S9_S3_SB_S9_S3_PS5_21rocsparse_index_base_SD_SD_SD_bbb
                                        ; -- End function
	.section	.AMDGPU.csdata,"",@progbits
; Kernel info:
; codeLenInByte = 3300
; NumSgprs: 44
; NumVgprs: 42
; ScratchSize: 0
; MemoryBound: 0
; FloatMode: 240
; IeeeMode: 1
; LDSByteSize: 6144 bytes/workgroup (compile time only)
; SGPRBlocks: 5
; VGPRBlocks: 5
; NumSGPRsForWavesPerEU: 44
; NumVGPRsForWavesPerEU: 42
; Occupancy: 16
; WaveLimiterHint : 1
; COMPUTE_PGM_RSRC2:SCRATCH_EN: 0
; COMPUTE_PGM_RSRC2:USER_SGPR: 15
; COMPUTE_PGM_RSRC2:TRAP_HANDLER: 0
; COMPUTE_PGM_RSRC2:TGID_X_EN: 1
; COMPUTE_PGM_RSRC2:TGID_Y_EN: 0
; COMPUTE_PGM_RSRC2:TGID_Z_EN: 0
; COMPUTE_PGM_RSRC2:TIDIG_COMP_CNT: 0
	.section	.text._ZN9rocsparseL41csrgemm_numeric_fill_block_per_row_kernelILj128ELj16ELj256ELj137ELj32ElidEEvT5_PKS1_S3_NS_24const_host_device_scalarIT6_EEPKT4_S3_PKS5_S9_S3_SB_S6_S9_S3_SB_S9_S3_PS5_21rocsparse_index_base_SD_SD_SD_bbb,"axG",@progbits,_ZN9rocsparseL41csrgemm_numeric_fill_block_per_row_kernelILj128ELj16ELj256ELj137ELj32ElidEEvT5_PKS1_S3_NS_24const_host_device_scalarIT6_EEPKT4_S3_PKS5_S9_S3_SB_S6_S9_S3_SB_S9_S3_PS5_21rocsparse_index_base_SD_SD_SD_bbb,comdat
	.globl	_ZN9rocsparseL41csrgemm_numeric_fill_block_per_row_kernelILj128ELj16ELj256ELj137ELj32ElidEEvT5_PKS1_S3_NS_24const_host_device_scalarIT6_EEPKT4_S3_PKS5_S9_S3_SB_S6_S9_S3_SB_S9_S3_PS5_21rocsparse_index_base_SD_SD_SD_bbb ; -- Begin function _ZN9rocsparseL41csrgemm_numeric_fill_block_per_row_kernelILj128ELj16ELj256ELj137ELj32ElidEEvT5_PKS1_S3_NS_24const_host_device_scalarIT6_EEPKT4_S3_PKS5_S9_S3_SB_S6_S9_S3_SB_S9_S3_PS5_21rocsparse_index_base_SD_SD_SD_bbb
	.p2align	8
	.type	_ZN9rocsparseL41csrgemm_numeric_fill_block_per_row_kernelILj128ELj16ELj256ELj137ELj32ElidEEvT5_PKS1_S3_NS_24const_host_device_scalarIT6_EEPKT4_S3_PKS5_S9_S3_SB_S6_S9_S3_SB_S9_S3_PS5_21rocsparse_index_base_SD_SD_SD_bbb,@function
_ZN9rocsparseL41csrgemm_numeric_fill_block_per_row_kernelILj128ELj16ELj256ELj137ELj32ElidEEvT5_PKS1_S3_NS_24const_host_device_scalarIT6_EEPKT4_S3_PKS5_S9_S3_SB_S6_S9_S3_SB_S9_S3_PS5_21rocsparse_index_base_SD_SD_SD_bbb: ; @_ZN9rocsparseL41csrgemm_numeric_fill_block_per_row_kernelILj128ELj16ELj256ELj137ELj32ElidEEvT5_PKS1_S3_NS_24const_host_device_scalarIT6_EEPKT4_S3_PKS5_S9_S3_SB_S6_S9_S3_SB_S9_S3_PS5_21rocsparse_index_base_SD_SD_SD_bbb
; %bb.0:
	s_clause 0x2
	s_load_b32 s6, s[0:1], 0x98
	s_load_b64 s[4:5], s[0:1], 0x18
	s_load_b64 s[2:3], s[0:1], 0x50
	s_waitcnt lgkmcnt(0)
	s_and_b32 s8, 1, s6
	s_bitcmp1_b32 s6, 16
	s_cselect_b32 s7, -1, 0
	s_cmp_eq_u32 s8, 1
	s_cselect_b32 s35, -1, 0
	s_delay_alu instid0(SALU_CYCLE_1)
	s_and_b32 s8, s35, exec_lo
	s_cselect_b32 s9, s5, 0
	s_cselect_b32 s8, s4, 0
	s_xor_b32 s10, s35, -1
	v_dual_mov_b32 v3, s8 :: v_dual_mov_b32 v4, s9
	s_or_b32 s10, s10, s7
	s_delay_alu instid0(SALU_CYCLE_1)
	s_and_b32 vcc_lo, exec_lo, s10
	s_cbranch_vccnz .LBB182_2
; %bb.1:
	v_dual_mov_b32 v1, s4 :: v_dual_mov_b32 v2, s5
	flat_load_b64 v[3:4], v[1:2]
.LBB182_2:
	s_load_b128 s[24:27], s[0:1], 0x88
	s_bitcmp1_b32 s6, 8
	s_cselect_b32 s34, -1, 0
	s_delay_alu instid0(SALU_CYCLE_1)
	s_and_b32 s4, s34, exec_lo
	s_cselect_b32 s5, s3, 0
	s_cselect_b32 s4, s2, 0
	s_xor_b32 s6, s34, -1
	v_dual_mov_b32 v1, s4 :: v_dual_mov_b32 v2, s5
	s_or_b32 s6, s6, s7
	s_delay_alu instid0(SALU_CYCLE_1)
	s_and_b32 vcc_lo, exec_lo, s6
	s_cbranch_vccnz .LBB182_4
; %bb.3:
	v_dual_mov_b32 v1, s2 :: v_dual_mov_b32 v2, s3
	flat_load_b64 v[1:2], v[1:2]
.LBB182_4:
	s_clause 0x5
	s_load_b64 s[12:13], s[0:1], 0x80
	s_load_b256 s[4:11], s[0:1], 0x58
	s_load_b128 s[28:31], s[0:1], 0x40
	s_load_b256 s[16:23], s[0:1], 0x20
	s_load_b128 s[36:39], s[0:1], 0x8
	s_load_b32 s33, s[0:1], 0x0
	v_cmp_gt_u32_e64 s0, 0x100, v0
	v_lshlrev_b32_e32 v19, 3, v0
	v_or_b32_e32 v17, 0xffffff80, v0
	v_lshl_add_u32 v18, v0, 2, 0
	s_delay_alu instid0(VALU_DEP_4)
	s_and_saveexec_b32 s1, s0
	s_cbranch_execz .LBB182_7
; %bb.5:
	s_waitcnt lgkmcnt(0)
	v_dual_mov_b32 v5, 0 :: v_dual_mov_b32 v10, s33
	v_add3_u32 v7, v19, 0, 0x400
	v_or_b32_e32 v8, 0xffffff80, v0
	v_lshl_add_u32 v9, v0, 2, 0
	s_delay_alu instid0(VALU_DEP_4)
	v_mov_b32_e32 v6, v5
	s_mov_b32 s2, 0
.LBB182_6:                              ; =>This Inner Loop Header: Depth=1
	s_delay_alu instid0(VALU_DEP_3) | instskip(NEXT) | instid1(VALU_DEP_1)
	v_add_co_u32 v8, s3, 0x80, v8
	s_xor_b32 s3, s3, -1
	ds_store_b32 v9, v10
	ds_store_b64 v7, v[5:6]
	v_add_nc_u32_e32 v7, 0x400, v7
	v_add_nc_u32_e32 v9, 0x200, v9
	s_and_b32 s3, exec_lo, s3
	s_delay_alu instid0(SALU_CYCLE_1) | instskip(NEXT) | instid1(SALU_CYCLE_1)
	s_or_b32 s2, s3, s2
	s_and_not1_b32 exec_lo, exec_lo, s2
	s_cbranch_execnz .LBB182_6
.LBB182_7:
	s_or_b32 exec_lo, exec_lo, s1
	s_waitcnt vmcnt(0) lgkmcnt(0)
	s_barrier
	buffer_gl0_inv
	s_load_b32 s1, s[36:37], 0x0
	s_mov_b32 s3, 0
	s_waitcnt lgkmcnt(0)
	s_add_i32 s2, s1, s15
	s_delay_alu instid0(SALU_CYCLE_1) | instskip(NEXT) | instid1(SALU_CYCLE_1)
	s_lshl_b64 s[2:3], s[2:3], 2
	s_add_u32 s2, s38, s2
	s_addc_u32 s3, s39, s3
	s_and_b32 vcc_lo, exec_lo, s35
	s_load_b32 s14, s[2:3], 0x0
	s_cbranch_vccz .LBB182_31
; %bb.8:
	s_waitcnt lgkmcnt(0)
	s_ashr_i32 s15, s14, 31
	v_lshrrev_b32_e32 v5, 4, v0
	s_lshl_b64 s[2:3], s[14:15], 3
	s_delay_alu instid0(SALU_CYCLE_1) | instskip(SKIP_1) | instid1(VALU_DEP_1)
	s_add_u32 s2, s16, s2
	s_addc_u32 s3, s17, s3
	v_sub_co_u32 v5, s1, v5, s24
	s_load_b128 s[36:39], s[2:3], 0x0
	v_sub_co_ci_u32_e64 v6, null, 0, 0, s1
	s_mov_b32 s1, exec_lo
	s_waitcnt lgkmcnt(0)
	v_add_co_u32 v5, vcc_lo, s36, v5
	s_delay_alu instid0(VALU_DEP_2)
	v_add_co_ci_u32_e32 v6, vcc_lo, s37, v6, vcc_lo
	s_sub_u32 s2, s38, s24
	s_subb_u32 s3, s39, 0
	s_delay_alu instid0(VALU_DEP_1) | instid1(SALU_CYCLE_1)
	v_cmpx_gt_i64_e64 s[2:3], v[5:6]
	s_cbranch_execz .LBB182_30
; %bb.9:
	v_and_b32_e32 v7, 15, v0
	s_mov_b32 s16, s25
	s_delay_alu instid0(VALU_DEP_1) | instskip(NEXT) | instid1(VALU_DEP_1)
	v_sub_co_u32 v20, s15, v7, s25
	v_sub_co_ci_u32_e64 v21, null, 0, 0, s15
	s_mov_b32 s15, 0
	s_branch .LBB182_11
.LBB182_10:                             ;   in Loop: Header=BB182_11 Depth=1
	s_or_b32 exec_lo, exec_lo, s17
	v_add_co_u32 v5, vcc_lo, v5, 8
	v_add_co_ci_u32_e32 v6, vcc_lo, 0, v6, vcc_lo
	s_delay_alu instid0(VALU_DEP_1) | instskip(SKIP_1) | instid1(SALU_CYCLE_1)
	v_cmp_le_i64_e32 vcc_lo, s[2:3], v[5:6]
	s_or_b32 s15, vcc_lo, s15
	s_and_not1_b32 exec_lo, exec_lo, s15
	s_cbranch_execz .LBB182_30
.LBB182_11:                             ; =>This Loop Header: Depth=1
                                        ;     Child Loop BB182_14 Depth 2
                                        ;       Child Loop BB182_16 Depth 3
                                        ;         Child Loop BB182_22 Depth 4
                                        ;         Child Loop BB182_28 Depth 4
	v_lshlrev_b64 v[7:8], 2, v[5:6]
	s_mov_b32 s17, exec_lo
	s_delay_alu instid0(VALU_DEP_1) | instskip(NEXT) | instid1(VALU_DEP_2)
	v_add_co_u32 v7, vcc_lo, s18, v7
	v_add_co_ci_u32_e32 v8, vcc_lo, s19, v8, vcc_lo
	global_load_b32 v7, v[7:8], off
	s_waitcnt vmcnt(0)
	v_subrev_nc_u32_e32 v7, s24, v7
	s_delay_alu instid0(VALU_DEP_1) | instskip(NEXT) | instid1(VALU_DEP_1)
	v_ashrrev_i32_e32 v8, 31, v7
	v_lshlrev_b64 v[7:8], 3, v[7:8]
	s_delay_alu instid0(VALU_DEP_1) | instskip(NEXT) | instid1(VALU_DEP_2)
	v_add_co_u32 v7, vcc_lo, s22, v7
	v_add_co_ci_u32_e32 v8, vcc_lo, s23, v8, vcc_lo
	global_load_b128 v[9:12], v[7:8], off
	s_waitcnt vmcnt(0)
	v_sub_co_u32 v7, vcc_lo, v11, s16
	v_subrev_co_ci_u32_e32 v8, vcc_lo, 0, v12, vcc_lo
	v_add_co_u32 v9, vcc_lo, v9, v20
	v_add_co_ci_u32_e32 v10, vcc_lo, v10, v21, vcc_lo
	s_delay_alu instid0(VALU_DEP_1)
	v_cmpx_lt_i64_e64 v[9:10], v[7:8]
	s_cbranch_execz .LBB182_10
; %bb.12:                               ;   in Loop: Header=BB182_11 Depth=1
	v_lshlrev_b64 v[11:12], 3, v[5:6]
	s_mov_b32 s35, 0
	s_delay_alu instid0(VALU_DEP_1) | instskip(NEXT) | instid1(VALU_DEP_2)
	v_add_co_u32 v11, vcc_lo, s20, v11
	v_add_co_ci_u32_e32 v12, vcc_lo, s21, v12, vcc_lo
	global_load_b64 v[11:12], v[11:12], off
	s_waitcnt vmcnt(0)
	v_mul_f64 v[11:12], v[3:4], v[11:12]
	s_branch .LBB182_14
.LBB182_13:                             ;   in Loop: Header=BB182_14 Depth=2
	s_or_b32 exec_lo, exec_lo, s36
	v_add_co_u32 v9, vcc_lo, v9, 16
	v_add_co_ci_u32_e32 v10, vcc_lo, 0, v10, vcc_lo
	s_delay_alu instid0(VALU_DEP_1) | instskip(SKIP_1) | instid1(SALU_CYCLE_1)
	v_cmp_ge_i64_e32 vcc_lo, v[9:10], v[7:8]
	s_or_b32 s35, vcc_lo, s35
	s_and_not1_b32 exec_lo, exec_lo, s35
	s_cbranch_execz .LBB182_10
.LBB182_14:                             ;   Parent Loop BB182_11 Depth=1
                                        ; =>  This Loop Header: Depth=2
                                        ;       Child Loop BB182_16 Depth 3
                                        ;         Child Loop BB182_22 Depth 4
                                        ;         Child Loop BB182_28 Depth 4
	v_lshlrev_b64 v[13:14], 3, v[9:10]
	v_lshlrev_b64 v[15:16], 2, v[9:10]
	s_mov_b32 s36, 0
	s_delay_alu instid0(VALU_DEP_2) | instskip(NEXT) | instid1(VALU_DEP_3)
	v_add_co_u32 v13, vcc_lo, s30, v13
	v_add_co_ci_u32_e32 v14, vcc_lo, s31, v14, vcc_lo
	s_delay_alu instid0(VALU_DEP_3) | instskip(NEXT) | instid1(VALU_DEP_4)
	v_add_co_u32 v15, vcc_lo, s28, v15
	v_add_co_ci_u32_e32 v16, vcc_lo, s29, v16, vcc_lo
	global_load_b64 v[13:14], v[13:14], off
	global_load_b32 v15, v[15:16], off
	s_waitcnt vmcnt(1)
	v_mul_f64 v[13:14], v[11:12], v[13:14]
	s_waitcnt vmcnt(0)
	v_subrev_nc_u32_e32 v22, s25, v15
	s_delay_alu instid0(VALU_DEP_1) | instskip(NEXT) | instid1(VALU_DEP_1)
	v_mul_lo_u32 v15, 0x89, v22
	v_and_b32_e32 v23, 0xff, v15
	s_branch .LBB182_16
.LBB182_15:                             ;   in Loop: Header=BB182_16 Depth=3
	s_or_b32 exec_lo, exec_lo, s37
	s_xor_b32 s37, s38, -1
	s_delay_alu instid0(SALU_CYCLE_1) | instskip(NEXT) | instid1(SALU_CYCLE_1)
	s_and_b32 s37, exec_lo, s37
	s_or_b32 s36, s37, s36
	s_delay_alu instid0(SALU_CYCLE_1)
	s_and_not1_b32 exec_lo, exec_lo, s36
	s_cbranch_execz .LBB182_13
.LBB182_16:                             ;   Parent Loop BB182_11 Depth=1
                                        ;     Parent Loop BB182_14 Depth=2
                                        ; =>    This Loop Header: Depth=3
                                        ;         Child Loop BB182_22 Depth 4
                                        ;         Child Loop BB182_28 Depth 4
	s_delay_alu instid0(VALU_DEP_1)
	v_lshl_add_u32 v15, v23, 2, 0
	s_mov_b32 s37, exec_lo
                                        ; implicit-def: $sgpr38
	ds_load_b32 v16, v15
	s_waitcnt lgkmcnt(0)
	v_cmpx_ne_u32_e64 v16, v22
	s_xor_b32 s37, exec_lo, s37
	s_cbranch_execz .LBB182_26
; %bb.17:                               ;   in Loop: Header=BB182_16 Depth=3
	s_mov_b32 s39, exec_lo
                                        ; implicit-def: $sgpr38
	v_cmpx_ne_u32_e64 s33, v16
	s_xor_b32 s39, exec_lo, s39
; %bb.18:                               ;   in Loop: Header=BB182_16 Depth=3
	v_add_nc_u32_e32 v15, 1, v23
	s_mov_b32 s38, -1
	s_delay_alu instid0(VALU_DEP_1)
	v_and_b32_e32 v23, 0xff, v15
                                        ; implicit-def: $vgpr15
; %bb.19:                               ;   in Loop: Header=BB182_16 Depth=3
	s_and_not1_saveexec_b32 s39, s39
	s_cbranch_execz .LBB182_25
; %bb.20:                               ;   in Loop: Header=BB182_16 Depth=3
	v_mov_b32_e32 v16, s33
	s_mov_b32 s41, -1
	s_mov_b32 s40, exec_lo
	ds_cmpstore_rtn_b32 v16, v15, v22, v16
	s_waitcnt lgkmcnt(0)
	v_cmpx_eq_u32_e64 s33, v16
	s_cbranch_execz .LBB182_24
; %bb.21:                               ;   in Loop: Header=BB182_16 Depth=3
	v_lshlrev_b32_e32 v16, 2, v23
	s_mov_b32 s41, 0
	s_delay_alu instid0(VALU_DEP_1)
	v_add_nc_u32_e32 v24, v15, v16
	ds_load_b64 v[15:16], v24 offset:1024
.LBB182_22:                             ;   Parent Loop BB182_11 Depth=1
                                        ;     Parent Loop BB182_14 Depth=2
                                        ;       Parent Loop BB182_16 Depth=3
                                        ; =>      This Inner Loop Header: Depth=4
	s_waitcnt lgkmcnt(0)
	v_add_f64 v[25:26], v[15:16], v[13:14]
	ds_cmpstore_rtn_b64 v[25:26], v24, v[25:26], v[15:16] offset:1024
	s_waitcnt lgkmcnt(0)
	v_cmp_eq_u64_e32 vcc_lo, v[25:26], v[15:16]
	v_dual_mov_b32 v15, v25 :: v_dual_mov_b32 v16, v26
	s_or_b32 s41, vcc_lo, s41
	s_delay_alu instid0(SALU_CYCLE_1)
	s_and_not1_b32 exec_lo, exec_lo, s41
	s_cbranch_execnz .LBB182_22
; %bb.23:                               ;   in Loop: Header=BB182_16 Depth=3
	s_or_b32 exec_lo, exec_lo, s41
	s_delay_alu instid0(SALU_CYCLE_1)
	s_xor_b32 s41, exec_lo, -1
.LBB182_24:                             ;   in Loop: Header=BB182_16 Depth=3
	s_or_b32 exec_lo, exec_lo, s40
	s_delay_alu instid0(SALU_CYCLE_1) | instskip(SKIP_1) | instid1(SALU_CYCLE_1)
	s_and_not1_b32 s38, s38, exec_lo
	s_and_b32 s40, s41, exec_lo
	s_or_b32 s38, s38, s40
.LBB182_25:                             ;   in Loop: Header=BB182_16 Depth=3
	s_or_b32 exec_lo, exec_lo, s39
	s_delay_alu instid0(SALU_CYCLE_1)
	s_and_b32 s38, s38, exec_lo
                                        ; implicit-def: $vgpr15
.LBB182_26:                             ;   in Loop: Header=BB182_16 Depth=3
	s_and_not1_saveexec_b32 s37, s37
	s_cbranch_execz .LBB182_15
; %bb.27:                               ;   in Loop: Header=BB182_16 Depth=3
	v_lshlrev_b32_e32 v16, 2, v23
	s_mov_b32 s39, 0
	s_delay_alu instid0(VALU_DEP_1)
	v_add_nc_u32_e32 v24, v15, v16
	ds_load_b64 v[15:16], v24 offset:1024
.LBB182_28:                             ;   Parent Loop BB182_11 Depth=1
                                        ;     Parent Loop BB182_14 Depth=2
                                        ;       Parent Loop BB182_16 Depth=3
                                        ; =>      This Inner Loop Header: Depth=4
	s_waitcnt lgkmcnt(0)
	v_add_f64 v[25:26], v[15:16], v[13:14]
	ds_cmpstore_rtn_b64 v[25:26], v24, v[25:26], v[15:16] offset:1024
	s_waitcnt lgkmcnt(0)
	v_cmp_eq_u64_e32 vcc_lo, v[25:26], v[15:16]
	v_dual_mov_b32 v15, v25 :: v_dual_mov_b32 v16, v26
	s_or_b32 s39, vcc_lo, s39
	s_delay_alu instid0(SALU_CYCLE_1)
	s_and_not1_b32 exec_lo, exec_lo, s39
	s_cbranch_execnz .LBB182_28
; %bb.29:                               ;   in Loop: Header=BB182_16 Depth=3
	s_or_b32 exec_lo, exec_lo, s39
	s_delay_alu instid0(SALU_CYCLE_1)
	s_and_not1_b32 s38, s38, exec_lo
	s_branch .LBB182_15
.LBB182_30:
	s_or_b32 exec_lo, exec_lo, s1
.LBB182_31:
	s_delay_alu instid0(SALU_CYCLE_1)
	s_and_not1_b32 vcc_lo, exec_lo, s34
	s_cbranch_vccnz .LBB182_34
; %bb.32:
	s_waitcnt lgkmcnt(0)
	s_ashr_i32 s15, s14, 31
	v_sub_co_u32 v3, s1, v0, s27
	s_lshl_b64 s[2:3], s[14:15], 3
	v_sub_co_ci_u32_e64 v4, null, 0, 0, s1
	s_add_u32 s2, s4, s2
	s_addc_u32 s3, s5, s3
	s_mov_b32 s4, 0
	s_load_b128 s[16:19], s[2:3], 0x0
	s_mov_b32 s1, exec_lo
	s_waitcnt lgkmcnt(0)
	v_add_co_u32 v3, vcc_lo, s16, v3
	v_add_co_ci_u32_e32 v4, vcc_lo, s17, v4, vcc_lo
	s_sub_u32 s2, s18, s27
	s_subb_u32 s3, s19, 0
	s_delay_alu instid0(VALU_DEP_1) | instid1(SALU_CYCLE_1)
	v_cmpx_gt_i64_e64 s[2:3], v[3:4]
	s_cbranch_execnz .LBB182_48
.LBB182_33:
	s_or_b32 exec_lo, exec_lo, s1
.LBB182_34:
	s_waitcnt lgkmcnt(0)
	s_barrier
	buffer_gl0_inv
	s_and_saveexec_b32 s4, s0
	s_cbranch_execz .LBB182_64
; %bb.35:
	v_mbcnt_lo_u32_b32 v1, -1, 0
	v_lshrrev_b32_e32 v2, 3, v0
	v_cmp_eq_u32_e32 vcc_lo, 0x7f, v0
	v_cmp_lt_u32_e64 s0, 31, v0
	v_cmp_lt_u32_e64 s1, 63, v0
	v_xor_b32_e32 v1, 63, v1
	v_dual_mov_b32 v6, 0 :: v_dual_and_b32 v3, 12, v2
	v_cmp_lt_u32_e64 s2, 0x5f, v0
	v_add3_u32 v4, v19, 0, 0x400
	s_delay_alu instid0(VALU_DEP_4) | instskip(NEXT) | instid1(VALU_DEP_4)
	v_lshrrev_b64 v[1:2], v1, -1
	v_add_nc_u32_e32 v5, 0, v3
	v_mov_b32_e32 v7, 0
	s_mov_b32 s5, 0
	s_branch .LBB182_37
.LBB182_36:                             ;   in Loop: Header=BB182_37 Depth=1
	s_or_b32 exec_lo, exec_lo, s3
	s_waitcnt lgkmcnt(0)
	s_barrier
	buffer_gl0_inv
	ds_load_b32 v2, v6 offset:3084
	v_add_co_u32 v17, s3, 0x80, v17
	s_delay_alu instid0(VALU_DEP_1) | instskip(SKIP_3) | instid1(SALU_CYCLE_1)
	s_xor_b32 s3, s3, -1
	v_add_nc_u32_e32 v4, 0x400, v4
	v_add_nc_u32_e32 v18, 0x200, v18
	s_and_b32 s3, exec_lo, s3
	s_or_b32 s5, s3, s5
	s_waitcnt lgkmcnt(0)
	v_add_nc_u32_e32 v7, v2, v7
	s_and_not1_b32 exec_lo, exec_lo, s5
	s_cbranch_execz .LBB182_64
.LBB182_37:                             ; =>This Inner Loop Header: Depth=1
	ds_load_b32 v8, v18
	ds_load_b64 v[2:3], v4
	s_waitcnt lgkmcnt(0)
	s_barrier
	buffer_gl0_inv
	v_cmp_gt_i32_e64 s3, s33, v8
	s_delay_alu instid0(VALU_DEP_1) | instskip(NEXT) | instid1(SALU_CYCLE_1)
	s_bcnt1_i32_b32 s6, s3
	v_dual_mov_b32 v10, s6 :: v_dual_and_b32 v9, s3, v1
	s_delay_alu instid0(VALU_DEP_1)
	v_bcnt_u32_b32 v9, v9, 0
	ds_store_b32 v5, v10 offset:3072
	s_waitcnt lgkmcnt(0)
	s_barrier
	buffer_gl0_inv
	s_and_saveexec_b32 s6, s0
	s_cbranch_execnz .LBB182_42
; %bb.38:                               ;   in Loop: Header=BB182_37 Depth=1
	s_or_b32 exec_lo, exec_lo, s6
	s_and_saveexec_b32 s6, s1
	s_cbranch_execnz .LBB182_43
.LBB182_39:                             ;   in Loop: Header=BB182_37 Depth=1
	s_or_b32 exec_lo, exec_lo, s6
	s_and_saveexec_b32 s6, s2
	s_cbranch_execnz .LBB182_44
.LBB182_40:                             ;   in Loop: Header=BB182_37 Depth=1
	s_or_b32 exec_lo, exec_lo, s6
	s_and_saveexec_b32 s6, s3
	s_cbranch_execnz .LBB182_45
.LBB182_41:                             ;   in Loop: Header=BB182_37 Depth=1
	s_or_b32 exec_lo, exec_lo, s6
	s_and_saveexec_b32 s3, vcc_lo
	s_cbranch_execz .LBB182_36
	s_branch .LBB182_46
.LBB182_42:                             ;   in Loop: Header=BB182_37 Depth=1
	ds_load_b32 v10, v6 offset:3072
	s_waitcnt lgkmcnt(0)
	v_add_nc_u32_e32 v9, v10, v9
	s_or_b32 exec_lo, exec_lo, s6
	s_and_saveexec_b32 s6, s1
	s_cbranch_execz .LBB182_39
.LBB182_43:                             ;   in Loop: Header=BB182_37 Depth=1
	ds_load_b32 v10, v6 offset:3076
	s_waitcnt lgkmcnt(0)
	v_add_nc_u32_e32 v9, v10, v9
	s_or_b32 exec_lo, exec_lo, s6
	s_and_saveexec_b32 s6, s2
	s_cbranch_execz .LBB182_40
.LBB182_44:                             ;   in Loop: Header=BB182_37 Depth=1
	ds_load_b32 v10, v6 offset:3080
	s_waitcnt lgkmcnt(0)
	v_add_nc_u32_e32 v9, v10, v9
	s_or_b32 exec_lo, exec_lo, s6
	s_and_saveexec_b32 s6, s3
	s_cbranch_execz .LBB182_41
.LBB182_45:                             ;   in Loop: Header=BB182_37 Depth=1
	s_delay_alu instid0(VALU_DEP_1) | instskip(NEXT) | instid1(VALU_DEP_1)
	v_add3_u32 v10, v7, -1, v9
	v_lshl_add_u32 v11, v10, 2, 0
	v_lshl_add_u32 v10, v10, 3, 0
	ds_store_b32 v11, v8
	ds_store_b64 v10, v[2:3] offset:1024
	s_or_b32 exec_lo, exec_lo, s6
	s_and_saveexec_b32 s3, vcc_lo
	s_cbranch_execz .LBB182_36
.LBB182_46:                             ;   in Loop: Header=BB182_37 Depth=1
	ds_store_b32 v6, v9 offset:3084
	s_branch .LBB182_36
.LBB182_47:                             ;   in Loop: Header=BB182_48 Depth=1
	s_or_b32 exec_lo, exec_lo, s5
	v_add_co_u32 v3, vcc_lo, 0x80, v3
	v_add_co_ci_u32_e32 v4, vcc_lo, 0, v4, vcc_lo
	s_delay_alu instid0(VALU_DEP_1) | instskip(SKIP_1) | instid1(SALU_CYCLE_1)
	v_cmp_le_i64_e32 vcc_lo, s[2:3], v[3:4]
	s_or_b32 s4, vcc_lo, s4
	s_and_not1_b32 exec_lo, exec_lo, s4
	s_cbranch_execz .LBB182_33
.LBB182_48:                             ; =>This Loop Header: Depth=1
                                        ;     Child Loop BB182_50 Depth 2
                                        ;       Child Loop BB182_56 Depth 3
                                        ;       Child Loop BB182_62 Depth 3
	v_lshlrev_b64 v[5:6], 3, v[3:4]
	v_lshlrev_b64 v[7:8], 2, v[3:4]
	s_mov_b32 s5, 0
	s_delay_alu instid0(VALU_DEP_2) | instskip(NEXT) | instid1(VALU_DEP_3)
	v_add_co_u32 v5, vcc_lo, s8, v5
	v_add_co_ci_u32_e32 v6, vcc_lo, s9, v6, vcc_lo
	s_delay_alu instid0(VALU_DEP_3) | instskip(NEXT) | instid1(VALU_DEP_4)
	v_add_co_u32 v7, vcc_lo, s6, v7
	v_add_co_ci_u32_e32 v8, vcc_lo, s7, v8, vcc_lo
	global_load_b64 v[5:6], v[5:6], off
	global_load_b32 v7, v[7:8], off
	s_waitcnt vmcnt(1)
	v_mul_f64 v[5:6], v[1:2], v[5:6]
	s_waitcnt vmcnt(0)
	v_subrev_nc_u32_e32 v9, s27, v7
	s_delay_alu instid0(VALU_DEP_1) | instskip(NEXT) | instid1(VALU_DEP_1)
	v_mul_lo_u32 v7, 0x89, v9
	v_and_b32_e32 v10, 0xff, v7
	s_branch .LBB182_50
.LBB182_49:                             ;   in Loop: Header=BB182_50 Depth=2
	s_or_b32 exec_lo, exec_lo, s15
	s_xor_b32 s15, s16, -1
	s_delay_alu instid0(SALU_CYCLE_1) | instskip(NEXT) | instid1(SALU_CYCLE_1)
	s_and_b32 s15, exec_lo, s15
	s_or_b32 s5, s15, s5
	s_delay_alu instid0(SALU_CYCLE_1)
	s_and_not1_b32 exec_lo, exec_lo, s5
	s_cbranch_execz .LBB182_47
.LBB182_50:                             ;   Parent Loop BB182_48 Depth=1
                                        ; =>  This Loop Header: Depth=2
                                        ;       Child Loop BB182_56 Depth 3
                                        ;       Child Loop BB182_62 Depth 3
	s_delay_alu instid0(VALU_DEP_1)
	v_lshl_add_u32 v7, v10, 2, 0
	s_mov_b32 s15, exec_lo
                                        ; implicit-def: $sgpr16
	ds_load_b32 v8, v7
	s_waitcnt lgkmcnt(0)
	v_cmpx_ne_u32_e64 v8, v9
	s_xor_b32 s15, exec_lo, s15
	s_cbranch_execz .LBB182_60
; %bb.51:                               ;   in Loop: Header=BB182_50 Depth=2
	s_mov_b32 s17, exec_lo
                                        ; implicit-def: $sgpr16
	v_cmpx_ne_u32_e64 s33, v8
	s_xor_b32 s17, exec_lo, s17
; %bb.52:                               ;   in Loop: Header=BB182_50 Depth=2
	v_add_nc_u32_e32 v7, 1, v10
	s_mov_b32 s16, -1
	s_delay_alu instid0(VALU_DEP_1)
	v_and_b32_e32 v10, 0xff, v7
                                        ; implicit-def: $vgpr7
; %bb.53:                               ;   in Loop: Header=BB182_50 Depth=2
	s_and_not1_saveexec_b32 s17, s17
	s_cbranch_execz .LBB182_59
; %bb.54:                               ;   in Loop: Header=BB182_50 Depth=2
	v_mov_b32_e32 v8, s33
	s_mov_b32 s19, -1
	s_mov_b32 s18, exec_lo
	ds_cmpstore_rtn_b32 v8, v7, v9, v8
	s_waitcnt lgkmcnt(0)
	v_cmpx_eq_u32_e64 s33, v8
	s_cbranch_execz .LBB182_58
; %bb.55:                               ;   in Loop: Header=BB182_50 Depth=2
	v_lshlrev_b32_e32 v8, 2, v10
	s_mov_b32 s19, 0
	s_delay_alu instid0(VALU_DEP_1)
	v_add_nc_u32_e32 v11, v7, v8
	ds_load_b64 v[7:8], v11 offset:1024
.LBB182_56:                             ;   Parent Loop BB182_48 Depth=1
                                        ;     Parent Loop BB182_50 Depth=2
                                        ; =>    This Inner Loop Header: Depth=3
	s_waitcnt lgkmcnt(0)
	v_add_f64 v[12:13], v[7:8], v[5:6]
	ds_cmpstore_rtn_b64 v[12:13], v11, v[12:13], v[7:8] offset:1024
	s_waitcnt lgkmcnt(0)
	v_cmp_eq_u64_e32 vcc_lo, v[12:13], v[7:8]
	v_dual_mov_b32 v7, v12 :: v_dual_mov_b32 v8, v13
	s_or_b32 s19, vcc_lo, s19
	s_delay_alu instid0(SALU_CYCLE_1)
	s_and_not1_b32 exec_lo, exec_lo, s19
	s_cbranch_execnz .LBB182_56
; %bb.57:                               ;   in Loop: Header=BB182_50 Depth=2
	s_or_b32 exec_lo, exec_lo, s19
	s_delay_alu instid0(SALU_CYCLE_1)
	s_xor_b32 s19, exec_lo, -1
.LBB182_58:                             ;   in Loop: Header=BB182_50 Depth=2
	s_or_b32 exec_lo, exec_lo, s18
	s_delay_alu instid0(SALU_CYCLE_1) | instskip(SKIP_1) | instid1(SALU_CYCLE_1)
	s_and_not1_b32 s16, s16, exec_lo
	s_and_b32 s18, s19, exec_lo
	s_or_b32 s16, s16, s18
.LBB182_59:                             ;   in Loop: Header=BB182_50 Depth=2
	s_or_b32 exec_lo, exec_lo, s17
	s_delay_alu instid0(SALU_CYCLE_1)
	s_and_b32 s16, s16, exec_lo
                                        ; implicit-def: $vgpr7
.LBB182_60:                             ;   in Loop: Header=BB182_50 Depth=2
	s_and_not1_saveexec_b32 s15, s15
	s_cbranch_execz .LBB182_49
; %bb.61:                               ;   in Loop: Header=BB182_50 Depth=2
	v_lshlrev_b32_e32 v8, 2, v10
	s_mov_b32 s17, 0
	s_delay_alu instid0(VALU_DEP_1)
	v_add_nc_u32_e32 v11, v7, v8
	ds_load_b64 v[7:8], v11 offset:1024
.LBB182_62:                             ;   Parent Loop BB182_48 Depth=1
                                        ;     Parent Loop BB182_50 Depth=2
                                        ; =>    This Inner Loop Header: Depth=3
	s_waitcnt lgkmcnt(0)
	v_add_f64 v[12:13], v[7:8], v[5:6]
	ds_cmpstore_rtn_b64 v[12:13], v11, v[12:13], v[7:8] offset:1024
	s_waitcnt lgkmcnt(0)
	v_cmp_eq_u64_e32 vcc_lo, v[12:13], v[7:8]
	v_dual_mov_b32 v7, v12 :: v_dual_mov_b32 v8, v13
	s_or_b32 s17, vcc_lo, s17
	s_delay_alu instid0(SALU_CYCLE_1)
	s_and_not1_b32 exec_lo, exec_lo, s17
	s_cbranch_execnz .LBB182_62
; %bb.63:                               ;   in Loop: Header=BB182_50 Depth=2
	s_or_b32 exec_lo, exec_lo, s17
	s_delay_alu instid0(SALU_CYCLE_1)
	s_and_not1_b32 s16, s16, exec_lo
	s_branch .LBB182_49
.LBB182_64:
	s_or_b32 exec_lo, exec_lo, s4
	s_ashr_i32 s15, s14, 31
	s_mov_b32 s4, exec_lo
	s_lshl_b64 s[0:1], s[14:15], 3
	s_delay_alu instid0(SALU_CYCLE_1) | instskip(SKIP_4) | instid1(SALU_CYCLE_1)
	s_add_u32 s0, s10, s0
	s_addc_u32 s1, s11, s1
	s_load_b128 s[0:3], s[0:1], 0x0
	s_waitcnt lgkmcnt(0)
	s_sub_i32 s3, s2, s0
	v_cmpx_gt_i32_e64 s3, v0
	s_cbranch_execz .LBB182_74
; %bb.65:
	s_sub_u32 s4, s0, s26
	s_subb_u32 s5, s1, 0
	s_sub_i32 s0, s0, s2
	s_and_b32 s1, s3, 7
	s_cmp_lt_u32 s0, -7
	s_mov_b32 s8, 0
	s_cselect_b32 s2, -1, 0
	s_and_b32 s6, s3, -8
	s_cmp_lg_u32 s1, 0
	s_cselect_b32 s7, -1, 0
	s_branch .LBB182_67
.LBB182_66:                             ;   in Loop: Header=BB182_67 Depth=1
	s_delay_alu instid0(VALU_DEP_1) | instskip(SKIP_1) | instid1(VALU_DEP_1)
	v_lshlrev_b64 v[3:4], 3, v[3:4]
	v_add_nc_u32_e32 v0, 0x80, v0
	v_cmp_le_i32_e32 vcc_lo, s3, v0
	s_delay_alu instid0(VALU_DEP_3) | instskip(NEXT) | instid1(VALU_DEP_1)
	v_add_co_u32 v3, s0, s12, v3
	v_add_co_ci_u32_e64 v4, s0, s13, v4, s0
	s_or_b32 s8, vcc_lo, s8
	s_waitcnt lgkmcnt(0)
	global_store_b64 v[3:4], v[1:2], off
	s_and_not1_b32 exec_lo, exec_lo, s8
	s_cbranch_execz .LBB182_74
.LBB182_67:                             ; =>This Loop Header: Depth=1
                                        ;     Child Loop BB182_69 Depth 2
                                        ;     Child Loop BB182_73 Depth 2
	v_lshlrev_b32_e32 v1, 2, v0
	v_dual_mov_b32 v3, s4 :: v_dual_mov_b32 v4, s5
	s_and_not1_b32 vcc_lo, exec_lo, s2
	s_mov_b32 s0, 0
	s_delay_alu instid0(VALU_DEP_2) | instskip(NEXT) | instid1(VALU_DEP_1)
	v_add_nc_u32_e32 v2, 0, v1
	v_add_nc_u32_e32 v1, v2, v1
	ds_load_b32 v5, v2
	ds_load_b64 v[1:2], v1 offset:1024
	s_cbranch_vccnz .LBB182_71
; %bb.68:                               ;   in Loop: Header=BB182_67 Depth=1
	v_dual_mov_b32 v3, s4 :: v_dual_mov_b32 v4, s5
	s_mov_b32 s9, 0
	s_mov_b32 s10, 0
.LBB182_69:                             ;   Parent Loop BB182_67 Depth=1
                                        ; =>  This Inner Loop Header: Depth=2
	s_delay_alu instid0(SALU_CYCLE_1)
	v_mov_b32_e32 v12, s10
	s_add_i32 s9, s9, 8
	s_add_i32 s10, s10, 32
	s_cmp_eq_u32 s6, s9
	ds_load_2addr_b32 v[6:7], v12 offset1:1
	ds_load_2addr_b32 v[8:9], v12 offset0:2 offset1:3
	ds_load_2addr_b32 v[10:11], v12 offset0:4 offset1:5
	ds_load_2addr_b32 v[12:13], v12 offset0:6 offset1:7
	s_waitcnt lgkmcnt(3)
	v_cmp_gt_i32_e32 vcc_lo, v5, v6
	v_cndmask_b32_e64 v6, 0, 1, vcc_lo
	v_cmp_gt_i32_e32 vcc_lo, v5, v7
	v_cndmask_b32_e64 v7, 0, 1, vcc_lo
	s_waitcnt lgkmcnt(2)
	v_cmp_gt_i32_e32 vcc_lo, v5, v8
	v_cndmask_b32_e64 v8, 0, 1, vcc_lo
	v_cmp_gt_i32_e32 vcc_lo, v5, v9
	v_cndmask_b32_e64 v9, 0, 1, vcc_lo
	s_waitcnt lgkmcnt(1)
	v_cmp_gt_i32_e32 vcc_lo, v5, v10
	v_cndmask_b32_e64 v10, 0, 1, vcc_lo
	v_add_co_u32 v3, vcc_lo, v3, v6
	v_add_co_ci_u32_e32 v4, vcc_lo, 0, v4, vcc_lo
	v_cmp_gt_i32_e32 vcc_lo, v5, v11
	s_delay_alu instid0(VALU_DEP_3) | instskip(NEXT) | instid1(VALU_DEP_1)
	v_add_co_u32 v3, s0, v3, v7
	v_add_co_ci_u32_e64 v4, s0, 0, v4, s0
	v_cndmask_b32_e64 v6, 0, 1, vcc_lo
	s_delay_alu instid0(VALU_DEP_3) | instskip(NEXT) | instid1(VALU_DEP_3)
	v_add_co_u32 v3, vcc_lo, v3, v8
	v_add_co_ci_u32_e32 v4, vcc_lo, 0, v4, vcc_lo
	s_waitcnt lgkmcnt(0)
	v_cmp_gt_i32_e32 vcc_lo, v5, v12
	s_delay_alu instid0(VALU_DEP_3) | instskip(NEXT) | instid1(VALU_DEP_1)
	v_add_co_u32 v3, s0, v3, v9
	v_add_co_ci_u32_e64 v4, s0, 0, v4, s0
	v_cndmask_b32_e64 v7, 0, 1, vcc_lo
	s_delay_alu instid0(VALU_DEP_3) | instskip(NEXT) | instid1(VALU_DEP_3)
	v_add_co_u32 v3, vcc_lo, v3, v10
	v_add_co_ci_u32_e32 v4, vcc_lo, 0, v4, vcc_lo
	v_cmp_gt_i32_e32 vcc_lo, v5, v13
	s_delay_alu instid0(VALU_DEP_3) | instskip(NEXT) | instid1(VALU_DEP_1)
	v_add_co_u32 v3, s0, v3, v6
	v_add_co_ci_u32_e64 v4, s0, 0, v4, s0
	v_cndmask_b32_e64 v6, 0, 1, vcc_lo
	s_delay_alu instid0(VALU_DEP_3) | instskip(NEXT) | instid1(VALU_DEP_3)
	v_add_co_u32 v3, vcc_lo, v3, v7
	v_add_co_ci_u32_e32 v4, vcc_lo, 0, v4, vcc_lo
	s_delay_alu instid0(VALU_DEP_2) | instskip(NEXT) | instid1(VALU_DEP_2)
	v_add_co_u32 v3, vcc_lo, v3, v6
	v_add_co_ci_u32_e32 v4, vcc_lo, 0, v4, vcc_lo
	s_cbranch_scc0 .LBB182_69
; %bb.70:                               ;   in Loop: Header=BB182_67 Depth=1
	s_mov_b32 s0, s6
.LBB182_71:                             ;   in Loop: Header=BB182_67 Depth=1
	s_and_not1_b32 vcc_lo, exec_lo, s7
	s_cbranch_vccnz .LBB182_66
; %bb.72:                               ;   in Loop: Header=BB182_67 Depth=1
	s_lshl_b32 s0, s0, 2
	s_mov_b32 s9, s1
	s_add_i32 s0, s0, 0
.LBB182_73:                             ;   Parent Loop BB182_67 Depth=1
                                        ; =>  This Inner Loop Header: Depth=2
	s_delay_alu instid0(SALU_CYCLE_1)
	v_mov_b32_e32 v6, s0
	s_add_i32 s9, s9, -1
	s_add_i32 s0, s0, 4
	s_cmp_lg_u32 s9, 0
	ds_load_b32 v6, v6
	s_waitcnt lgkmcnt(0)
	v_cmp_gt_i32_e32 vcc_lo, v5, v6
	v_cndmask_b32_e64 v6, 0, 1, vcc_lo
	s_delay_alu instid0(VALU_DEP_1)
	v_add_co_u32 v3, vcc_lo, v3, v6
	v_add_co_ci_u32_e32 v4, vcc_lo, 0, v4, vcc_lo
	s_cbranch_scc1 .LBB182_73
	s_branch .LBB182_66
.LBB182_74:
	s_nop 0
	s_sendmsg sendmsg(MSG_DEALLOC_VGPRS)
	s_endpgm
	.section	.rodata,"a",@progbits
	.p2align	6, 0x0
	.amdhsa_kernel _ZN9rocsparseL41csrgemm_numeric_fill_block_per_row_kernelILj128ELj16ELj256ELj137ELj32ElidEEvT5_PKS1_S3_NS_24const_host_device_scalarIT6_EEPKT4_S3_PKS5_S9_S3_SB_S6_S9_S3_SB_S9_S3_PS5_21rocsparse_index_base_SD_SD_SD_bbb
		.amdhsa_group_segment_fixed_size 0
		.amdhsa_private_segment_fixed_size 0
		.amdhsa_kernarg_size 156
		.amdhsa_user_sgpr_count 15
		.amdhsa_user_sgpr_dispatch_ptr 0
		.amdhsa_user_sgpr_queue_ptr 0
		.amdhsa_user_sgpr_kernarg_segment_ptr 1
		.amdhsa_user_sgpr_dispatch_id 0
		.amdhsa_user_sgpr_private_segment_size 0
		.amdhsa_wavefront_size32 1
		.amdhsa_uses_dynamic_stack 0
		.amdhsa_enable_private_segment 0
		.amdhsa_system_sgpr_workgroup_id_x 1
		.amdhsa_system_sgpr_workgroup_id_y 0
		.amdhsa_system_sgpr_workgroup_id_z 0
		.amdhsa_system_sgpr_workgroup_info 0
		.amdhsa_system_vgpr_workitem_id 0
		.amdhsa_next_free_vgpr 27
		.amdhsa_next_free_sgpr 42
		.amdhsa_reserve_vcc 1
		.amdhsa_float_round_mode_32 0
		.amdhsa_float_round_mode_16_64 0
		.amdhsa_float_denorm_mode_32 3
		.amdhsa_float_denorm_mode_16_64 3
		.amdhsa_dx10_clamp 1
		.amdhsa_ieee_mode 1
		.amdhsa_fp16_overflow 0
		.amdhsa_workgroup_processor_mode 1
		.amdhsa_memory_ordered 1
		.amdhsa_forward_progress 0
		.amdhsa_shared_vgpr_count 0
		.amdhsa_exception_fp_ieee_invalid_op 0
		.amdhsa_exception_fp_denorm_src 0
		.amdhsa_exception_fp_ieee_div_zero 0
		.amdhsa_exception_fp_ieee_overflow 0
		.amdhsa_exception_fp_ieee_underflow 0
		.amdhsa_exception_fp_ieee_inexact 0
		.amdhsa_exception_int_div_zero 0
	.end_amdhsa_kernel
	.section	.text._ZN9rocsparseL41csrgemm_numeric_fill_block_per_row_kernelILj128ELj16ELj256ELj137ELj32ElidEEvT5_PKS1_S3_NS_24const_host_device_scalarIT6_EEPKT4_S3_PKS5_S9_S3_SB_S6_S9_S3_SB_S9_S3_PS5_21rocsparse_index_base_SD_SD_SD_bbb,"axG",@progbits,_ZN9rocsparseL41csrgemm_numeric_fill_block_per_row_kernelILj128ELj16ELj256ELj137ELj32ElidEEvT5_PKS1_S3_NS_24const_host_device_scalarIT6_EEPKT4_S3_PKS5_S9_S3_SB_S6_S9_S3_SB_S9_S3_PS5_21rocsparse_index_base_SD_SD_SD_bbb,comdat
.Lfunc_end182:
	.size	_ZN9rocsparseL41csrgemm_numeric_fill_block_per_row_kernelILj128ELj16ELj256ELj137ELj32ElidEEvT5_PKS1_S3_NS_24const_host_device_scalarIT6_EEPKT4_S3_PKS5_S9_S3_SB_S6_S9_S3_SB_S9_S3_PS5_21rocsparse_index_base_SD_SD_SD_bbb, .Lfunc_end182-_ZN9rocsparseL41csrgemm_numeric_fill_block_per_row_kernelILj128ELj16ELj256ELj137ELj32ElidEEvT5_PKS1_S3_NS_24const_host_device_scalarIT6_EEPKT4_S3_PKS5_S9_S3_SB_S6_S9_S3_SB_S9_S3_PS5_21rocsparse_index_base_SD_SD_SD_bbb
                                        ; -- End function
	.section	.AMDGPU.csdata,"",@progbits
; Kernel info:
; codeLenInByte = 3164
; NumSgprs: 44
; NumVgprs: 27
; ScratchSize: 0
; MemoryBound: 0
; FloatMode: 240
; IeeeMode: 1
; LDSByteSize: 0 bytes/workgroup (compile time only)
; SGPRBlocks: 5
; VGPRBlocks: 3
; NumSGPRsForWavesPerEU: 44
; NumVGPRsForWavesPerEU: 27
; Occupancy: 16
; WaveLimiterHint : 1
; COMPUTE_PGM_RSRC2:SCRATCH_EN: 0
; COMPUTE_PGM_RSRC2:USER_SGPR: 15
; COMPUTE_PGM_RSRC2:TRAP_HANDLER: 0
; COMPUTE_PGM_RSRC2:TGID_X_EN: 1
; COMPUTE_PGM_RSRC2:TGID_Y_EN: 0
; COMPUTE_PGM_RSRC2:TGID_Z_EN: 0
; COMPUTE_PGM_RSRC2:TIDIG_COMP_CNT: 0
	.section	.text._ZN9rocsparseL41csrgemm_numeric_fill_block_per_row_kernelILj128ELj16ELj256ELj137ELj64ElidEEvT5_PKS1_S3_NS_24const_host_device_scalarIT6_EEPKT4_S3_PKS5_S9_S3_SB_S6_S9_S3_SB_S9_S3_PS5_21rocsparse_index_base_SD_SD_SD_bbb,"axG",@progbits,_ZN9rocsparseL41csrgemm_numeric_fill_block_per_row_kernelILj128ELj16ELj256ELj137ELj64ElidEEvT5_PKS1_S3_NS_24const_host_device_scalarIT6_EEPKT4_S3_PKS5_S9_S3_SB_S6_S9_S3_SB_S9_S3_PS5_21rocsparse_index_base_SD_SD_SD_bbb,comdat
	.globl	_ZN9rocsparseL41csrgemm_numeric_fill_block_per_row_kernelILj128ELj16ELj256ELj137ELj64ElidEEvT5_PKS1_S3_NS_24const_host_device_scalarIT6_EEPKT4_S3_PKS5_S9_S3_SB_S6_S9_S3_SB_S9_S3_PS5_21rocsparse_index_base_SD_SD_SD_bbb ; -- Begin function _ZN9rocsparseL41csrgemm_numeric_fill_block_per_row_kernelILj128ELj16ELj256ELj137ELj64ElidEEvT5_PKS1_S3_NS_24const_host_device_scalarIT6_EEPKT4_S3_PKS5_S9_S3_SB_S6_S9_S3_SB_S9_S3_PS5_21rocsparse_index_base_SD_SD_SD_bbb
	.p2align	8
	.type	_ZN9rocsparseL41csrgemm_numeric_fill_block_per_row_kernelILj128ELj16ELj256ELj137ELj64ElidEEvT5_PKS1_S3_NS_24const_host_device_scalarIT6_EEPKT4_S3_PKS5_S9_S3_SB_S6_S9_S3_SB_S9_S3_PS5_21rocsparse_index_base_SD_SD_SD_bbb,@function
_ZN9rocsparseL41csrgemm_numeric_fill_block_per_row_kernelILj128ELj16ELj256ELj137ELj64ElidEEvT5_PKS1_S3_NS_24const_host_device_scalarIT6_EEPKT4_S3_PKS5_S9_S3_SB_S6_S9_S3_SB_S9_S3_PS5_21rocsparse_index_base_SD_SD_SD_bbb: ; @_ZN9rocsparseL41csrgemm_numeric_fill_block_per_row_kernelILj128ELj16ELj256ELj137ELj64ElidEEvT5_PKS1_S3_NS_24const_host_device_scalarIT6_EEPKT4_S3_PKS5_S9_S3_SB_S6_S9_S3_SB_S9_S3_PS5_21rocsparse_index_base_SD_SD_SD_bbb
; %bb.0:
	s_clause 0x2
	s_load_b32 s6, s[0:1], 0x98
	s_load_b64 s[4:5], s[0:1], 0x18
	s_load_b64 s[2:3], s[0:1], 0x50
	s_waitcnt lgkmcnt(0)
	s_and_b32 s8, 1, s6
	s_bitcmp1_b32 s6, 16
	s_cselect_b32 s7, -1, 0
	s_cmp_eq_u32 s8, 1
	s_cselect_b32 s14, -1, 0
	s_delay_alu instid0(SALU_CYCLE_1)
	s_and_b32 s8, s14, exec_lo
	s_cselect_b32 s9, s5, 0
	s_cselect_b32 s8, s4, 0
	s_xor_b32 s10, s14, -1
	v_dual_mov_b32 v3, s8 :: v_dual_mov_b32 v4, s9
	s_or_b32 s10, s10, s7
	s_delay_alu instid0(SALU_CYCLE_1)
	s_and_b32 vcc_lo, exec_lo, s10
	s_cbranch_vccnz .LBB183_2
; %bb.1:
	v_dual_mov_b32 v1, s4 :: v_dual_mov_b32 v2, s5
	flat_load_b64 v[3:4], v[1:2]
.LBB183_2:
	s_load_b128 s[24:27], s[0:1], 0x88
	s_bitcmp1_b32 s6, 8
	s_cselect_b32 s34, -1, 0
	s_delay_alu instid0(SALU_CYCLE_1)
	s_and_b32 s4, s34, exec_lo
	s_cselect_b32 s5, s3, 0
	s_cselect_b32 s4, s2, 0
	s_xor_b32 s6, s34, -1
	v_dual_mov_b32 v1, s4 :: v_dual_mov_b32 v2, s5
	s_or_b32 s6, s6, s7
	s_delay_alu instid0(SALU_CYCLE_1)
	s_and_b32 vcc_lo, exec_lo, s6
	s_cbranch_vccnz .LBB183_4
; %bb.3:
	v_dual_mov_b32 v1, s2 :: v_dual_mov_b32 v2, s3
	flat_load_b64 v[1:2], v[1:2]
.LBB183_4:
	s_clause 0x5
	s_load_b64 s[12:13], s[0:1], 0x80
	s_load_b256 s[4:11], s[0:1], 0x58
	s_load_b128 s[28:31], s[0:1], 0x40
	s_load_b256 s[16:23], s[0:1], 0x20
	s_load_b128 s[36:39], s[0:1], 0x8
	s_load_b32 s33, s[0:1], 0x0
	v_cmp_gt_u32_e64 s0, 0x100, v0
	v_lshlrev_b32_e32 v19, 3, v0
	v_or_b32_e32 v17, 0xffffff80, v0
	v_lshl_add_u32 v18, v0, 2, 0
	s_delay_alu instid0(VALU_DEP_4)
	s_and_saveexec_b32 s1, s0
	s_cbranch_execz .LBB183_7
; %bb.5:
	s_waitcnt lgkmcnt(0)
	v_dual_mov_b32 v5, 0 :: v_dual_mov_b32 v10, s33
	v_add3_u32 v7, v19, 0, 0x400
	v_or_b32_e32 v8, 0xffffff80, v0
	v_lshl_add_u32 v9, v0, 2, 0
	s_delay_alu instid0(VALU_DEP_4)
	v_mov_b32_e32 v6, v5
	s_mov_b32 s2, 0
.LBB183_6:                              ; =>This Inner Loop Header: Depth=1
	s_delay_alu instid0(VALU_DEP_3) | instskip(NEXT) | instid1(VALU_DEP_1)
	v_add_co_u32 v8, s3, 0x80, v8
	s_xor_b32 s3, s3, -1
	ds_store_b32 v9, v10
	ds_store_b64 v7, v[5:6]
	v_add_nc_u32_e32 v7, 0x400, v7
	v_add_nc_u32_e32 v9, 0x200, v9
	s_and_b32 s3, exec_lo, s3
	s_delay_alu instid0(SALU_CYCLE_1) | instskip(NEXT) | instid1(SALU_CYCLE_1)
	s_or_b32 s2, s3, s2
	s_and_not1_b32 exec_lo, exec_lo, s2
	s_cbranch_execnz .LBB183_6
.LBB183_7:
	s_or_b32 exec_lo, exec_lo, s1
	s_waitcnt vmcnt(0) lgkmcnt(0)
	s_barrier
	buffer_gl0_inv
	s_load_b32 s1, s[36:37], 0x0
	s_mov_b32 s3, 0
	v_lshrrev_b32_e32 v20, 4, v0
	s_waitcnt lgkmcnt(0)
	s_add_i32 s2, s1, s15
	s_delay_alu instid0(SALU_CYCLE_1) | instskip(NEXT) | instid1(SALU_CYCLE_1)
	s_lshl_b64 s[2:3], s[2:3], 2
	s_add_u32 s2, s38, s2
	s_addc_u32 s3, s39, s3
	s_and_b32 vcc_lo, exec_lo, s14
	s_load_b32 s2, s[2:3], 0x0
	s_cbranch_vccz .LBB183_31
; %bb.8:
	s_waitcnt lgkmcnt(0)
	s_ashr_i32 s3, s2, 31
	v_sub_co_u32 v5, s1, v20, s24
	s_lshl_b64 s[14:15], s[2:3], 3
	v_sub_co_ci_u32_e64 v6, null, 0, 0, s1
	s_add_u32 s14, s16, s14
	s_addc_u32 s15, s17, s15
	s_mov_b32 s1, exec_lo
	s_load_b128 s[36:39], s[14:15], 0x0
	s_waitcnt lgkmcnt(0)
	v_add_co_u32 v5, vcc_lo, s36, v5
	v_add_co_ci_u32_e32 v6, vcc_lo, s37, v6, vcc_lo
	s_sub_u32 s14, s38, s24
	s_subb_u32 s15, s39, 0
	s_delay_alu instid0(VALU_DEP_1) | instid1(SALU_CYCLE_1)
	v_cmpx_gt_i64_e64 s[14:15], v[5:6]
	s_cbranch_execz .LBB183_30
; %bb.9:
	v_and_b32_e32 v7, 15, v0
	s_mov_b32 s16, s25
	s_delay_alu instid0(VALU_DEP_1) | instskip(NEXT) | instid1(VALU_DEP_1)
	v_sub_co_u32 v21, s3, v7, s25
	v_sub_co_ci_u32_e64 v22, null, 0, 0, s3
	s_mov_b32 s3, 0
	s_branch .LBB183_11
.LBB183_10:                             ;   in Loop: Header=BB183_11 Depth=1
	s_or_b32 exec_lo, exec_lo, s17
	v_add_co_u32 v5, vcc_lo, v5, 8
	v_add_co_ci_u32_e32 v6, vcc_lo, 0, v6, vcc_lo
	s_delay_alu instid0(VALU_DEP_1) | instskip(SKIP_1) | instid1(SALU_CYCLE_1)
	v_cmp_le_i64_e32 vcc_lo, s[14:15], v[5:6]
	s_or_b32 s3, vcc_lo, s3
	s_and_not1_b32 exec_lo, exec_lo, s3
	s_cbranch_execz .LBB183_30
.LBB183_11:                             ; =>This Loop Header: Depth=1
                                        ;     Child Loop BB183_14 Depth 2
                                        ;       Child Loop BB183_16 Depth 3
                                        ;         Child Loop BB183_22 Depth 4
                                        ;         Child Loop BB183_28 Depth 4
	v_lshlrev_b64 v[7:8], 2, v[5:6]
	s_mov_b32 s17, exec_lo
	s_delay_alu instid0(VALU_DEP_1) | instskip(NEXT) | instid1(VALU_DEP_2)
	v_add_co_u32 v7, vcc_lo, s18, v7
	v_add_co_ci_u32_e32 v8, vcc_lo, s19, v8, vcc_lo
	global_load_b32 v7, v[7:8], off
	s_waitcnt vmcnt(0)
	v_subrev_nc_u32_e32 v7, s24, v7
	s_delay_alu instid0(VALU_DEP_1) | instskip(NEXT) | instid1(VALU_DEP_1)
	v_ashrrev_i32_e32 v8, 31, v7
	v_lshlrev_b64 v[7:8], 3, v[7:8]
	s_delay_alu instid0(VALU_DEP_1) | instskip(NEXT) | instid1(VALU_DEP_2)
	v_add_co_u32 v7, vcc_lo, s22, v7
	v_add_co_ci_u32_e32 v8, vcc_lo, s23, v8, vcc_lo
	global_load_b128 v[9:12], v[7:8], off
	s_waitcnt vmcnt(0)
	v_sub_co_u32 v7, vcc_lo, v11, s16
	v_subrev_co_ci_u32_e32 v8, vcc_lo, 0, v12, vcc_lo
	v_add_co_u32 v9, vcc_lo, v9, v21
	v_add_co_ci_u32_e32 v10, vcc_lo, v10, v22, vcc_lo
	s_delay_alu instid0(VALU_DEP_1)
	v_cmpx_lt_i64_e64 v[9:10], v[7:8]
	s_cbranch_execz .LBB183_10
; %bb.12:                               ;   in Loop: Header=BB183_11 Depth=1
	v_lshlrev_b64 v[11:12], 3, v[5:6]
	s_mov_b32 s35, 0
	s_delay_alu instid0(VALU_DEP_1) | instskip(NEXT) | instid1(VALU_DEP_2)
	v_add_co_u32 v11, vcc_lo, s20, v11
	v_add_co_ci_u32_e32 v12, vcc_lo, s21, v12, vcc_lo
	global_load_b64 v[11:12], v[11:12], off
	s_waitcnt vmcnt(0)
	v_mul_f64 v[11:12], v[3:4], v[11:12]
	s_branch .LBB183_14
.LBB183_13:                             ;   in Loop: Header=BB183_14 Depth=2
	s_or_b32 exec_lo, exec_lo, s36
	v_add_co_u32 v9, vcc_lo, v9, 16
	v_add_co_ci_u32_e32 v10, vcc_lo, 0, v10, vcc_lo
	s_delay_alu instid0(VALU_DEP_1) | instskip(SKIP_1) | instid1(SALU_CYCLE_1)
	v_cmp_ge_i64_e32 vcc_lo, v[9:10], v[7:8]
	s_or_b32 s35, vcc_lo, s35
	s_and_not1_b32 exec_lo, exec_lo, s35
	s_cbranch_execz .LBB183_10
.LBB183_14:                             ;   Parent Loop BB183_11 Depth=1
                                        ; =>  This Loop Header: Depth=2
                                        ;       Child Loop BB183_16 Depth 3
                                        ;         Child Loop BB183_22 Depth 4
                                        ;         Child Loop BB183_28 Depth 4
	v_lshlrev_b64 v[13:14], 3, v[9:10]
	v_lshlrev_b64 v[15:16], 2, v[9:10]
	s_mov_b32 s36, 0
	s_delay_alu instid0(VALU_DEP_2) | instskip(NEXT) | instid1(VALU_DEP_3)
	v_add_co_u32 v13, vcc_lo, s30, v13
	v_add_co_ci_u32_e32 v14, vcc_lo, s31, v14, vcc_lo
	s_delay_alu instid0(VALU_DEP_3) | instskip(NEXT) | instid1(VALU_DEP_4)
	v_add_co_u32 v15, vcc_lo, s28, v15
	v_add_co_ci_u32_e32 v16, vcc_lo, s29, v16, vcc_lo
	global_load_b64 v[13:14], v[13:14], off
	global_load_b32 v15, v[15:16], off
	s_waitcnt vmcnt(1)
	v_mul_f64 v[13:14], v[11:12], v[13:14]
	s_waitcnt vmcnt(0)
	v_subrev_nc_u32_e32 v23, s25, v15
	s_delay_alu instid0(VALU_DEP_1) | instskip(NEXT) | instid1(VALU_DEP_1)
	v_mul_lo_u32 v15, 0x89, v23
	v_and_b32_e32 v24, 0xff, v15
	s_branch .LBB183_16
.LBB183_15:                             ;   in Loop: Header=BB183_16 Depth=3
	s_or_b32 exec_lo, exec_lo, s37
	s_xor_b32 s37, s38, -1
	s_delay_alu instid0(SALU_CYCLE_1) | instskip(NEXT) | instid1(SALU_CYCLE_1)
	s_and_b32 s37, exec_lo, s37
	s_or_b32 s36, s37, s36
	s_delay_alu instid0(SALU_CYCLE_1)
	s_and_not1_b32 exec_lo, exec_lo, s36
	s_cbranch_execz .LBB183_13
.LBB183_16:                             ;   Parent Loop BB183_11 Depth=1
                                        ;     Parent Loop BB183_14 Depth=2
                                        ; =>    This Loop Header: Depth=3
                                        ;         Child Loop BB183_22 Depth 4
                                        ;         Child Loop BB183_28 Depth 4
	s_delay_alu instid0(VALU_DEP_1)
	v_lshl_add_u32 v15, v24, 2, 0
	s_mov_b32 s37, exec_lo
                                        ; implicit-def: $sgpr38
	ds_load_b32 v16, v15
	s_waitcnt lgkmcnt(0)
	v_cmpx_ne_u32_e64 v16, v23
	s_xor_b32 s37, exec_lo, s37
	s_cbranch_execz .LBB183_26
; %bb.17:                               ;   in Loop: Header=BB183_16 Depth=3
	s_mov_b32 s39, exec_lo
                                        ; implicit-def: $sgpr38
	v_cmpx_ne_u32_e64 s33, v16
	s_xor_b32 s39, exec_lo, s39
; %bb.18:                               ;   in Loop: Header=BB183_16 Depth=3
	v_add_nc_u32_e32 v15, 1, v24
	s_mov_b32 s38, -1
	s_delay_alu instid0(VALU_DEP_1)
	v_and_b32_e32 v24, 0xff, v15
                                        ; implicit-def: $vgpr15
; %bb.19:                               ;   in Loop: Header=BB183_16 Depth=3
	s_and_not1_saveexec_b32 s39, s39
	s_cbranch_execz .LBB183_25
; %bb.20:                               ;   in Loop: Header=BB183_16 Depth=3
	v_mov_b32_e32 v16, s33
	s_mov_b32 s41, -1
	s_mov_b32 s40, exec_lo
	ds_cmpstore_rtn_b32 v16, v15, v23, v16
	s_waitcnt lgkmcnt(0)
	v_cmpx_eq_u32_e64 s33, v16
	s_cbranch_execz .LBB183_24
; %bb.21:                               ;   in Loop: Header=BB183_16 Depth=3
	v_lshlrev_b32_e32 v16, 2, v24
	s_mov_b32 s41, 0
	s_delay_alu instid0(VALU_DEP_1)
	v_add_nc_u32_e32 v25, v15, v16
	ds_load_b64 v[15:16], v25 offset:1024
.LBB183_22:                             ;   Parent Loop BB183_11 Depth=1
                                        ;     Parent Loop BB183_14 Depth=2
                                        ;       Parent Loop BB183_16 Depth=3
                                        ; =>      This Inner Loop Header: Depth=4
	s_waitcnt lgkmcnt(0)
	v_add_f64 v[26:27], v[15:16], v[13:14]
	ds_cmpstore_rtn_b64 v[26:27], v25, v[26:27], v[15:16] offset:1024
	s_waitcnt lgkmcnt(0)
	v_cmp_eq_u64_e32 vcc_lo, v[26:27], v[15:16]
	v_dual_mov_b32 v15, v26 :: v_dual_mov_b32 v16, v27
	s_or_b32 s41, vcc_lo, s41
	s_delay_alu instid0(SALU_CYCLE_1)
	s_and_not1_b32 exec_lo, exec_lo, s41
	s_cbranch_execnz .LBB183_22
; %bb.23:                               ;   in Loop: Header=BB183_16 Depth=3
	s_or_b32 exec_lo, exec_lo, s41
	s_delay_alu instid0(SALU_CYCLE_1)
	s_xor_b32 s41, exec_lo, -1
.LBB183_24:                             ;   in Loop: Header=BB183_16 Depth=3
	s_or_b32 exec_lo, exec_lo, s40
	s_delay_alu instid0(SALU_CYCLE_1) | instskip(SKIP_1) | instid1(SALU_CYCLE_1)
	s_and_not1_b32 s38, s38, exec_lo
	s_and_b32 s40, s41, exec_lo
	s_or_b32 s38, s38, s40
.LBB183_25:                             ;   in Loop: Header=BB183_16 Depth=3
	s_or_b32 exec_lo, exec_lo, s39
	s_delay_alu instid0(SALU_CYCLE_1)
	s_and_b32 s38, s38, exec_lo
                                        ; implicit-def: $vgpr15
.LBB183_26:                             ;   in Loop: Header=BB183_16 Depth=3
	s_and_not1_saveexec_b32 s37, s37
	s_cbranch_execz .LBB183_15
; %bb.27:                               ;   in Loop: Header=BB183_16 Depth=3
	v_lshlrev_b32_e32 v16, 2, v24
	s_mov_b32 s39, 0
	s_delay_alu instid0(VALU_DEP_1)
	v_add_nc_u32_e32 v25, v15, v16
	ds_load_b64 v[15:16], v25 offset:1024
.LBB183_28:                             ;   Parent Loop BB183_11 Depth=1
                                        ;     Parent Loop BB183_14 Depth=2
                                        ;       Parent Loop BB183_16 Depth=3
                                        ; =>      This Inner Loop Header: Depth=4
	s_waitcnt lgkmcnt(0)
	v_add_f64 v[26:27], v[15:16], v[13:14]
	ds_cmpstore_rtn_b64 v[26:27], v25, v[26:27], v[15:16] offset:1024
	s_waitcnt lgkmcnt(0)
	v_cmp_eq_u64_e32 vcc_lo, v[26:27], v[15:16]
	v_dual_mov_b32 v15, v26 :: v_dual_mov_b32 v16, v27
	s_or_b32 s39, vcc_lo, s39
	s_delay_alu instid0(SALU_CYCLE_1)
	s_and_not1_b32 exec_lo, exec_lo, s39
	s_cbranch_execnz .LBB183_28
; %bb.29:                               ;   in Loop: Header=BB183_16 Depth=3
	s_or_b32 exec_lo, exec_lo, s39
	s_delay_alu instid0(SALU_CYCLE_1)
	s_and_not1_b32 s38, s38, exec_lo
	s_branch .LBB183_15
.LBB183_30:
	s_or_b32 exec_lo, exec_lo, s1
.LBB183_31:
	s_delay_alu instid0(SALU_CYCLE_1)
	s_and_not1_b32 vcc_lo, exec_lo, s34
	s_cbranch_vccnz .LBB183_34
; %bb.32:
	s_waitcnt lgkmcnt(0)
	s_ashr_i32 s3, s2, 31
	v_sub_co_u32 v3, s1, v0, s27
	s_lshl_b64 s[14:15], s[2:3], 3
	v_sub_co_ci_u32_e64 v4, null, 0, 0, s1
	s_add_u32 s4, s4, s14
	s_addc_u32 s5, s5, s15
	s_mov_b32 s3, 0
	s_load_b128 s[16:19], s[4:5], 0x0
	s_mov_b32 s1, exec_lo
	s_waitcnt lgkmcnt(0)
	v_add_co_u32 v3, vcc_lo, s16, v3
	v_add_co_ci_u32_e32 v4, vcc_lo, s17, v4, vcc_lo
	s_sub_u32 s4, s18, s27
	s_subb_u32 s5, s19, 0
	s_delay_alu instid0(VALU_DEP_1) | instid1(SALU_CYCLE_1)
	v_cmpx_gt_i64_e64 s[4:5], v[3:4]
	s_cbranch_execnz .LBB183_44
.LBB183_33:
	s_or_b32 exec_lo, exec_lo, s1
.LBB183_34:
	s_waitcnt lgkmcnt(0)
	s_barrier
	buffer_gl0_inv
	s_and_saveexec_b32 s3, s0
	s_cbranch_execz .LBB183_60
; %bb.35:
	v_mbcnt_lo_u32_b32 v1, -1, 0
	v_dual_mov_b32 v7, 0 :: v_dual_and_b32 v2, 4, v20
	v_cmp_lt_u32_e32 vcc_lo, 63, v0
	v_cmp_eq_u32_e64 s0, 0x7f, v0
	s_delay_alu instid0(VALU_DEP_4) | instskip(NEXT) | instid1(VALU_DEP_4)
	v_xor_b32_e32 v1, 63, v1
	v_dual_mov_b32 v6, 0 :: v_dual_add_nc_u32 v5, 0, v2
	v_add3_u32 v4, v19, 0, 0x400
	s_mov_b32 s4, 0
	s_delay_alu instid0(VALU_DEP_3)
	v_lshrrev_b64 v[1:2], v1, -1
	s_branch .LBB183_37
.LBB183_36:                             ;   in Loop: Header=BB183_37 Depth=1
	s_or_b32 exec_lo, exec_lo, s1
	s_waitcnt lgkmcnt(0)
	s_barrier
	buffer_gl0_inv
	ds_load_b32 v2, v6 offset:3076
	v_add_co_u32 v17, s1, 0x80, v17
	s_delay_alu instid0(VALU_DEP_1) | instskip(SKIP_3) | instid1(SALU_CYCLE_1)
	s_xor_b32 s1, s1, -1
	v_add_nc_u32_e32 v4, 0x400, v4
	v_add_nc_u32_e32 v18, 0x200, v18
	s_and_b32 s1, exec_lo, s1
	s_or_b32 s4, s1, s4
	s_waitcnt lgkmcnt(0)
	v_add_nc_u32_e32 v7, v2, v7
	s_and_not1_b32 exec_lo, exec_lo, s4
	s_cbranch_execz .LBB183_60
.LBB183_37:                             ; =>This Inner Loop Header: Depth=1
	ds_load_b32 v8, v18
	ds_load_b64 v[2:3], v4
	s_waitcnt lgkmcnt(0)
	s_barrier
	buffer_gl0_inv
	v_cmp_gt_i32_e64 s1, s33, v8
	s_delay_alu instid0(VALU_DEP_1) | instskip(NEXT) | instid1(SALU_CYCLE_1)
	s_bcnt1_i32_b32 s5, s1
	v_dual_mov_b32 v10, s5 :: v_dual_and_b32 v9, s1, v1
	s_delay_alu instid0(VALU_DEP_1)
	v_bcnt_u32_b32 v9, v9, 0
	ds_store_b32 v5, v10 offset:3072
	s_waitcnt lgkmcnt(0)
	s_barrier
	buffer_gl0_inv
	s_and_saveexec_b32 s5, vcc_lo
	s_cbranch_execnz .LBB183_40
; %bb.38:                               ;   in Loop: Header=BB183_37 Depth=1
	s_or_b32 exec_lo, exec_lo, s5
	s_and_saveexec_b32 s5, s1
	s_cbranch_execnz .LBB183_41
.LBB183_39:                             ;   in Loop: Header=BB183_37 Depth=1
	s_or_b32 exec_lo, exec_lo, s5
	s_and_saveexec_b32 s1, s0
	s_cbranch_execz .LBB183_36
	s_branch .LBB183_42
.LBB183_40:                             ;   in Loop: Header=BB183_37 Depth=1
	ds_load_b32 v10, v6 offset:3072
	s_waitcnt lgkmcnt(0)
	v_add_nc_u32_e32 v9, v10, v9
	s_or_b32 exec_lo, exec_lo, s5
	s_and_saveexec_b32 s5, s1
	s_cbranch_execz .LBB183_39
.LBB183_41:                             ;   in Loop: Header=BB183_37 Depth=1
	s_delay_alu instid0(VALU_DEP_1) | instskip(NEXT) | instid1(VALU_DEP_1)
	v_add3_u32 v10, v7, -1, v9
	v_lshl_add_u32 v11, v10, 2, 0
	v_lshl_add_u32 v10, v10, 3, 0
	ds_store_b32 v11, v8
	ds_store_b64 v10, v[2:3] offset:1024
	s_or_b32 exec_lo, exec_lo, s5
	s_and_saveexec_b32 s1, s0
	s_cbranch_execz .LBB183_36
.LBB183_42:                             ;   in Loop: Header=BB183_37 Depth=1
	ds_store_b32 v6, v9 offset:3076
	s_branch .LBB183_36
.LBB183_43:                             ;   in Loop: Header=BB183_44 Depth=1
	s_or_b32 exec_lo, exec_lo, s14
	v_add_co_u32 v3, vcc_lo, 0x80, v3
	v_add_co_ci_u32_e32 v4, vcc_lo, 0, v4, vcc_lo
	s_delay_alu instid0(VALU_DEP_1) | instskip(SKIP_1) | instid1(SALU_CYCLE_1)
	v_cmp_le_i64_e32 vcc_lo, s[4:5], v[3:4]
	s_or_b32 s3, vcc_lo, s3
	s_and_not1_b32 exec_lo, exec_lo, s3
	s_cbranch_execz .LBB183_33
.LBB183_44:                             ; =>This Loop Header: Depth=1
                                        ;     Child Loop BB183_46 Depth 2
                                        ;       Child Loop BB183_52 Depth 3
                                        ;       Child Loop BB183_58 Depth 3
	v_lshlrev_b64 v[5:6], 3, v[3:4]
	v_lshlrev_b64 v[7:8], 2, v[3:4]
	s_mov_b32 s14, 0
	s_delay_alu instid0(VALU_DEP_2) | instskip(NEXT) | instid1(VALU_DEP_3)
	v_add_co_u32 v5, vcc_lo, s8, v5
	v_add_co_ci_u32_e32 v6, vcc_lo, s9, v6, vcc_lo
	s_delay_alu instid0(VALU_DEP_3) | instskip(NEXT) | instid1(VALU_DEP_4)
	v_add_co_u32 v7, vcc_lo, s6, v7
	v_add_co_ci_u32_e32 v8, vcc_lo, s7, v8, vcc_lo
	global_load_b64 v[5:6], v[5:6], off
	global_load_b32 v7, v[7:8], off
	s_waitcnt vmcnt(1)
	v_mul_f64 v[5:6], v[1:2], v[5:6]
	s_waitcnt vmcnt(0)
	v_subrev_nc_u32_e32 v9, s27, v7
	s_delay_alu instid0(VALU_DEP_1) | instskip(NEXT) | instid1(VALU_DEP_1)
	v_mul_lo_u32 v7, 0x89, v9
	v_and_b32_e32 v10, 0xff, v7
	s_branch .LBB183_46
.LBB183_45:                             ;   in Loop: Header=BB183_46 Depth=2
	s_or_b32 exec_lo, exec_lo, s15
	s_xor_b32 s15, s16, -1
	s_delay_alu instid0(SALU_CYCLE_1) | instskip(NEXT) | instid1(SALU_CYCLE_1)
	s_and_b32 s15, exec_lo, s15
	s_or_b32 s14, s15, s14
	s_delay_alu instid0(SALU_CYCLE_1)
	s_and_not1_b32 exec_lo, exec_lo, s14
	s_cbranch_execz .LBB183_43
.LBB183_46:                             ;   Parent Loop BB183_44 Depth=1
                                        ; =>  This Loop Header: Depth=2
                                        ;       Child Loop BB183_52 Depth 3
                                        ;       Child Loop BB183_58 Depth 3
	s_delay_alu instid0(VALU_DEP_1)
	v_lshl_add_u32 v7, v10, 2, 0
	s_mov_b32 s15, exec_lo
                                        ; implicit-def: $sgpr16
	ds_load_b32 v8, v7
	s_waitcnt lgkmcnt(0)
	v_cmpx_ne_u32_e64 v8, v9
	s_xor_b32 s15, exec_lo, s15
	s_cbranch_execz .LBB183_56
; %bb.47:                               ;   in Loop: Header=BB183_46 Depth=2
	s_mov_b32 s17, exec_lo
                                        ; implicit-def: $sgpr16
	v_cmpx_ne_u32_e64 s33, v8
	s_xor_b32 s17, exec_lo, s17
; %bb.48:                               ;   in Loop: Header=BB183_46 Depth=2
	v_add_nc_u32_e32 v7, 1, v10
	s_mov_b32 s16, -1
	s_delay_alu instid0(VALU_DEP_1)
	v_and_b32_e32 v10, 0xff, v7
                                        ; implicit-def: $vgpr7
; %bb.49:                               ;   in Loop: Header=BB183_46 Depth=2
	s_and_not1_saveexec_b32 s17, s17
	s_cbranch_execz .LBB183_55
; %bb.50:                               ;   in Loop: Header=BB183_46 Depth=2
	v_mov_b32_e32 v8, s33
	s_mov_b32 s19, -1
	s_mov_b32 s18, exec_lo
	ds_cmpstore_rtn_b32 v8, v7, v9, v8
	s_waitcnt lgkmcnt(0)
	v_cmpx_eq_u32_e64 s33, v8
	s_cbranch_execz .LBB183_54
; %bb.51:                               ;   in Loop: Header=BB183_46 Depth=2
	v_lshlrev_b32_e32 v8, 2, v10
	s_mov_b32 s19, 0
	s_delay_alu instid0(VALU_DEP_1)
	v_add_nc_u32_e32 v11, v7, v8
	ds_load_b64 v[7:8], v11 offset:1024
.LBB183_52:                             ;   Parent Loop BB183_44 Depth=1
                                        ;     Parent Loop BB183_46 Depth=2
                                        ; =>    This Inner Loop Header: Depth=3
	s_waitcnt lgkmcnt(0)
	v_add_f64 v[12:13], v[7:8], v[5:6]
	ds_cmpstore_rtn_b64 v[12:13], v11, v[12:13], v[7:8] offset:1024
	s_waitcnt lgkmcnt(0)
	v_cmp_eq_u64_e32 vcc_lo, v[12:13], v[7:8]
	v_dual_mov_b32 v7, v12 :: v_dual_mov_b32 v8, v13
	s_or_b32 s19, vcc_lo, s19
	s_delay_alu instid0(SALU_CYCLE_1)
	s_and_not1_b32 exec_lo, exec_lo, s19
	s_cbranch_execnz .LBB183_52
; %bb.53:                               ;   in Loop: Header=BB183_46 Depth=2
	s_or_b32 exec_lo, exec_lo, s19
	s_delay_alu instid0(SALU_CYCLE_1)
	s_xor_b32 s19, exec_lo, -1
.LBB183_54:                             ;   in Loop: Header=BB183_46 Depth=2
	s_or_b32 exec_lo, exec_lo, s18
	s_delay_alu instid0(SALU_CYCLE_1) | instskip(SKIP_1) | instid1(SALU_CYCLE_1)
	s_and_not1_b32 s16, s16, exec_lo
	s_and_b32 s18, s19, exec_lo
	s_or_b32 s16, s16, s18
.LBB183_55:                             ;   in Loop: Header=BB183_46 Depth=2
	s_or_b32 exec_lo, exec_lo, s17
	s_delay_alu instid0(SALU_CYCLE_1)
	s_and_b32 s16, s16, exec_lo
                                        ; implicit-def: $vgpr7
.LBB183_56:                             ;   in Loop: Header=BB183_46 Depth=2
	s_and_not1_saveexec_b32 s15, s15
	s_cbranch_execz .LBB183_45
; %bb.57:                               ;   in Loop: Header=BB183_46 Depth=2
	v_lshlrev_b32_e32 v8, 2, v10
	s_mov_b32 s17, 0
	s_delay_alu instid0(VALU_DEP_1)
	v_add_nc_u32_e32 v11, v7, v8
	ds_load_b64 v[7:8], v11 offset:1024
.LBB183_58:                             ;   Parent Loop BB183_44 Depth=1
                                        ;     Parent Loop BB183_46 Depth=2
                                        ; =>    This Inner Loop Header: Depth=3
	s_waitcnt lgkmcnt(0)
	v_add_f64 v[12:13], v[7:8], v[5:6]
	ds_cmpstore_rtn_b64 v[12:13], v11, v[12:13], v[7:8] offset:1024
	s_waitcnt lgkmcnt(0)
	v_cmp_eq_u64_e32 vcc_lo, v[12:13], v[7:8]
	v_dual_mov_b32 v7, v12 :: v_dual_mov_b32 v8, v13
	s_or_b32 s17, vcc_lo, s17
	s_delay_alu instid0(SALU_CYCLE_1)
	s_and_not1_b32 exec_lo, exec_lo, s17
	s_cbranch_execnz .LBB183_58
; %bb.59:                               ;   in Loop: Header=BB183_46 Depth=2
	s_or_b32 exec_lo, exec_lo, s17
	s_delay_alu instid0(SALU_CYCLE_1)
	s_and_not1_b32 s16, s16, exec_lo
	s_branch .LBB183_45
.LBB183_60:
	s_or_b32 exec_lo, exec_lo, s3
	s_ashr_i32 s3, s2, 31
	s_mov_b32 s4, exec_lo
	s_lshl_b64 s[0:1], s[2:3], 3
	s_delay_alu instid0(SALU_CYCLE_1) | instskip(SKIP_4) | instid1(SALU_CYCLE_1)
	s_add_u32 s0, s10, s0
	s_addc_u32 s1, s11, s1
	s_load_b128 s[0:3], s[0:1], 0x0
	s_waitcnt lgkmcnt(0)
	s_sub_i32 s3, s2, s0
	v_cmpx_gt_i32_e64 s3, v0
	s_cbranch_execz .LBB183_70
; %bb.61:
	s_sub_u32 s4, s0, s26
	s_subb_u32 s5, s1, 0
	s_sub_i32 s0, s0, s2
	s_and_b32 s1, s3, 7
	s_cmp_lt_u32 s0, -7
	s_mov_b32 s8, 0
	s_cselect_b32 s2, -1, 0
	s_and_b32 s6, s3, -8
	s_cmp_lg_u32 s1, 0
	s_cselect_b32 s7, -1, 0
	s_branch .LBB183_63
.LBB183_62:                             ;   in Loop: Header=BB183_63 Depth=1
	s_delay_alu instid0(VALU_DEP_1) | instskip(SKIP_1) | instid1(VALU_DEP_1)
	v_lshlrev_b64 v[3:4], 3, v[3:4]
	v_add_nc_u32_e32 v0, 0x80, v0
	v_cmp_le_i32_e32 vcc_lo, s3, v0
	s_delay_alu instid0(VALU_DEP_3) | instskip(NEXT) | instid1(VALU_DEP_1)
	v_add_co_u32 v3, s0, s12, v3
	v_add_co_ci_u32_e64 v4, s0, s13, v4, s0
	s_or_b32 s8, vcc_lo, s8
	s_waitcnt lgkmcnt(0)
	global_store_b64 v[3:4], v[1:2], off
	s_and_not1_b32 exec_lo, exec_lo, s8
	s_cbranch_execz .LBB183_70
.LBB183_63:                             ; =>This Loop Header: Depth=1
                                        ;     Child Loop BB183_65 Depth 2
                                        ;     Child Loop BB183_69 Depth 2
	v_lshlrev_b32_e32 v1, 2, v0
	v_dual_mov_b32 v3, s4 :: v_dual_mov_b32 v4, s5
	s_and_not1_b32 vcc_lo, exec_lo, s2
	s_mov_b32 s0, 0
	s_delay_alu instid0(VALU_DEP_2) | instskip(NEXT) | instid1(VALU_DEP_1)
	v_add_nc_u32_e32 v2, 0, v1
	v_add_nc_u32_e32 v1, v2, v1
	ds_load_b32 v5, v2
	ds_load_b64 v[1:2], v1 offset:1024
	s_cbranch_vccnz .LBB183_67
; %bb.64:                               ;   in Loop: Header=BB183_63 Depth=1
	v_dual_mov_b32 v3, s4 :: v_dual_mov_b32 v4, s5
	s_mov_b32 s9, 0
	s_mov_b32 s10, 0
.LBB183_65:                             ;   Parent Loop BB183_63 Depth=1
                                        ; =>  This Inner Loop Header: Depth=2
	s_delay_alu instid0(SALU_CYCLE_1)
	v_mov_b32_e32 v12, s10
	s_add_i32 s9, s9, 8
	s_add_i32 s10, s10, 32
	s_cmp_eq_u32 s6, s9
	ds_load_2addr_b32 v[6:7], v12 offset1:1
	ds_load_2addr_b32 v[8:9], v12 offset0:2 offset1:3
	ds_load_2addr_b32 v[10:11], v12 offset0:4 offset1:5
	ds_load_2addr_b32 v[12:13], v12 offset0:6 offset1:7
	s_waitcnt lgkmcnt(3)
	v_cmp_gt_i32_e32 vcc_lo, v5, v6
	v_cndmask_b32_e64 v6, 0, 1, vcc_lo
	v_cmp_gt_i32_e32 vcc_lo, v5, v7
	v_cndmask_b32_e64 v7, 0, 1, vcc_lo
	s_waitcnt lgkmcnt(2)
	v_cmp_gt_i32_e32 vcc_lo, v5, v8
	v_cndmask_b32_e64 v8, 0, 1, vcc_lo
	v_cmp_gt_i32_e32 vcc_lo, v5, v9
	v_cndmask_b32_e64 v9, 0, 1, vcc_lo
	s_waitcnt lgkmcnt(1)
	v_cmp_gt_i32_e32 vcc_lo, v5, v10
	v_cndmask_b32_e64 v10, 0, 1, vcc_lo
	v_add_co_u32 v3, vcc_lo, v3, v6
	v_add_co_ci_u32_e32 v4, vcc_lo, 0, v4, vcc_lo
	v_cmp_gt_i32_e32 vcc_lo, v5, v11
	s_delay_alu instid0(VALU_DEP_3) | instskip(NEXT) | instid1(VALU_DEP_1)
	v_add_co_u32 v3, s0, v3, v7
	v_add_co_ci_u32_e64 v4, s0, 0, v4, s0
	v_cndmask_b32_e64 v6, 0, 1, vcc_lo
	s_delay_alu instid0(VALU_DEP_3) | instskip(NEXT) | instid1(VALU_DEP_3)
	v_add_co_u32 v3, vcc_lo, v3, v8
	v_add_co_ci_u32_e32 v4, vcc_lo, 0, v4, vcc_lo
	s_waitcnt lgkmcnt(0)
	v_cmp_gt_i32_e32 vcc_lo, v5, v12
	s_delay_alu instid0(VALU_DEP_3) | instskip(NEXT) | instid1(VALU_DEP_1)
	v_add_co_u32 v3, s0, v3, v9
	v_add_co_ci_u32_e64 v4, s0, 0, v4, s0
	v_cndmask_b32_e64 v7, 0, 1, vcc_lo
	s_delay_alu instid0(VALU_DEP_3) | instskip(NEXT) | instid1(VALU_DEP_3)
	v_add_co_u32 v3, vcc_lo, v3, v10
	v_add_co_ci_u32_e32 v4, vcc_lo, 0, v4, vcc_lo
	v_cmp_gt_i32_e32 vcc_lo, v5, v13
	s_delay_alu instid0(VALU_DEP_3) | instskip(NEXT) | instid1(VALU_DEP_1)
	v_add_co_u32 v3, s0, v3, v6
	v_add_co_ci_u32_e64 v4, s0, 0, v4, s0
	v_cndmask_b32_e64 v6, 0, 1, vcc_lo
	s_delay_alu instid0(VALU_DEP_3) | instskip(NEXT) | instid1(VALU_DEP_3)
	v_add_co_u32 v3, vcc_lo, v3, v7
	v_add_co_ci_u32_e32 v4, vcc_lo, 0, v4, vcc_lo
	s_delay_alu instid0(VALU_DEP_2) | instskip(NEXT) | instid1(VALU_DEP_2)
	v_add_co_u32 v3, vcc_lo, v3, v6
	v_add_co_ci_u32_e32 v4, vcc_lo, 0, v4, vcc_lo
	s_cbranch_scc0 .LBB183_65
; %bb.66:                               ;   in Loop: Header=BB183_63 Depth=1
	s_mov_b32 s0, s6
.LBB183_67:                             ;   in Loop: Header=BB183_63 Depth=1
	s_and_not1_b32 vcc_lo, exec_lo, s7
	s_cbranch_vccnz .LBB183_62
; %bb.68:                               ;   in Loop: Header=BB183_63 Depth=1
	s_lshl_b32 s0, s0, 2
	s_mov_b32 s9, s1
	s_add_i32 s0, s0, 0
.LBB183_69:                             ;   Parent Loop BB183_63 Depth=1
                                        ; =>  This Inner Loop Header: Depth=2
	s_delay_alu instid0(SALU_CYCLE_1)
	v_mov_b32_e32 v6, s0
	s_add_i32 s9, s9, -1
	s_add_i32 s0, s0, 4
	s_cmp_lg_u32 s9, 0
	ds_load_b32 v6, v6
	s_waitcnt lgkmcnt(0)
	v_cmp_gt_i32_e32 vcc_lo, v5, v6
	v_cndmask_b32_e64 v6, 0, 1, vcc_lo
	s_delay_alu instid0(VALU_DEP_1)
	v_add_co_u32 v3, vcc_lo, v3, v6
	v_add_co_ci_u32_e32 v4, vcc_lo, 0, v4, vcc_lo
	s_cbranch_scc1 .LBB183_69
	s_branch .LBB183_62
.LBB183_70:
	s_nop 0
	s_sendmsg sendmsg(MSG_DEALLOC_VGPRS)
	s_endpgm
	.section	.rodata,"a",@progbits
	.p2align	6, 0x0
	.amdhsa_kernel _ZN9rocsparseL41csrgemm_numeric_fill_block_per_row_kernelILj128ELj16ELj256ELj137ELj64ElidEEvT5_PKS1_S3_NS_24const_host_device_scalarIT6_EEPKT4_S3_PKS5_S9_S3_SB_S6_S9_S3_SB_S9_S3_PS5_21rocsparse_index_base_SD_SD_SD_bbb
		.amdhsa_group_segment_fixed_size 0
		.amdhsa_private_segment_fixed_size 0
		.amdhsa_kernarg_size 156
		.amdhsa_user_sgpr_count 15
		.amdhsa_user_sgpr_dispatch_ptr 0
		.amdhsa_user_sgpr_queue_ptr 0
		.amdhsa_user_sgpr_kernarg_segment_ptr 1
		.amdhsa_user_sgpr_dispatch_id 0
		.amdhsa_user_sgpr_private_segment_size 0
		.amdhsa_wavefront_size32 1
		.amdhsa_uses_dynamic_stack 0
		.amdhsa_enable_private_segment 0
		.amdhsa_system_sgpr_workgroup_id_x 1
		.amdhsa_system_sgpr_workgroup_id_y 0
		.amdhsa_system_sgpr_workgroup_id_z 0
		.amdhsa_system_sgpr_workgroup_info 0
		.amdhsa_system_vgpr_workitem_id 0
		.amdhsa_next_free_vgpr 28
		.amdhsa_next_free_sgpr 42
		.amdhsa_reserve_vcc 1
		.amdhsa_float_round_mode_32 0
		.amdhsa_float_round_mode_16_64 0
		.amdhsa_float_denorm_mode_32 3
		.amdhsa_float_denorm_mode_16_64 3
		.amdhsa_dx10_clamp 1
		.amdhsa_ieee_mode 1
		.amdhsa_fp16_overflow 0
		.amdhsa_workgroup_processor_mode 1
		.amdhsa_memory_ordered 1
		.amdhsa_forward_progress 0
		.amdhsa_shared_vgpr_count 0
		.amdhsa_exception_fp_ieee_invalid_op 0
		.amdhsa_exception_fp_denorm_src 0
		.amdhsa_exception_fp_ieee_div_zero 0
		.amdhsa_exception_fp_ieee_overflow 0
		.amdhsa_exception_fp_ieee_underflow 0
		.amdhsa_exception_fp_ieee_inexact 0
		.amdhsa_exception_int_div_zero 0
	.end_amdhsa_kernel
	.section	.text._ZN9rocsparseL41csrgemm_numeric_fill_block_per_row_kernelILj128ELj16ELj256ELj137ELj64ElidEEvT5_PKS1_S3_NS_24const_host_device_scalarIT6_EEPKT4_S3_PKS5_S9_S3_SB_S6_S9_S3_SB_S9_S3_PS5_21rocsparse_index_base_SD_SD_SD_bbb,"axG",@progbits,_ZN9rocsparseL41csrgemm_numeric_fill_block_per_row_kernelILj128ELj16ELj256ELj137ELj64ElidEEvT5_PKS1_S3_NS_24const_host_device_scalarIT6_EEPKT4_S3_PKS5_S9_S3_SB_S6_S9_S3_SB_S9_S3_PS5_21rocsparse_index_base_SD_SD_SD_bbb,comdat
.Lfunc_end183:
	.size	_ZN9rocsparseL41csrgemm_numeric_fill_block_per_row_kernelILj128ELj16ELj256ELj137ELj64ElidEEvT5_PKS1_S3_NS_24const_host_device_scalarIT6_EEPKT4_S3_PKS5_S9_S3_SB_S6_S9_S3_SB_S9_S3_PS5_21rocsparse_index_base_SD_SD_SD_bbb, .Lfunc_end183-_ZN9rocsparseL41csrgemm_numeric_fill_block_per_row_kernelILj128ELj16ELj256ELj137ELj64ElidEEvT5_PKS1_S3_NS_24const_host_device_scalarIT6_EEPKT4_S3_PKS5_S9_S3_SB_S6_S9_S3_SB_S9_S3_PS5_21rocsparse_index_base_SD_SD_SD_bbb
                                        ; -- End function
	.section	.AMDGPU.csdata,"",@progbits
; Kernel info:
; codeLenInByte = 3056
; NumSgprs: 44
; NumVgprs: 28
; ScratchSize: 0
; MemoryBound: 0
; FloatMode: 240
; IeeeMode: 1
; LDSByteSize: 0 bytes/workgroup (compile time only)
; SGPRBlocks: 5
; VGPRBlocks: 3
; NumSGPRsForWavesPerEU: 44
; NumVGPRsForWavesPerEU: 28
; Occupancy: 16
; WaveLimiterHint : 1
; COMPUTE_PGM_RSRC2:SCRATCH_EN: 0
; COMPUTE_PGM_RSRC2:USER_SGPR: 15
; COMPUTE_PGM_RSRC2:TRAP_HANDLER: 0
; COMPUTE_PGM_RSRC2:TGID_X_EN: 1
; COMPUTE_PGM_RSRC2:TGID_Y_EN: 0
; COMPUTE_PGM_RSRC2:TGID_Z_EN: 0
; COMPUTE_PGM_RSRC2:TIDIG_COMP_CNT: 0
	.section	.text._ZN9rocsparseL41csrgemm_numeric_fill_block_per_row_kernelILj256ELj32ELj512ELj137ELj32ElidEEvT5_PKS1_S3_NS_24const_host_device_scalarIT6_EEPKT4_S3_PKS5_S9_S3_SB_S6_S9_S3_SB_S9_S3_PS5_21rocsparse_index_base_SD_SD_SD_bbb,"axG",@progbits,_ZN9rocsparseL41csrgemm_numeric_fill_block_per_row_kernelILj256ELj32ELj512ELj137ELj32ElidEEvT5_PKS1_S3_NS_24const_host_device_scalarIT6_EEPKT4_S3_PKS5_S9_S3_SB_S6_S9_S3_SB_S9_S3_PS5_21rocsparse_index_base_SD_SD_SD_bbb,comdat
	.globl	_ZN9rocsparseL41csrgemm_numeric_fill_block_per_row_kernelILj256ELj32ELj512ELj137ELj32ElidEEvT5_PKS1_S3_NS_24const_host_device_scalarIT6_EEPKT4_S3_PKS5_S9_S3_SB_S6_S9_S3_SB_S9_S3_PS5_21rocsparse_index_base_SD_SD_SD_bbb ; -- Begin function _ZN9rocsparseL41csrgemm_numeric_fill_block_per_row_kernelILj256ELj32ELj512ELj137ELj32ElidEEvT5_PKS1_S3_NS_24const_host_device_scalarIT6_EEPKT4_S3_PKS5_S9_S3_SB_S6_S9_S3_SB_S9_S3_PS5_21rocsparse_index_base_SD_SD_SD_bbb
	.p2align	8
	.type	_ZN9rocsparseL41csrgemm_numeric_fill_block_per_row_kernelILj256ELj32ELj512ELj137ELj32ElidEEvT5_PKS1_S3_NS_24const_host_device_scalarIT6_EEPKT4_S3_PKS5_S9_S3_SB_S6_S9_S3_SB_S9_S3_PS5_21rocsparse_index_base_SD_SD_SD_bbb,@function
_ZN9rocsparseL41csrgemm_numeric_fill_block_per_row_kernelILj256ELj32ELj512ELj137ELj32ElidEEvT5_PKS1_S3_NS_24const_host_device_scalarIT6_EEPKT4_S3_PKS5_S9_S3_SB_S6_S9_S3_SB_S9_S3_PS5_21rocsparse_index_base_SD_SD_SD_bbb: ; @_ZN9rocsparseL41csrgemm_numeric_fill_block_per_row_kernelILj256ELj32ELj512ELj137ELj32ElidEEvT5_PKS1_S3_NS_24const_host_device_scalarIT6_EEPKT4_S3_PKS5_S9_S3_SB_S6_S9_S3_SB_S9_S3_PS5_21rocsparse_index_base_SD_SD_SD_bbb
; %bb.0:
	s_clause 0x2
	s_load_b32 s6, s[0:1], 0x98
	s_load_b64 s[4:5], s[0:1], 0x18
	s_load_b64 s[2:3], s[0:1], 0x50
	s_waitcnt lgkmcnt(0)
	s_and_b32 s8, 1, s6
	s_bitcmp1_b32 s6, 16
	s_cselect_b32 s7, -1, 0
	s_cmp_eq_u32 s8, 1
	s_cselect_b32 s35, -1, 0
	s_delay_alu instid0(SALU_CYCLE_1)
	s_and_b32 s8, s35, exec_lo
	s_cselect_b32 s9, s5, 0
	s_cselect_b32 s8, s4, 0
	s_xor_b32 s10, s35, -1
	v_dual_mov_b32 v3, s8 :: v_dual_mov_b32 v4, s9
	s_or_b32 s10, s10, s7
	s_delay_alu instid0(SALU_CYCLE_1)
	s_and_b32 vcc_lo, exec_lo, s10
	s_cbranch_vccnz .LBB184_2
; %bb.1:
	v_dual_mov_b32 v1, s4 :: v_dual_mov_b32 v2, s5
	flat_load_b64 v[3:4], v[1:2]
.LBB184_2:
	s_load_b128 s[24:27], s[0:1], 0x88
	s_bitcmp1_b32 s6, 8
	s_cselect_b32 s34, -1, 0
	s_delay_alu instid0(SALU_CYCLE_1)
	s_and_b32 s4, s34, exec_lo
	s_cselect_b32 s5, s3, 0
	s_cselect_b32 s4, s2, 0
	s_xor_b32 s6, s34, -1
	v_dual_mov_b32 v1, s4 :: v_dual_mov_b32 v2, s5
	s_or_b32 s6, s6, s7
	s_delay_alu instid0(SALU_CYCLE_1)
	s_and_b32 vcc_lo, exec_lo, s6
	s_cbranch_vccnz .LBB184_4
; %bb.3:
	v_dual_mov_b32 v1, s2 :: v_dual_mov_b32 v2, s3
	flat_load_b64 v[1:2], v[1:2]
.LBB184_4:
	s_clause 0x5
	s_load_b64 s[12:13], s[0:1], 0x80
	s_load_b256 s[4:11], s[0:1], 0x58
	s_load_b128 s[28:31], s[0:1], 0x40
	s_load_b256 s[16:23], s[0:1], 0x20
	s_load_b128 s[36:39], s[0:1], 0x8
	s_load_b32 s33, s[0:1], 0x0
	v_cmp_gt_u32_e64 s0, 0x200, v0
	v_lshlrev_b32_e32 v19, 3, v0
	v_or_b32_e32 v17, 0xffffff00, v0
	v_lshl_add_u32 v18, v0, 2, 0
	s_delay_alu instid0(VALU_DEP_4)
	s_and_saveexec_b32 s1, s0
	s_cbranch_execz .LBB184_7
; %bb.5:
	s_waitcnt lgkmcnt(0)
	v_dual_mov_b32 v5, 0 :: v_dual_mov_b32 v10, s33
	v_add3_u32 v7, v19, 0, 0x800
	v_or_b32_e32 v8, 0xffffff00, v0
	v_lshl_add_u32 v9, v0, 2, 0
	s_delay_alu instid0(VALU_DEP_4)
	v_mov_b32_e32 v6, v5
	s_mov_b32 s2, 0
.LBB184_6:                              ; =>This Inner Loop Header: Depth=1
	s_delay_alu instid0(VALU_DEP_3) | instskip(NEXT) | instid1(VALU_DEP_1)
	v_add_co_u32 v8, s3, 0x100, v8
	s_xor_b32 s3, s3, -1
	ds_store_b32 v9, v10
	ds_store_b64 v7, v[5:6]
	v_add_nc_u32_e32 v7, 0x800, v7
	v_add_nc_u32_e32 v9, 0x400, v9
	s_and_b32 s3, exec_lo, s3
	s_delay_alu instid0(SALU_CYCLE_1) | instskip(NEXT) | instid1(SALU_CYCLE_1)
	s_or_b32 s2, s3, s2
	s_and_not1_b32 exec_lo, exec_lo, s2
	s_cbranch_execnz .LBB184_6
.LBB184_7:
	s_or_b32 exec_lo, exec_lo, s1
	s_waitcnt vmcnt(0) lgkmcnt(0)
	s_barrier
	buffer_gl0_inv
	s_load_b32 s1, s[36:37], 0x0
	s_mov_b32 s3, 0
	v_lshrrev_b32_e32 v20, 5, v0
	s_waitcnt lgkmcnt(0)
	s_add_i32 s2, s1, s15
	s_delay_alu instid0(SALU_CYCLE_1) | instskip(NEXT) | instid1(SALU_CYCLE_1)
	s_lshl_b64 s[2:3], s[2:3], 2
	s_add_u32 s2, s38, s2
	s_addc_u32 s3, s39, s3
	s_and_b32 vcc_lo, exec_lo, s35
	s_load_b32 s14, s[2:3], 0x0
	s_cbranch_vccz .LBB184_31
; %bb.8:
	s_waitcnt lgkmcnt(0)
	s_ashr_i32 s15, s14, 31
	v_sub_co_u32 v5, s1, v20, s24
	s_lshl_b64 s[2:3], s[14:15], 3
	v_sub_co_ci_u32_e64 v6, null, 0, 0, s1
	s_add_u32 s2, s16, s2
	s_addc_u32 s3, s17, s3
	s_mov_b32 s1, exec_lo
	s_load_b128 s[36:39], s[2:3], 0x0
	s_waitcnt lgkmcnt(0)
	v_add_co_u32 v5, vcc_lo, s36, v5
	v_add_co_ci_u32_e32 v6, vcc_lo, s37, v6, vcc_lo
	s_sub_u32 s2, s38, s24
	s_subb_u32 s3, s39, 0
	s_delay_alu instid0(VALU_DEP_1) | instid1(SALU_CYCLE_1)
	v_cmpx_gt_i64_e64 s[2:3], v[5:6]
	s_cbranch_execz .LBB184_30
; %bb.9:
	v_and_b32_e32 v7, 31, v0
	s_mov_b32 s16, s25
	s_delay_alu instid0(VALU_DEP_1) | instskip(NEXT) | instid1(VALU_DEP_1)
	v_sub_co_u32 v21, s15, v7, s25
	v_sub_co_ci_u32_e64 v22, null, 0, 0, s15
	s_mov_b32 s15, 0
	s_branch .LBB184_11
.LBB184_10:                             ;   in Loop: Header=BB184_11 Depth=1
	s_or_b32 exec_lo, exec_lo, s17
	v_add_co_u32 v5, vcc_lo, v5, 8
	v_add_co_ci_u32_e32 v6, vcc_lo, 0, v6, vcc_lo
	s_delay_alu instid0(VALU_DEP_1) | instskip(SKIP_1) | instid1(SALU_CYCLE_1)
	v_cmp_le_i64_e32 vcc_lo, s[2:3], v[5:6]
	s_or_b32 s15, vcc_lo, s15
	s_and_not1_b32 exec_lo, exec_lo, s15
	s_cbranch_execz .LBB184_30
.LBB184_11:                             ; =>This Loop Header: Depth=1
                                        ;     Child Loop BB184_14 Depth 2
                                        ;       Child Loop BB184_16 Depth 3
                                        ;         Child Loop BB184_22 Depth 4
                                        ;         Child Loop BB184_28 Depth 4
	v_lshlrev_b64 v[7:8], 2, v[5:6]
	s_mov_b32 s17, exec_lo
	s_delay_alu instid0(VALU_DEP_1) | instskip(NEXT) | instid1(VALU_DEP_2)
	v_add_co_u32 v7, vcc_lo, s18, v7
	v_add_co_ci_u32_e32 v8, vcc_lo, s19, v8, vcc_lo
	global_load_b32 v7, v[7:8], off
	s_waitcnt vmcnt(0)
	v_subrev_nc_u32_e32 v7, s24, v7
	s_delay_alu instid0(VALU_DEP_1) | instskip(NEXT) | instid1(VALU_DEP_1)
	v_ashrrev_i32_e32 v8, 31, v7
	v_lshlrev_b64 v[7:8], 3, v[7:8]
	s_delay_alu instid0(VALU_DEP_1) | instskip(NEXT) | instid1(VALU_DEP_2)
	v_add_co_u32 v7, vcc_lo, s22, v7
	v_add_co_ci_u32_e32 v8, vcc_lo, s23, v8, vcc_lo
	global_load_b128 v[9:12], v[7:8], off
	s_waitcnt vmcnt(0)
	v_sub_co_u32 v7, vcc_lo, v11, s16
	v_subrev_co_ci_u32_e32 v8, vcc_lo, 0, v12, vcc_lo
	v_add_co_u32 v9, vcc_lo, v9, v21
	v_add_co_ci_u32_e32 v10, vcc_lo, v10, v22, vcc_lo
	s_delay_alu instid0(VALU_DEP_1)
	v_cmpx_lt_i64_e64 v[9:10], v[7:8]
	s_cbranch_execz .LBB184_10
; %bb.12:                               ;   in Loop: Header=BB184_11 Depth=1
	v_lshlrev_b64 v[11:12], 3, v[5:6]
	s_mov_b32 s35, 0
	s_delay_alu instid0(VALU_DEP_1) | instskip(NEXT) | instid1(VALU_DEP_2)
	v_add_co_u32 v11, vcc_lo, s20, v11
	v_add_co_ci_u32_e32 v12, vcc_lo, s21, v12, vcc_lo
	global_load_b64 v[11:12], v[11:12], off
	s_waitcnt vmcnt(0)
	v_mul_f64 v[11:12], v[3:4], v[11:12]
	s_branch .LBB184_14
.LBB184_13:                             ;   in Loop: Header=BB184_14 Depth=2
	s_or_b32 exec_lo, exec_lo, s36
	v_add_co_u32 v9, vcc_lo, v9, 32
	v_add_co_ci_u32_e32 v10, vcc_lo, 0, v10, vcc_lo
	s_delay_alu instid0(VALU_DEP_1) | instskip(SKIP_1) | instid1(SALU_CYCLE_1)
	v_cmp_ge_i64_e32 vcc_lo, v[9:10], v[7:8]
	s_or_b32 s35, vcc_lo, s35
	s_and_not1_b32 exec_lo, exec_lo, s35
	s_cbranch_execz .LBB184_10
.LBB184_14:                             ;   Parent Loop BB184_11 Depth=1
                                        ; =>  This Loop Header: Depth=2
                                        ;       Child Loop BB184_16 Depth 3
                                        ;         Child Loop BB184_22 Depth 4
                                        ;         Child Loop BB184_28 Depth 4
	v_lshlrev_b64 v[13:14], 3, v[9:10]
	v_lshlrev_b64 v[15:16], 2, v[9:10]
	s_mov_b32 s36, 0
	s_delay_alu instid0(VALU_DEP_2) | instskip(NEXT) | instid1(VALU_DEP_3)
	v_add_co_u32 v13, vcc_lo, s30, v13
	v_add_co_ci_u32_e32 v14, vcc_lo, s31, v14, vcc_lo
	s_delay_alu instid0(VALU_DEP_3) | instskip(NEXT) | instid1(VALU_DEP_4)
	v_add_co_u32 v15, vcc_lo, s28, v15
	v_add_co_ci_u32_e32 v16, vcc_lo, s29, v16, vcc_lo
	global_load_b64 v[13:14], v[13:14], off
	global_load_b32 v15, v[15:16], off
	s_waitcnt vmcnt(1)
	v_mul_f64 v[13:14], v[11:12], v[13:14]
	s_waitcnt vmcnt(0)
	v_subrev_nc_u32_e32 v23, s25, v15
	s_delay_alu instid0(VALU_DEP_1) | instskip(NEXT) | instid1(VALU_DEP_1)
	v_mul_lo_u32 v15, 0x89, v23
	v_and_b32_e32 v24, 0x1ff, v15
	s_branch .LBB184_16
.LBB184_15:                             ;   in Loop: Header=BB184_16 Depth=3
	s_or_b32 exec_lo, exec_lo, s37
	s_xor_b32 s37, s38, -1
	s_delay_alu instid0(SALU_CYCLE_1) | instskip(NEXT) | instid1(SALU_CYCLE_1)
	s_and_b32 s37, exec_lo, s37
	s_or_b32 s36, s37, s36
	s_delay_alu instid0(SALU_CYCLE_1)
	s_and_not1_b32 exec_lo, exec_lo, s36
	s_cbranch_execz .LBB184_13
.LBB184_16:                             ;   Parent Loop BB184_11 Depth=1
                                        ;     Parent Loop BB184_14 Depth=2
                                        ; =>    This Loop Header: Depth=3
                                        ;         Child Loop BB184_22 Depth 4
                                        ;         Child Loop BB184_28 Depth 4
	s_delay_alu instid0(VALU_DEP_1)
	v_lshl_add_u32 v15, v24, 2, 0
	s_mov_b32 s37, exec_lo
                                        ; implicit-def: $sgpr38
	ds_load_b32 v16, v15
	s_waitcnt lgkmcnt(0)
	v_cmpx_ne_u32_e64 v16, v23
	s_xor_b32 s37, exec_lo, s37
	s_cbranch_execz .LBB184_26
; %bb.17:                               ;   in Loop: Header=BB184_16 Depth=3
	s_mov_b32 s39, exec_lo
                                        ; implicit-def: $sgpr38
	v_cmpx_ne_u32_e64 s33, v16
	s_xor_b32 s39, exec_lo, s39
; %bb.18:                               ;   in Loop: Header=BB184_16 Depth=3
	v_add_nc_u32_e32 v15, 1, v24
	s_mov_b32 s38, -1
	s_delay_alu instid0(VALU_DEP_1)
	v_and_b32_e32 v24, 0x1ff, v15
                                        ; implicit-def: $vgpr15
; %bb.19:                               ;   in Loop: Header=BB184_16 Depth=3
	s_and_not1_saveexec_b32 s39, s39
	s_cbranch_execz .LBB184_25
; %bb.20:                               ;   in Loop: Header=BB184_16 Depth=3
	v_mov_b32_e32 v16, s33
	s_mov_b32 s41, -1
	s_mov_b32 s40, exec_lo
	ds_cmpstore_rtn_b32 v16, v15, v23, v16
	s_waitcnt lgkmcnt(0)
	v_cmpx_eq_u32_e64 s33, v16
	s_cbranch_execz .LBB184_24
; %bb.21:                               ;   in Loop: Header=BB184_16 Depth=3
	v_lshlrev_b32_e32 v16, 2, v24
	s_mov_b32 s41, 0
	s_delay_alu instid0(VALU_DEP_1)
	v_add_nc_u32_e32 v25, v15, v16
	ds_load_b64 v[15:16], v25 offset:2048
.LBB184_22:                             ;   Parent Loop BB184_11 Depth=1
                                        ;     Parent Loop BB184_14 Depth=2
                                        ;       Parent Loop BB184_16 Depth=3
                                        ; =>      This Inner Loop Header: Depth=4
	s_waitcnt lgkmcnt(0)
	v_add_f64 v[26:27], v[15:16], v[13:14]
	ds_cmpstore_rtn_b64 v[26:27], v25, v[26:27], v[15:16] offset:2048
	s_waitcnt lgkmcnt(0)
	v_cmp_eq_u64_e32 vcc_lo, v[26:27], v[15:16]
	v_dual_mov_b32 v15, v26 :: v_dual_mov_b32 v16, v27
	s_or_b32 s41, vcc_lo, s41
	s_delay_alu instid0(SALU_CYCLE_1)
	s_and_not1_b32 exec_lo, exec_lo, s41
	s_cbranch_execnz .LBB184_22
; %bb.23:                               ;   in Loop: Header=BB184_16 Depth=3
	s_or_b32 exec_lo, exec_lo, s41
	s_delay_alu instid0(SALU_CYCLE_1)
	s_xor_b32 s41, exec_lo, -1
.LBB184_24:                             ;   in Loop: Header=BB184_16 Depth=3
	s_or_b32 exec_lo, exec_lo, s40
	s_delay_alu instid0(SALU_CYCLE_1) | instskip(SKIP_1) | instid1(SALU_CYCLE_1)
	s_and_not1_b32 s38, s38, exec_lo
	s_and_b32 s40, s41, exec_lo
	s_or_b32 s38, s38, s40
.LBB184_25:                             ;   in Loop: Header=BB184_16 Depth=3
	s_or_b32 exec_lo, exec_lo, s39
	s_delay_alu instid0(SALU_CYCLE_1)
	s_and_b32 s38, s38, exec_lo
                                        ; implicit-def: $vgpr15
.LBB184_26:                             ;   in Loop: Header=BB184_16 Depth=3
	s_and_not1_saveexec_b32 s37, s37
	s_cbranch_execz .LBB184_15
; %bb.27:                               ;   in Loop: Header=BB184_16 Depth=3
	v_lshlrev_b32_e32 v16, 2, v24
	s_mov_b32 s39, 0
	s_delay_alu instid0(VALU_DEP_1)
	v_add_nc_u32_e32 v25, v15, v16
	ds_load_b64 v[15:16], v25 offset:2048
.LBB184_28:                             ;   Parent Loop BB184_11 Depth=1
                                        ;     Parent Loop BB184_14 Depth=2
                                        ;       Parent Loop BB184_16 Depth=3
                                        ; =>      This Inner Loop Header: Depth=4
	s_waitcnt lgkmcnt(0)
	v_add_f64 v[26:27], v[15:16], v[13:14]
	ds_cmpstore_rtn_b64 v[26:27], v25, v[26:27], v[15:16] offset:2048
	s_waitcnt lgkmcnt(0)
	v_cmp_eq_u64_e32 vcc_lo, v[26:27], v[15:16]
	v_dual_mov_b32 v15, v26 :: v_dual_mov_b32 v16, v27
	s_or_b32 s39, vcc_lo, s39
	s_delay_alu instid0(SALU_CYCLE_1)
	s_and_not1_b32 exec_lo, exec_lo, s39
	s_cbranch_execnz .LBB184_28
; %bb.29:                               ;   in Loop: Header=BB184_16 Depth=3
	s_or_b32 exec_lo, exec_lo, s39
	s_delay_alu instid0(SALU_CYCLE_1)
	s_and_not1_b32 s38, s38, exec_lo
	s_branch .LBB184_15
.LBB184_30:
	s_or_b32 exec_lo, exec_lo, s1
.LBB184_31:
	s_delay_alu instid0(SALU_CYCLE_1)
	s_and_not1_b32 vcc_lo, exec_lo, s34
	s_cbranch_vccnz .LBB184_34
; %bb.32:
	s_waitcnt lgkmcnt(0)
	s_ashr_i32 s15, s14, 31
	v_sub_co_u32 v3, s1, v0, s27
	s_lshl_b64 s[2:3], s[14:15], 3
	v_sub_co_ci_u32_e64 v4, null, 0, 0, s1
	s_add_u32 s2, s4, s2
	s_addc_u32 s3, s5, s3
	s_mov_b32 s4, 0
	s_load_b128 s[16:19], s[2:3], 0x0
	s_mov_b32 s1, exec_lo
	s_waitcnt lgkmcnt(0)
	v_add_co_u32 v3, vcc_lo, s16, v3
	v_add_co_ci_u32_e32 v4, vcc_lo, s17, v4, vcc_lo
	s_sub_u32 s2, s18, s27
	s_subb_u32 s3, s19, 0
	s_delay_alu instid0(VALU_DEP_1) | instid1(SALU_CYCLE_1)
	v_cmpx_gt_i64_e64 s[2:3], v[3:4]
	s_cbranch_execnz .LBB184_56
.LBB184_33:
	s_or_b32 exec_lo, exec_lo, s1
.LBB184_34:
	s_waitcnt lgkmcnt(0)
	s_barrier
	buffer_gl0_inv
	s_and_saveexec_b32 s8, s0
	s_cbranch_execz .LBB184_72
; %bb.35:
	v_mbcnt_lo_u32_b32 v1, -1, 0
	v_lshl_add_u32 v4, v20, 2, 0
	v_cmp_eq_u32_e32 vcc_lo, 0xff, v0
	v_cmp_lt_u32_e64 s0, 31, v0
	v_cmp_lt_u32_e64 s1, 63, v0
	v_xor_b32_e32 v1, 63, v1
	v_cmp_lt_u32_e64 s2, 0x5f, v0
	v_cmp_lt_u32_e64 s3, 0x7f, v0
	v_cmp_lt_u32_e64 s4, 0x9f, v0
	v_cmp_lt_u32_e64 s5, 0xbf, v0
	v_lshrrev_b64 v[1:2], v1, -1
	v_cmp_lt_u32_e64 s6, 0xdf, v0
	v_add3_u32 v5, v19, 0, 0x800
	v_dual_mov_b32 v6, 0 :: v_dual_mov_b32 v7, 0
	s_mov_b32 s9, 0
	s_branch .LBB184_37
.LBB184_36:                             ;   in Loop: Header=BB184_37 Depth=1
	s_or_b32 exec_lo, exec_lo, s7
	s_waitcnt lgkmcnt(0)
	s_barrier
	buffer_gl0_inv
	ds_load_b32 v2, v6 offset:6172
	v_add_co_u32 v17, s7, 0x100, v17
	s_delay_alu instid0(VALU_DEP_1) | instskip(SKIP_3) | instid1(SALU_CYCLE_1)
	s_xor_b32 s7, s7, -1
	v_add_nc_u32_e32 v5, 0x800, v5
	v_add_nc_u32_e32 v18, 0x400, v18
	s_and_b32 s7, exec_lo, s7
	s_or_b32 s9, s7, s9
	s_waitcnt lgkmcnt(0)
	v_add_nc_u32_e32 v7, v2, v7
	s_and_not1_b32 exec_lo, exec_lo, s9
	s_cbranch_execz .LBB184_72
.LBB184_37:                             ; =>This Inner Loop Header: Depth=1
	ds_load_b32 v8, v18
	ds_load_b64 v[2:3], v5
	s_waitcnt lgkmcnt(0)
	s_barrier
	buffer_gl0_inv
	v_cmp_gt_i32_e64 s7, s33, v8
	s_delay_alu instid0(VALU_DEP_1) | instskip(NEXT) | instid1(SALU_CYCLE_1)
	s_bcnt1_i32_b32 s15, s7
	v_dual_mov_b32 v10, s15 :: v_dual_and_b32 v9, s7, v1
	s_delay_alu instid0(VALU_DEP_1)
	v_bcnt_u32_b32 v9, v9, 0
	ds_store_b32 v4, v10 offset:6144
	s_waitcnt lgkmcnt(0)
	s_barrier
	buffer_gl0_inv
	s_and_saveexec_b32 s15, s0
	s_cbranch_execnz .LBB184_46
; %bb.38:                               ;   in Loop: Header=BB184_37 Depth=1
	s_or_b32 exec_lo, exec_lo, s15
	s_and_saveexec_b32 s15, s1
	s_cbranch_execnz .LBB184_47
.LBB184_39:                             ;   in Loop: Header=BB184_37 Depth=1
	s_or_b32 exec_lo, exec_lo, s15
	s_and_saveexec_b32 s15, s2
	s_cbranch_execnz .LBB184_48
.LBB184_40:                             ;   in Loop: Header=BB184_37 Depth=1
	s_or_b32 exec_lo, exec_lo, s15
	s_and_saveexec_b32 s15, s3
	s_cbranch_execnz .LBB184_49
.LBB184_41:                             ;   in Loop: Header=BB184_37 Depth=1
	s_or_b32 exec_lo, exec_lo, s15
	s_and_saveexec_b32 s15, s4
	s_cbranch_execnz .LBB184_50
.LBB184_42:                             ;   in Loop: Header=BB184_37 Depth=1
	s_or_b32 exec_lo, exec_lo, s15
	s_and_saveexec_b32 s15, s5
	s_cbranch_execnz .LBB184_51
.LBB184_43:                             ;   in Loop: Header=BB184_37 Depth=1
	s_or_b32 exec_lo, exec_lo, s15
	s_and_saveexec_b32 s15, s6
	s_cbranch_execnz .LBB184_52
.LBB184_44:                             ;   in Loop: Header=BB184_37 Depth=1
	s_or_b32 exec_lo, exec_lo, s15
	s_and_saveexec_b32 s15, s7
	s_cbranch_execnz .LBB184_53
.LBB184_45:                             ;   in Loop: Header=BB184_37 Depth=1
	s_or_b32 exec_lo, exec_lo, s15
	s_and_saveexec_b32 s7, vcc_lo
	s_cbranch_execz .LBB184_36
	s_branch .LBB184_54
.LBB184_46:                             ;   in Loop: Header=BB184_37 Depth=1
	ds_load_b32 v10, v6 offset:6144
	s_waitcnt lgkmcnt(0)
	v_add_nc_u32_e32 v9, v10, v9
	s_or_b32 exec_lo, exec_lo, s15
	s_and_saveexec_b32 s15, s1
	s_cbranch_execz .LBB184_39
.LBB184_47:                             ;   in Loop: Header=BB184_37 Depth=1
	ds_load_b32 v10, v6 offset:6148
	s_waitcnt lgkmcnt(0)
	v_add_nc_u32_e32 v9, v10, v9
	s_or_b32 exec_lo, exec_lo, s15
	s_and_saveexec_b32 s15, s2
	s_cbranch_execz .LBB184_40
.LBB184_48:                             ;   in Loop: Header=BB184_37 Depth=1
	ds_load_b32 v10, v6 offset:6152
	s_waitcnt lgkmcnt(0)
	v_add_nc_u32_e32 v9, v10, v9
	s_or_b32 exec_lo, exec_lo, s15
	s_and_saveexec_b32 s15, s3
	s_cbranch_execz .LBB184_41
.LBB184_49:                             ;   in Loop: Header=BB184_37 Depth=1
	ds_load_b32 v10, v6 offset:6156
	s_waitcnt lgkmcnt(0)
	v_add_nc_u32_e32 v9, v10, v9
	s_or_b32 exec_lo, exec_lo, s15
	s_and_saveexec_b32 s15, s4
	s_cbranch_execz .LBB184_42
.LBB184_50:                             ;   in Loop: Header=BB184_37 Depth=1
	ds_load_b32 v10, v6 offset:6160
	s_waitcnt lgkmcnt(0)
	v_add_nc_u32_e32 v9, v10, v9
	s_or_b32 exec_lo, exec_lo, s15
	s_and_saveexec_b32 s15, s5
	s_cbranch_execz .LBB184_43
.LBB184_51:                             ;   in Loop: Header=BB184_37 Depth=1
	ds_load_b32 v10, v6 offset:6164
	s_waitcnt lgkmcnt(0)
	v_add_nc_u32_e32 v9, v10, v9
	s_or_b32 exec_lo, exec_lo, s15
	s_and_saveexec_b32 s15, s6
	s_cbranch_execz .LBB184_44
.LBB184_52:                             ;   in Loop: Header=BB184_37 Depth=1
	ds_load_b32 v10, v6 offset:6168
	s_waitcnt lgkmcnt(0)
	v_add_nc_u32_e32 v9, v10, v9
	s_or_b32 exec_lo, exec_lo, s15
	s_and_saveexec_b32 s15, s7
	s_cbranch_execz .LBB184_45
.LBB184_53:                             ;   in Loop: Header=BB184_37 Depth=1
	s_delay_alu instid0(VALU_DEP_1) | instskip(NEXT) | instid1(VALU_DEP_1)
	v_add3_u32 v10, v7, -1, v9
	v_lshl_add_u32 v11, v10, 2, 0
	v_lshl_add_u32 v10, v10, 3, 0
	ds_store_b32 v11, v8
	ds_store_b64 v10, v[2:3] offset:2048
	s_or_b32 exec_lo, exec_lo, s15
	s_and_saveexec_b32 s7, vcc_lo
	s_cbranch_execz .LBB184_36
.LBB184_54:                             ;   in Loop: Header=BB184_37 Depth=1
	ds_store_b32 v6, v9 offset:6172
	s_branch .LBB184_36
.LBB184_55:                             ;   in Loop: Header=BB184_56 Depth=1
	s_or_b32 exec_lo, exec_lo, s5
	v_add_co_u32 v3, vcc_lo, 0x100, v3
	v_add_co_ci_u32_e32 v4, vcc_lo, 0, v4, vcc_lo
	s_delay_alu instid0(VALU_DEP_1) | instskip(SKIP_1) | instid1(SALU_CYCLE_1)
	v_cmp_le_i64_e32 vcc_lo, s[2:3], v[3:4]
	s_or_b32 s4, vcc_lo, s4
	s_and_not1_b32 exec_lo, exec_lo, s4
	s_cbranch_execz .LBB184_33
.LBB184_56:                             ; =>This Loop Header: Depth=1
                                        ;     Child Loop BB184_58 Depth 2
                                        ;       Child Loop BB184_64 Depth 3
                                        ;       Child Loop BB184_70 Depth 3
	v_lshlrev_b64 v[5:6], 3, v[3:4]
	v_lshlrev_b64 v[7:8], 2, v[3:4]
	s_mov_b32 s5, 0
	s_delay_alu instid0(VALU_DEP_2) | instskip(NEXT) | instid1(VALU_DEP_3)
	v_add_co_u32 v5, vcc_lo, s8, v5
	v_add_co_ci_u32_e32 v6, vcc_lo, s9, v6, vcc_lo
	s_delay_alu instid0(VALU_DEP_3) | instskip(NEXT) | instid1(VALU_DEP_4)
	v_add_co_u32 v7, vcc_lo, s6, v7
	v_add_co_ci_u32_e32 v8, vcc_lo, s7, v8, vcc_lo
	global_load_b64 v[5:6], v[5:6], off
	global_load_b32 v7, v[7:8], off
	s_waitcnt vmcnt(1)
	v_mul_f64 v[5:6], v[1:2], v[5:6]
	s_waitcnt vmcnt(0)
	v_subrev_nc_u32_e32 v9, s27, v7
	s_delay_alu instid0(VALU_DEP_1) | instskip(NEXT) | instid1(VALU_DEP_1)
	v_mul_lo_u32 v7, 0x89, v9
	v_and_b32_e32 v10, 0x1ff, v7
	s_branch .LBB184_58
.LBB184_57:                             ;   in Loop: Header=BB184_58 Depth=2
	s_or_b32 exec_lo, exec_lo, s15
	s_xor_b32 s15, s16, -1
	s_delay_alu instid0(SALU_CYCLE_1) | instskip(NEXT) | instid1(SALU_CYCLE_1)
	s_and_b32 s15, exec_lo, s15
	s_or_b32 s5, s15, s5
	s_delay_alu instid0(SALU_CYCLE_1)
	s_and_not1_b32 exec_lo, exec_lo, s5
	s_cbranch_execz .LBB184_55
.LBB184_58:                             ;   Parent Loop BB184_56 Depth=1
                                        ; =>  This Loop Header: Depth=2
                                        ;       Child Loop BB184_64 Depth 3
                                        ;       Child Loop BB184_70 Depth 3
	s_delay_alu instid0(VALU_DEP_1)
	v_lshl_add_u32 v7, v10, 2, 0
	s_mov_b32 s15, exec_lo
                                        ; implicit-def: $sgpr16
	ds_load_b32 v8, v7
	s_waitcnt lgkmcnt(0)
	v_cmpx_ne_u32_e64 v8, v9
	s_xor_b32 s15, exec_lo, s15
	s_cbranch_execz .LBB184_68
; %bb.59:                               ;   in Loop: Header=BB184_58 Depth=2
	s_mov_b32 s17, exec_lo
                                        ; implicit-def: $sgpr16
	v_cmpx_ne_u32_e64 s33, v8
	s_xor_b32 s17, exec_lo, s17
; %bb.60:                               ;   in Loop: Header=BB184_58 Depth=2
	v_add_nc_u32_e32 v7, 1, v10
	s_mov_b32 s16, -1
	s_delay_alu instid0(VALU_DEP_1)
	v_and_b32_e32 v10, 0x1ff, v7
                                        ; implicit-def: $vgpr7
; %bb.61:                               ;   in Loop: Header=BB184_58 Depth=2
	s_and_not1_saveexec_b32 s17, s17
	s_cbranch_execz .LBB184_67
; %bb.62:                               ;   in Loop: Header=BB184_58 Depth=2
	v_mov_b32_e32 v8, s33
	s_mov_b32 s19, -1
	s_mov_b32 s18, exec_lo
	ds_cmpstore_rtn_b32 v8, v7, v9, v8
	s_waitcnt lgkmcnt(0)
	v_cmpx_eq_u32_e64 s33, v8
	s_cbranch_execz .LBB184_66
; %bb.63:                               ;   in Loop: Header=BB184_58 Depth=2
	v_lshlrev_b32_e32 v8, 2, v10
	s_mov_b32 s19, 0
	s_delay_alu instid0(VALU_DEP_1)
	v_add_nc_u32_e32 v11, v7, v8
	ds_load_b64 v[7:8], v11 offset:2048
.LBB184_64:                             ;   Parent Loop BB184_56 Depth=1
                                        ;     Parent Loop BB184_58 Depth=2
                                        ; =>    This Inner Loop Header: Depth=3
	s_waitcnt lgkmcnt(0)
	v_add_f64 v[12:13], v[7:8], v[5:6]
	ds_cmpstore_rtn_b64 v[12:13], v11, v[12:13], v[7:8] offset:2048
	s_waitcnt lgkmcnt(0)
	v_cmp_eq_u64_e32 vcc_lo, v[12:13], v[7:8]
	v_dual_mov_b32 v7, v12 :: v_dual_mov_b32 v8, v13
	s_or_b32 s19, vcc_lo, s19
	s_delay_alu instid0(SALU_CYCLE_1)
	s_and_not1_b32 exec_lo, exec_lo, s19
	s_cbranch_execnz .LBB184_64
; %bb.65:                               ;   in Loop: Header=BB184_58 Depth=2
	s_or_b32 exec_lo, exec_lo, s19
	s_delay_alu instid0(SALU_CYCLE_1)
	s_xor_b32 s19, exec_lo, -1
.LBB184_66:                             ;   in Loop: Header=BB184_58 Depth=2
	s_or_b32 exec_lo, exec_lo, s18
	s_delay_alu instid0(SALU_CYCLE_1) | instskip(SKIP_1) | instid1(SALU_CYCLE_1)
	s_and_not1_b32 s16, s16, exec_lo
	s_and_b32 s18, s19, exec_lo
	s_or_b32 s16, s16, s18
.LBB184_67:                             ;   in Loop: Header=BB184_58 Depth=2
	s_or_b32 exec_lo, exec_lo, s17
	s_delay_alu instid0(SALU_CYCLE_1)
	s_and_b32 s16, s16, exec_lo
                                        ; implicit-def: $vgpr7
.LBB184_68:                             ;   in Loop: Header=BB184_58 Depth=2
	s_and_not1_saveexec_b32 s15, s15
	s_cbranch_execz .LBB184_57
; %bb.69:                               ;   in Loop: Header=BB184_58 Depth=2
	v_lshlrev_b32_e32 v8, 2, v10
	s_mov_b32 s17, 0
	s_delay_alu instid0(VALU_DEP_1)
	v_add_nc_u32_e32 v11, v7, v8
	ds_load_b64 v[7:8], v11 offset:2048
.LBB184_70:                             ;   Parent Loop BB184_56 Depth=1
                                        ;     Parent Loop BB184_58 Depth=2
                                        ; =>    This Inner Loop Header: Depth=3
	s_waitcnt lgkmcnt(0)
	v_add_f64 v[12:13], v[7:8], v[5:6]
	ds_cmpstore_rtn_b64 v[12:13], v11, v[12:13], v[7:8] offset:2048
	s_waitcnt lgkmcnt(0)
	v_cmp_eq_u64_e32 vcc_lo, v[12:13], v[7:8]
	v_dual_mov_b32 v7, v12 :: v_dual_mov_b32 v8, v13
	s_or_b32 s17, vcc_lo, s17
	s_delay_alu instid0(SALU_CYCLE_1)
	s_and_not1_b32 exec_lo, exec_lo, s17
	s_cbranch_execnz .LBB184_70
; %bb.71:                               ;   in Loop: Header=BB184_58 Depth=2
	s_or_b32 exec_lo, exec_lo, s17
	s_delay_alu instid0(SALU_CYCLE_1)
	s_and_not1_b32 s16, s16, exec_lo
	s_branch .LBB184_57
.LBB184_72:
	s_or_b32 exec_lo, exec_lo, s8
	s_ashr_i32 s15, s14, 31
	s_mov_b32 s4, exec_lo
	s_lshl_b64 s[0:1], s[14:15], 3
	s_delay_alu instid0(SALU_CYCLE_1) | instskip(SKIP_4) | instid1(SALU_CYCLE_1)
	s_add_u32 s0, s10, s0
	s_addc_u32 s1, s11, s1
	s_load_b128 s[0:3], s[0:1], 0x0
	s_waitcnt lgkmcnt(0)
	s_sub_i32 s3, s2, s0
	v_cmpx_gt_i32_e64 s3, v0
	s_cbranch_execz .LBB184_82
; %bb.73:
	s_sub_u32 s4, s0, s26
	s_subb_u32 s5, s1, 0
	s_sub_i32 s0, s0, s2
	s_and_b32 s1, s3, 7
	s_cmp_lt_u32 s0, -7
	s_mov_b32 s8, 0
	s_cselect_b32 s2, -1, 0
	s_and_b32 s6, s3, -8
	s_cmp_lg_u32 s1, 0
	s_cselect_b32 s7, -1, 0
	s_branch .LBB184_75
.LBB184_74:                             ;   in Loop: Header=BB184_75 Depth=1
	s_delay_alu instid0(VALU_DEP_1) | instskip(SKIP_1) | instid1(VALU_DEP_1)
	v_lshlrev_b64 v[3:4], 3, v[3:4]
	v_add_nc_u32_e32 v0, 0x100, v0
	v_cmp_le_i32_e32 vcc_lo, s3, v0
	s_delay_alu instid0(VALU_DEP_3) | instskip(NEXT) | instid1(VALU_DEP_1)
	v_add_co_u32 v3, s0, s12, v3
	v_add_co_ci_u32_e64 v4, s0, s13, v4, s0
	s_or_b32 s8, vcc_lo, s8
	s_waitcnt lgkmcnt(0)
	global_store_b64 v[3:4], v[1:2], off
	s_and_not1_b32 exec_lo, exec_lo, s8
	s_cbranch_execz .LBB184_82
.LBB184_75:                             ; =>This Loop Header: Depth=1
                                        ;     Child Loop BB184_77 Depth 2
                                        ;     Child Loop BB184_81 Depth 2
	v_lshlrev_b32_e32 v1, 2, v0
	v_dual_mov_b32 v3, s4 :: v_dual_mov_b32 v4, s5
	s_and_not1_b32 vcc_lo, exec_lo, s2
	s_mov_b32 s0, 0
	s_delay_alu instid0(VALU_DEP_2) | instskip(NEXT) | instid1(VALU_DEP_1)
	v_add_nc_u32_e32 v2, 0, v1
	v_add_nc_u32_e32 v1, v2, v1
	ds_load_b32 v5, v2
	ds_load_b64 v[1:2], v1 offset:2048
	s_cbranch_vccnz .LBB184_79
; %bb.76:                               ;   in Loop: Header=BB184_75 Depth=1
	v_dual_mov_b32 v3, s4 :: v_dual_mov_b32 v4, s5
	s_mov_b32 s9, 0
	s_mov_b32 s10, 0
.LBB184_77:                             ;   Parent Loop BB184_75 Depth=1
                                        ; =>  This Inner Loop Header: Depth=2
	s_delay_alu instid0(SALU_CYCLE_1)
	v_mov_b32_e32 v12, s10
	s_add_i32 s9, s9, 8
	s_add_i32 s10, s10, 32
	s_cmp_eq_u32 s6, s9
	ds_load_2addr_b32 v[6:7], v12 offset1:1
	ds_load_2addr_b32 v[8:9], v12 offset0:2 offset1:3
	ds_load_2addr_b32 v[10:11], v12 offset0:4 offset1:5
	;; [unrolled: 1-line block ×3, first 2 shown]
	s_waitcnt lgkmcnt(3)
	v_cmp_gt_i32_e32 vcc_lo, v5, v6
	v_cndmask_b32_e64 v6, 0, 1, vcc_lo
	v_cmp_gt_i32_e32 vcc_lo, v5, v7
	v_cndmask_b32_e64 v7, 0, 1, vcc_lo
	s_waitcnt lgkmcnt(2)
	v_cmp_gt_i32_e32 vcc_lo, v5, v8
	v_cndmask_b32_e64 v8, 0, 1, vcc_lo
	v_cmp_gt_i32_e32 vcc_lo, v5, v9
	v_cndmask_b32_e64 v9, 0, 1, vcc_lo
	s_waitcnt lgkmcnt(1)
	v_cmp_gt_i32_e32 vcc_lo, v5, v10
	v_cndmask_b32_e64 v10, 0, 1, vcc_lo
	v_add_co_u32 v3, vcc_lo, v3, v6
	v_add_co_ci_u32_e32 v4, vcc_lo, 0, v4, vcc_lo
	v_cmp_gt_i32_e32 vcc_lo, v5, v11
	s_delay_alu instid0(VALU_DEP_3) | instskip(NEXT) | instid1(VALU_DEP_1)
	v_add_co_u32 v3, s0, v3, v7
	v_add_co_ci_u32_e64 v4, s0, 0, v4, s0
	v_cndmask_b32_e64 v6, 0, 1, vcc_lo
	s_delay_alu instid0(VALU_DEP_3) | instskip(NEXT) | instid1(VALU_DEP_3)
	v_add_co_u32 v3, vcc_lo, v3, v8
	v_add_co_ci_u32_e32 v4, vcc_lo, 0, v4, vcc_lo
	s_waitcnt lgkmcnt(0)
	v_cmp_gt_i32_e32 vcc_lo, v5, v12
	s_delay_alu instid0(VALU_DEP_3) | instskip(NEXT) | instid1(VALU_DEP_1)
	v_add_co_u32 v3, s0, v3, v9
	v_add_co_ci_u32_e64 v4, s0, 0, v4, s0
	v_cndmask_b32_e64 v7, 0, 1, vcc_lo
	s_delay_alu instid0(VALU_DEP_3) | instskip(NEXT) | instid1(VALU_DEP_3)
	v_add_co_u32 v3, vcc_lo, v3, v10
	v_add_co_ci_u32_e32 v4, vcc_lo, 0, v4, vcc_lo
	v_cmp_gt_i32_e32 vcc_lo, v5, v13
	s_delay_alu instid0(VALU_DEP_3) | instskip(NEXT) | instid1(VALU_DEP_1)
	v_add_co_u32 v3, s0, v3, v6
	v_add_co_ci_u32_e64 v4, s0, 0, v4, s0
	v_cndmask_b32_e64 v6, 0, 1, vcc_lo
	s_delay_alu instid0(VALU_DEP_3) | instskip(NEXT) | instid1(VALU_DEP_3)
	v_add_co_u32 v3, vcc_lo, v3, v7
	v_add_co_ci_u32_e32 v4, vcc_lo, 0, v4, vcc_lo
	s_delay_alu instid0(VALU_DEP_2) | instskip(NEXT) | instid1(VALU_DEP_2)
	v_add_co_u32 v3, vcc_lo, v3, v6
	v_add_co_ci_u32_e32 v4, vcc_lo, 0, v4, vcc_lo
	s_cbranch_scc0 .LBB184_77
; %bb.78:                               ;   in Loop: Header=BB184_75 Depth=1
	s_mov_b32 s0, s6
.LBB184_79:                             ;   in Loop: Header=BB184_75 Depth=1
	s_and_not1_b32 vcc_lo, exec_lo, s7
	s_cbranch_vccnz .LBB184_74
; %bb.80:                               ;   in Loop: Header=BB184_75 Depth=1
	s_lshl_b32 s0, s0, 2
	s_mov_b32 s9, s1
	s_add_i32 s0, s0, 0
.LBB184_81:                             ;   Parent Loop BB184_75 Depth=1
                                        ; =>  This Inner Loop Header: Depth=2
	s_delay_alu instid0(SALU_CYCLE_1)
	v_mov_b32_e32 v6, s0
	s_add_i32 s9, s9, -1
	s_add_i32 s0, s0, 4
	s_cmp_lg_u32 s9, 0
	ds_load_b32 v6, v6
	s_waitcnt lgkmcnt(0)
	v_cmp_gt_i32_e32 vcc_lo, v5, v6
	v_cndmask_b32_e64 v6, 0, 1, vcc_lo
	s_delay_alu instid0(VALU_DEP_1)
	v_add_co_u32 v3, vcc_lo, v3, v6
	v_add_co_ci_u32_e32 v4, vcc_lo, 0, v4, vcc_lo
	s_cbranch_scc1 .LBB184_81
	s_branch .LBB184_74
.LBB184_82:
	s_nop 0
	s_sendmsg sendmsg(MSG_DEALLOC_VGPRS)
	s_endpgm
	.section	.rodata,"a",@progbits
	.p2align	6, 0x0
	.amdhsa_kernel _ZN9rocsparseL41csrgemm_numeric_fill_block_per_row_kernelILj256ELj32ELj512ELj137ELj32ElidEEvT5_PKS1_S3_NS_24const_host_device_scalarIT6_EEPKT4_S3_PKS5_S9_S3_SB_S6_S9_S3_SB_S9_S3_PS5_21rocsparse_index_base_SD_SD_SD_bbb
		.amdhsa_group_segment_fixed_size 0
		.amdhsa_private_segment_fixed_size 0
		.amdhsa_kernarg_size 156
		.amdhsa_user_sgpr_count 15
		.amdhsa_user_sgpr_dispatch_ptr 0
		.amdhsa_user_sgpr_queue_ptr 0
		.amdhsa_user_sgpr_kernarg_segment_ptr 1
		.amdhsa_user_sgpr_dispatch_id 0
		.amdhsa_user_sgpr_private_segment_size 0
		.amdhsa_wavefront_size32 1
		.amdhsa_uses_dynamic_stack 0
		.amdhsa_enable_private_segment 0
		.amdhsa_system_sgpr_workgroup_id_x 1
		.amdhsa_system_sgpr_workgroup_id_y 0
		.amdhsa_system_sgpr_workgroup_id_z 0
		.amdhsa_system_sgpr_workgroup_info 0
		.amdhsa_system_vgpr_workitem_id 0
		.amdhsa_next_free_vgpr 28
		.amdhsa_next_free_sgpr 42
		.amdhsa_reserve_vcc 1
		.amdhsa_float_round_mode_32 0
		.amdhsa_float_round_mode_16_64 0
		.amdhsa_float_denorm_mode_32 3
		.amdhsa_float_denorm_mode_16_64 3
		.amdhsa_dx10_clamp 1
		.amdhsa_ieee_mode 1
		.amdhsa_fp16_overflow 0
		.amdhsa_workgroup_processor_mode 1
		.amdhsa_memory_ordered 1
		.amdhsa_forward_progress 0
		.amdhsa_shared_vgpr_count 0
		.amdhsa_exception_fp_ieee_invalid_op 0
		.amdhsa_exception_fp_denorm_src 0
		.amdhsa_exception_fp_ieee_div_zero 0
		.amdhsa_exception_fp_ieee_overflow 0
		.amdhsa_exception_fp_ieee_underflow 0
		.amdhsa_exception_fp_ieee_inexact 0
		.amdhsa_exception_int_div_zero 0
	.end_amdhsa_kernel
	.section	.text._ZN9rocsparseL41csrgemm_numeric_fill_block_per_row_kernelILj256ELj32ELj512ELj137ELj32ElidEEvT5_PKS1_S3_NS_24const_host_device_scalarIT6_EEPKT4_S3_PKS5_S9_S3_SB_S6_S9_S3_SB_S9_S3_PS5_21rocsparse_index_base_SD_SD_SD_bbb,"axG",@progbits,_ZN9rocsparseL41csrgemm_numeric_fill_block_per_row_kernelILj256ELj32ELj512ELj137ELj32ElidEEvT5_PKS1_S3_NS_24const_host_device_scalarIT6_EEPKT4_S3_PKS5_S9_S3_SB_S6_S9_S3_SB_S9_S3_PS5_21rocsparse_index_base_SD_SD_SD_bbb,comdat
.Lfunc_end184:
	.size	_ZN9rocsparseL41csrgemm_numeric_fill_block_per_row_kernelILj256ELj32ELj512ELj137ELj32ElidEEvT5_PKS1_S3_NS_24const_host_device_scalarIT6_EEPKT4_S3_PKS5_S9_S3_SB_S6_S9_S3_SB_S9_S3_PS5_21rocsparse_index_base_SD_SD_SD_bbb, .Lfunc_end184-_ZN9rocsparseL41csrgemm_numeric_fill_block_per_row_kernelILj256ELj32ELj512ELj137ELj32ElidEEvT5_PKS1_S3_NS_24const_host_device_scalarIT6_EEPKT4_S3_PKS5_S9_S3_SB_S6_S9_S3_SB_S9_S3_PS5_21rocsparse_index_base_SD_SD_SD_bbb
                                        ; -- End function
	.section	.AMDGPU.csdata,"",@progbits
; Kernel info:
; codeLenInByte = 3356
; NumSgprs: 44
; NumVgprs: 28
; ScratchSize: 0
; MemoryBound: 0
; FloatMode: 240
; IeeeMode: 1
; LDSByteSize: 0 bytes/workgroup (compile time only)
; SGPRBlocks: 5
; VGPRBlocks: 3
; NumSGPRsForWavesPerEU: 44
; NumVGPRsForWavesPerEU: 28
; Occupancy: 16
; WaveLimiterHint : 1
; COMPUTE_PGM_RSRC2:SCRATCH_EN: 0
; COMPUTE_PGM_RSRC2:USER_SGPR: 15
; COMPUTE_PGM_RSRC2:TRAP_HANDLER: 0
; COMPUTE_PGM_RSRC2:TGID_X_EN: 1
; COMPUTE_PGM_RSRC2:TGID_Y_EN: 0
; COMPUTE_PGM_RSRC2:TGID_Z_EN: 0
; COMPUTE_PGM_RSRC2:TIDIG_COMP_CNT: 0
	.section	.text._ZN9rocsparseL41csrgemm_numeric_fill_block_per_row_kernelILj256ELj32ELj512ELj137ELj64ElidEEvT5_PKS1_S3_NS_24const_host_device_scalarIT6_EEPKT4_S3_PKS5_S9_S3_SB_S6_S9_S3_SB_S9_S3_PS5_21rocsparse_index_base_SD_SD_SD_bbb,"axG",@progbits,_ZN9rocsparseL41csrgemm_numeric_fill_block_per_row_kernelILj256ELj32ELj512ELj137ELj64ElidEEvT5_PKS1_S3_NS_24const_host_device_scalarIT6_EEPKT4_S3_PKS5_S9_S3_SB_S6_S9_S3_SB_S9_S3_PS5_21rocsparse_index_base_SD_SD_SD_bbb,comdat
	.globl	_ZN9rocsparseL41csrgemm_numeric_fill_block_per_row_kernelILj256ELj32ELj512ELj137ELj64ElidEEvT5_PKS1_S3_NS_24const_host_device_scalarIT6_EEPKT4_S3_PKS5_S9_S3_SB_S6_S9_S3_SB_S9_S3_PS5_21rocsparse_index_base_SD_SD_SD_bbb ; -- Begin function _ZN9rocsparseL41csrgemm_numeric_fill_block_per_row_kernelILj256ELj32ELj512ELj137ELj64ElidEEvT5_PKS1_S3_NS_24const_host_device_scalarIT6_EEPKT4_S3_PKS5_S9_S3_SB_S6_S9_S3_SB_S9_S3_PS5_21rocsparse_index_base_SD_SD_SD_bbb
	.p2align	8
	.type	_ZN9rocsparseL41csrgemm_numeric_fill_block_per_row_kernelILj256ELj32ELj512ELj137ELj64ElidEEvT5_PKS1_S3_NS_24const_host_device_scalarIT6_EEPKT4_S3_PKS5_S9_S3_SB_S6_S9_S3_SB_S9_S3_PS5_21rocsparse_index_base_SD_SD_SD_bbb,@function
_ZN9rocsparseL41csrgemm_numeric_fill_block_per_row_kernelILj256ELj32ELj512ELj137ELj64ElidEEvT5_PKS1_S3_NS_24const_host_device_scalarIT6_EEPKT4_S3_PKS5_S9_S3_SB_S6_S9_S3_SB_S9_S3_PS5_21rocsparse_index_base_SD_SD_SD_bbb: ; @_ZN9rocsparseL41csrgemm_numeric_fill_block_per_row_kernelILj256ELj32ELj512ELj137ELj64ElidEEvT5_PKS1_S3_NS_24const_host_device_scalarIT6_EEPKT4_S3_PKS5_S9_S3_SB_S6_S9_S3_SB_S9_S3_PS5_21rocsparse_index_base_SD_SD_SD_bbb
; %bb.0:
	s_clause 0x2
	s_load_b32 s6, s[0:1], 0x98
	s_load_b64 s[4:5], s[0:1], 0x18
	s_load_b64 s[2:3], s[0:1], 0x50
	s_waitcnt lgkmcnt(0)
	s_and_b32 s8, 1, s6
	s_bitcmp1_b32 s6, 16
	s_cselect_b32 s7, -1, 0
	s_cmp_eq_u32 s8, 1
	s_cselect_b32 s35, -1, 0
	s_delay_alu instid0(SALU_CYCLE_1)
	s_and_b32 s8, s35, exec_lo
	s_cselect_b32 s9, s5, 0
	s_cselect_b32 s8, s4, 0
	s_xor_b32 s10, s35, -1
	v_dual_mov_b32 v3, s8 :: v_dual_mov_b32 v4, s9
	s_or_b32 s10, s10, s7
	s_delay_alu instid0(SALU_CYCLE_1)
	s_and_b32 vcc_lo, exec_lo, s10
	s_cbranch_vccnz .LBB185_2
; %bb.1:
	v_dual_mov_b32 v1, s4 :: v_dual_mov_b32 v2, s5
	flat_load_b64 v[3:4], v[1:2]
.LBB185_2:
	s_load_b128 s[24:27], s[0:1], 0x88
	s_bitcmp1_b32 s6, 8
	s_cselect_b32 s34, -1, 0
	s_delay_alu instid0(SALU_CYCLE_1)
	s_and_b32 s4, s34, exec_lo
	s_cselect_b32 s5, s3, 0
	s_cselect_b32 s4, s2, 0
	s_xor_b32 s6, s34, -1
	v_dual_mov_b32 v1, s4 :: v_dual_mov_b32 v2, s5
	s_or_b32 s6, s6, s7
	s_delay_alu instid0(SALU_CYCLE_1)
	s_and_b32 vcc_lo, exec_lo, s6
	s_cbranch_vccnz .LBB185_4
; %bb.3:
	v_dual_mov_b32 v1, s2 :: v_dual_mov_b32 v2, s3
	flat_load_b64 v[1:2], v[1:2]
.LBB185_4:
	s_clause 0x5
	s_load_b64 s[12:13], s[0:1], 0x80
	s_load_b256 s[4:11], s[0:1], 0x58
	s_load_b128 s[28:31], s[0:1], 0x40
	s_load_b256 s[16:23], s[0:1], 0x20
	s_load_b128 s[36:39], s[0:1], 0x8
	s_load_b32 s33, s[0:1], 0x0
	v_cmp_gt_u32_e64 s0, 0x200, v0
	v_lshlrev_b32_e32 v19, 3, v0
	v_or_b32_e32 v17, 0xffffff00, v0
	v_lshl_add_u32 v18, v0, 2, 0
	s_delay_alu instid0(VALU_DEP_4)
	s_and_saveexec_b32 s1, s0
	s_cbranch_execz .LBB185_7
; %bb.5:
	s_waitcnt lgkmcnt(0)
	v_dual_mov_b32 v5, 0 :: v_dual_mov_b32 v10, s33
	v_add3_u32 v7, v19, 0, 0x800
	v_or_b32_e32 v8, 0xffffff00, v0
	v_lshl_add_u32 v9, v0, 2, 0
	s_delay_alu instid0(VALU_DEP_4)
	v_mov_b32_e32 v6, v5
	s_mov_b32 s2, 0
.LBB185_6:                              ; =>This Inner Loop Header: Depth=1
	s_delay_alu instid0(VALU_DEP_3) | instskip(NEXT) | instid1(VALU_DEP_1)
	v_add_co_u32 v8, s3, 0x100, v8
	s_xor_b32 s3, s3, -1
	ds_store_b32 v9, v10
	ds_store_b64 v7, v[5:6]
	v_add_nc_u32_e32 v7, 0x800, v7
	v_add_nc_u32_e32 v9, 0x400, v9
	s_and_b32 s3, exec_lo, s3
	s_delay_alu instid0(SALU_CYCLE_1) | instskip(NEXT) | instid1(SALU_CYCLE_1)
	s_or_b32 s2, s3, s2
	s_and_not1_b32 exec_lo, exec_lo, s2
	s_cbranch_execnz .LBB185_6
.LBB185_7:
	s_or_b32 exec_lo, exec_lo, s1
	s_waitcnt vmcnt(0) lgkmcnt(0)
	s_barrier
	buffer_gl0_inv
	s_load_b32 s1, s[36:37], 0x0
	s_mov_b32 s3, 0
	s_waitcnt lgkmcnt(0)
	s_add_i32 s2, s1, s15
	s_delay_alu instid0(SALU_CYCLE_1) | instskip(NEXT) | instid1(SALU_CYCLE_1)
	s_lshl_b64 s[2:3], s[2:3], 2
	s_add_u32 s2, s38, s2
	s_addc_u32 s3, s39, s3
	s_and_b32 vcc_lo, exec_lo, s35
	s_load_b32 s14, s[2:3], 0x0
	s_cbranch_vccz .LBB185_31
; %bb.8:
	s_waitcnt lgkmcnt(0)
	s_ashr_i32 s15, s14, 31
	v_lshrrev_b32_e32 v5, 5, v0
	s_lshl_b64 s[2:3], s[14:15], 3
	s_delay_alu instid0(SALU_CYCLE_1) | instskip(SKIP_1) | instid1(VALU_DEP_1)
	s_add_u32 s2, s16, s2
	s_addc_u32 s3, s17, s3
	v_sub_co_u32 v5, s1, v5, s24
	s_load_b128 s[36:39], s[2:3], 0x0
	v_sub_co_ci_u32_e64 v6, null, 0, 0, s1
	s_mov_b32 s1, exec_lo
	s_waitcnt lgkmcnt(0)
	v_add_co_u32 v5, vcc_lo, s36, v5
	s_delay_alu instid0(VALU_DEP_2)
	v_add_co_ci_u32_e32 v6, vcc_lo, s37, v6, vcc_lo
	s_sub_u32 s2, s38, s24
	s_subb_u32 s3, s39, 0
	s_delay_alu instid0(VALU_DEP_1) | instid1(SALU_CYCLE_1)
	v_cmpx_gt_i64_e64 s[2:3], v[5:6]
	s_cbranch_execz .LBB185_30
; %bb.9:
	v_and_b32_e32 v7, 31, v0
	s_mov_b32 s16, s25
	s_delay_alu instid0(VALU_DEP_1) | instskip(NEXT) | instid1(VALU_DEP_1)
	v_sub_co_u32 v20, s15, v7, s25
	v_sub_co_ci_u32_e64 v21, null, 0, 0, s15
	s_mov_b32 s15, 0
	s_branch .LBB185_11
.LBB185_10:                             ;   in Loop: Header=BB185_11 Depth=1
	s_or_b32 exec_lo, exec_lo, s17
	v_add_co_u32 v5, vcc_lo, v5, 8
	v_add_co_ci_u32_e32 v6, vcc_lo, 0, v6, vcc_lo
	s_delay_alu instid0(VALU_DEP_1) | instskip(SKIP_1) | instid1(SALU_CYCLE_1)
	v_cmp_le_i64_e32 vcc_lo, s[2:3], v[5:6]
	s_or_b32 s15, vcc_lo, s15
	s_and_not1_b32 exec_lo, exec_lo, s15
	s_cbranch_execz .LBB185_30
.LBB185_11:                             ; =>This Loop Header: Depth=1
                                        ;     Child Loop BB185_14 Depth 2
                                        ;       Child Loop BB185_16 Depth 3
                                        ;         Child Loop BB185_22 Depth 4
                                        ;         Child Loop BB185_28 Depth 4
	v_lshlrev_b64 v[7:8], 2, v[5:6]
	s_mov_b32 s17, exec_lo
	s_delay_alu instid0(VALU_DEP_1) | instskip(NEXT) | instid1(VALU_DEP_2)
	v_add_co_u32 v7, vcc_lo, s18, v7
	v_add_co_ci_u32_e32 v8, vcc_lo, s19, v8, vcc_lo
	global_load_b32 v7, v[7:8], off
	s_waitcnt vmcnt(0)
	v_subrev_nc_u32_e32 v7, s24, v7
	s_delay_alu instid0(VALU_DEP_1) | instskip(NEXT) | instid1(VALU_DEP_1)
	v_ashrrev_i32_e32 v8, 31, v7
	v_lshlrev_b64 v[7:8], 3, v[7:8]
	s_delay_alu instid0(VALU_DEP_1) | instskip(NEXT) | instid1(VALU_DEP_2)
	v_add_co_u32 v7, vcc_lo, s22, v7
	v_add_co_ci_u32_e32 v8, vcc_lo, s23, v8, vcc_lo
	global_load_b128 v[9:12], v[7:8], off
	s_waitcnt vmcnt(0)
	v_sub_co_u32 v7, vcc_lo, v11, s16
	v_subrev_co_ci_u32_e32 v8, vcc_lo, 0, v12, vcc_lo
	v_add_co_u32 v9, vcc_lo, v9, v20
	v_add_co_ci_u32_e32 v10, vcc_lo, v10, v21, vcc_lo
	s_delay_alu instid0(VALU_DEP_1)
	v_cmpx_lt_i64_e64 v[9:10], v[7:8]
	s_cbranch_execz .LBB185_10
; %bb.12:                               ;   in Loop: Header=BB185_11 Depth=1
	v_lshlrev_b64 v[11:12], 3, v[5:6]
	s_mov_b32 s35, 0
	s_delay_alu instid0(VALU_DEP_1) | instskip(NEXT) | instid1(VALU_DEP_2)
	v_add_co_u32 v11, vcc_lo, s20, v11
	v_add_co_ci_u32_e32 v12, vcc_lo, s21, v12, vcc_lo
	global_load_b64 v[11:12], v[11:12], off
	s_waitcnt vmcnt(0)
	v_mul_f64 v[11:12], v[3:4], v[11:12]
	s_branch .LBB185_14
.LBB185_13:                             ;   in Loop: Header=BB185_14 Depth=2
	s_or_b32 exec_lo, exec_lo, s36
	v_add_co_u32 v9, vcc_lo, v9, 32
	v_add_co_ci_u32_e32 v10, vcc_lo, 0, v10, vcc_lo
	s_delay_alu instid0(VALU_DEP_1) | instskip(SKIP_1) | instid1(SALU_CYCLE_1)
	v_cmp_ge_i64_e32 vcc_lo, v[9:10], v[7:8]
	s_or_b32 s35, vcc_lo, s35
	s_and_not1_b32 exec_lo, exec_lo, s35
	s_cbranch_execz .LBB185_10
.LBB185_14:                             ;   Parent Loop BB185_11 Depth=1
                                        ; =>  This Loop Header: Depth=2
                                        ;       Child Loop BB185_16 Depth 3
                                        ;         Child Loop BB185_22 Depth 4
                                        ;         Child Loop BB185_28 Depth 4
	v_lshlrev_b64 v[13:14], 3, v[9:10]
	v_lshlrev_b64 v[15:16], 2, v[9:10]
	s_mov_b32 s36, 0
	s_delay_alu instid0(VALU_DEP_2) | instskip(NEXT) | instid1(VALU_DEP_3)
	v_add_co_u32 v13, vcc_lo, s30, v13
	v_add_co_ci_u32_e32 v14, vcc_lo, s31, v14, vcc_lo
	s_delay_alu instid0(VALU_DEP_3) | instskip(NEXT) | instid1(VALU_DEP_4)
	v_add_co_u32 v15, vcc_lo, s28, v15
	v_add_co_ci_u32_e32 v16, vcc_lo, s29, v16, vcc_lo
	global_load_b64 v[13:14], v[13:14], off
	global_load_b32 v15, v[15:16], off
	s_waitcnt vmcnt(1)
	v_mul_f64 v[13:14], v[11:12], v[13:14]
	s_waitcnt vmcnt(0)
	v_subrev_nc_u32_e32 v22, s25, v15
	s_delay_alu instid0(VALU_DEP_1) | instskip(NEXT) | instid1(VALU_DEP_1)
	v_mul_lo_u32 v15, 0x89, v22
	v_and_b32_e32 v23, 0x1ff, v15
	s_branch .LBB185_16
.LBB185_15:                             ;   in Loop: Header=BB185_16 Depth=3
	s_or_b32 exec_lo, exec_lo, s37
	s_xor_b32 s37, s38, -1
	s_delay_alu instid0(SALU_CYCLE_1) | instskip(NEXT) | instid1(SALU_CYCLE_1)
	s_and_b32 s37, exec_lo, s37
	s_or_b32 s36, s37, s36
	s_delay_alu instid0(SALU_CYCLE_1)
	s_and_not1_b32 exec_lo, exec_lo, s36
	s_cbranch_execz .LBB185_13
.LBB185_16:                             ;   Parent Loop BB185_11 Depth=1
                                        ;     Parent Loop BB185_14 Depth=2
                                        ; =>    This Loop Header: Depth=3
                                        ;         Child Loop BB185_22 Depth 4
                                        ;         Child Loop BB185_28 Depth 4
	s_delay_alu instid0(VALU_DEP_1)
	v_lshl_add_u32 v15, v23, 2, 0
	s_mov_b32 s37, exec_lo
                                        ; implicit-def: $sgpr38
	ds_load_b32 v16, v15
	s_waitcnt lgkmcnt(0)
	v_cmpx_ne_u32_e64 v16, v22
	s_xor_b32 s37, exec_lo, s37
	s_cbranch_execz .LBB185_26
; %bb.17:                               ;   in Loop: Header=BB185_16 Depth=3
	s_mov_b32 s39, exec_lo
                                        ; implicit-def: $sgpr38
	v_cmpx_ne_u32_e64 s33, v16
	s_xor_b32 s39, exec_lo, s39
; %bb.18:                               ;   in Loop: Header=BB185_16 Depth=3
	v_add_nc_u32_e32 v15, 1, v23
	s_mov_b32 s38, -1
	s_delay_alu instid0(VALU_DEP_1)
	v_and_b32_e32 v23, 0x1ff, v15
                                        ; implicit-def: $vgpr15
; %bb.19:                               ;   in Loop: Header=BB185_16 Depth=3
	s_and_not1_saveexec_b32 s39, s39
	s_cbranch_execz .LBB185_25
; %bb.20:                               ;   in Loop: Header=BB185_16 Depth=3
	v_mov_b32_e32 v16, s33
	s_mov_b32 s41, -1
	s_mov_b32 s40, exec_lo
	ds_cmpstore_rtn_b32 v16, v15, v22, v16
	s_waitcnt lgkmcnt(0)
	v_cmpx_eq_u32_e64 s33, v16
	s_cbranch_execz .LBB185_24
; %bb.21:                               ;   in Loop: Header=BB185_16 Depth=3
	v_lshlrev_b32_e32 v16, 2, v23
	s_mov_b32 s41, 0
	s_delay_alu instid0(VALU_DEP_1)
	v_add_nc_u32_e32 v24, v15, v16
	ds_load_b64 v[15:16], v24 offset:2048
.LBB185_22:                             ;   Parent Loop BB185_11 Depth=1
                                        ;     Parent Loop BB185_14 Depth=2
                                        ;       Parent Loop BB185_16 Depth=3
                                        ; =>      This Inner Loop Header: Depth=4
	s_waitcnt lgkmcnt(0)
	v_add_f64 v[25:26], v[15:16], v[13:14]
	ds_cmpstore_rtn_b64 v[25:26], v24, v[25:26], v[15:16] offset:2048
	s_waitcnt lgkmcnt(0)
	v_cmp_eq_u64_e32 vcc_lo, v[25:26], v[15:16]
	v_dual_mov_b32 v15, v25 :: v_dual_mov_b32 v16, v26
	s_or_b32 s41, vcc_lo, s41
	s_delay_alu instid0(SALU_CYCLE_1)
	s_and_not1_b32 exec_lo, exec_lo, s41
	s_cbranch_execnz .LBB185_22
; %bb.23:                               ;   in Loop: Header=BB185_16 Depth=3
	s_or_b32 exec_lo, exec_lo, s41
	s_delay_alu instid0(SALU_CYCLE_1)
	s_xor_b32 s41, exec_lo, -1
.LBB185_24:                             ;   in Loop: Header=BB185_16 Depth=3
	s_or_b32 exec_lo, exec_lo, s40
	s_delay_alu instid0(SALU_CYCLE_1) | instskip(SKIP_1) | instid1(SALU_CYCLE_1)
	s_and_not1_b32 s38, s38, exec_lo
	s_and_b32 s40, s41, exec_lo
	s_or_b32 s38, s38, s40
.LBB185_25:                             ;   in Loop: Header=BB185_16 Depth=3
	s_or_b32 exec_lo, exec_lo, s39
	s_delay_alu instid0(SALU_CYCLE_1)
	s_and_b32 s38, s38, exec_lo
                                        ; implicit-def: $vgpr15
.LBB185_26:                             ;   in Loop: Header=BB185_16 Depth=3
	s_and_not1_saveexec_b32 s37, s37
	s_cbranch_execz .LBB185_15
; %bb.27:                               ;   in Loop: Header=BB185_16 Depth=3
	v_lshlrev_b32_e32 v16, 2, v23
	s_mov_b32 s39, 0
	s_delay_alu instid0(VALU_DEP_1)
	v_add_nc_u32_e32 v24, v15, v16
	ds_load_b64 v[15:16], v24 offset:2048
.LBB185_28:                             ;   Parent Loop BB185_11 Depth=1
                                        ;     Parent Loop BB185_14 Depth=2
                                        ;       Parent Loop BB185_16 Depth=3
                                        ; =>      This Inner Loop Header: Depth=4
	s_waitcnt lgkmcnt(0)
	v_add_f64 v[25:26], v[15:16], v[13:14]
	ds_cmpstore_rtn_b64 v[25:26], v24, v[25:26], v[15:16] offset:2048
	s_waitcnt lgkmcnt(0)
	v_cmp_eq_u64_e32 vcc_lo, v[25:26], v[15:16]
	v_dual_mov_b32 v15, v25 :: v_dual_mov_b32 v16, v26
	s_or_b32 s39, vcc_lo, s39
	s_delay_alu instid0(SALU_CYCLE_1)
	s_and_not1_b32 exec_lo, exec_lo, s39
	s_cbranch_execnz .LBB185_28
; %bb.29:                               ;   in Loop: Header=BB185_16 Depth=3
	s_or_b32 exec_lo, exec_lo, s39
	s_delay_alu instid0(SALU_CYCLE_1)
	s_and_not1_b32 s38, s38, exec_lo
	s_branch .LBB185_15
.LBB185_30:
	s_or_b32 exec_lo, exec_lo, s1
.LBB185_31:
	s_delay_alu instid0(SALU_CYCLE_1)
	s_and_not1_b32 vcc_lo, exec_lo, s34
	s_cbranch_vccnz .LBB185_34
; %bb.32:
	s_waitcnt lgkmcnt(0)
	s_ashr_i32 s15, s14, 31
	v_sub_co_u32 v3, s1, v0, s27
	s_lshl_b64 s[2:3], s[14:15], 3
	v_sub_co_ci_u32_e64 v4, null, 0, 0, s1
	s_add_u32 s2, s4, s2
	s_addc_u32 s3, s5, s3
	s_mov_b32 s4, 0
	s_load_b128 s[16:19], s[2:3], 0x0
	s_mov_b32 s1, exec_lo
	s_waitcnt lgkmcnt(0)
	v_add_co_u32 v3, vcc_lo, s16, v3
	v_add_co_ci_u32_e32 v4, vcc_lo, s17, v4, vcc_lo
	s_sub_u32 s2, s18, s27
	s_subb_u32 s3, s19, 0
	s_delay_alu instid0(VALU_DEP_1) | instid1(SALU_CYCLE_1)
	v_cmpx_gt_i64_e64 s[2:3], v[3:4]
	s_cbranch_execnz .LBB185_48
.LBB185_33:
	s_or_b32 exec_lo, exec_lo, s1
.LBB185_34:
	s_waitcnt lgkmcnt(0)
	s_barrier
	buffer_gl0_inv
	s_and_saveexec_b32 s4, s0
	s_cbranch_execz .LBB185_64
; %bb.35:
	v_mbcnt_lo_u32_b32 v1, -1, 0
	v_lshrrev_b32_e32 v2, 4, v0
	v_cmp_eq_u32_e32 vcc_lo, 0xff, v0
	v_cmp_lt_u32_e64 s0, 63, v0
	v_cmp_lt_u32_e64 s1, 0x7f, v0
	v_xor_b32_e32 v1, 63, v1
	v_dual_mov_b32 v6, 0 :: v_dual_and_b32 v3, 12, v2
	v_cmp_lt_u32_e64 s2, 0xbf, v0
	v_add3_u32 v4, v19, 0, 0x800
	s_delay_alu instid0(VALU_DEP_4) | instskip(NEXT) | instid1(VALU_DEP_4)
	v_lshrrev_b64 v[1:2], v1, -1
	v_add_nc_u32_e32 v5, 0, v3
	v_mov_b32_e32 v7, 0
	s_mov_b32 s5, 0
	s_branch .LBB185_37
.LBB185_36:                             ;   in Loop: Header=BB185_37 Depth=1
	s_or_b32 exec_lo, exec_lo, s3
	s_waitcnt lgkmcnt(0)
	s_barrier
	buffer_gl0_inv
	ds_load_b32 v2, v6 offset:6156
	v_add_co_u32 v17, s3, 0x100, v17
	s_delay_alu instid0(VALU_DEP_1) | instskip(SKIP_3) | instid1(SALU_CYCLE_1)
	s_xor_b32 s3, s3, -1
	v_add_nc_u32_e32 v4, 0x800, v4
	v_add_nc_u32_e32 v18, 0x400, v18
	s_and_b32 s3, exec_lo, s3
	s_or_b32 s5, s3, s5
	s_waitcnt lgkmcnt(0)
	v_add_nc_u32_e32 v7, v2, v7
	s_and_not1_b32 exec_lo, exec_lo, s5
	s_cbranch_execz .LBB185_64
.LBB185_37:                             ; =>This Inner Loop Header: Depth=1
	ds_load_b32 v8, v18
	ds_load_b64 v[2:3], v4
	s_waitcnt lgkmcnt(0)
	s_barrier
	buffer_gl0_inv
	v_cmp_gt_i32_e64 s3, s33, v8
	s_delay_alu instid0(VALU_DEP_1) | instskip(NEXT) | instid1(SALU_CYCLE_1)
	s_bcnt1_i32_b32 s6, s3
	v_dual_mov_b32 v10, s6 :: v_dual_and_b32 v9, s3, v1
	s_delay_alu instid0(VALU_DEP_1)
	v_bcnt_u32_b32 v9, v9, 0
	ds_store_b32 v5, v10 offset:6144
	s_waitcnt lgkmcnt(0)
	s_barrier
	buffer_gl0_inv
	s_and_saveexec_b32 s6, s0
	s_cbranch_execnz .LBB185_42
; %bb.38:                               ;   in Loop: Header=BB185_37 Depth=1
	s_or_b32 exec_lo, exec_lo, s6
	s_and_saveexec_b32 s6, s1
	s_cbranch_execnz .LBB185_43
.LBB185_39:                             ;   in Loop: Header=BB185_37 Depth=1
	s_or_b32 exec_lo, exec_lo, s6
	s_and_saveexec_b32 s6, s2
	s_cbranch_execnz .LBB185_44
.LBB185_40:                             ;   in Loop: Header=BB185_37 Depth=1
	s_or_b32 exec_lo, exec_lo, s6
	s_and_saveexec_b32 s6, s3
	s_cbranch_execnz .LBB185_45
.LBB185_41:                             ;   in Loop: Header=BB185_37 Depth=1
	s_or_b32 exec_lo, exec_lo, s6
	s_and_saveexec_b32 s3, vcc_lo
	s_cbranch_execz .LBB185_36
	s_branch .LBB185_46
.LBB185_42:                             ;   in Loop: Header=BB185_37 Depth=1
	ds_load_b32 v10, v6 offset:6144
	s_waitcnt lgkmcnt(0)
	v_add_nc_u32_e32 v9, v10, v9
	s_or_b32 exec_lo, exec_lo, s6
	s_and_saveexec_b32 s6, s1
	s_cbranch_execz .LBB185_39
.LBB185_43:                             ;   in Loop: Header=BB185_37 Depth=1
	ds_load_b32 v10, v6 offset:6148
	s_waitcnt lgkmcnt(0)
	v_add_nc_u32_e32 v9, v10, v9
	s_or_b32 exec_lo, exec_lo, s6
	s_and_saveexec_b32 s6, s2
	s_cbranch_execz .LBB185_40
.LBB185_44:                             ;   in Loop: Header=BB185_37 Depth=1
	ds_load_b32 v10, v6 offset:6152
	s_waitcnt lgkmcnt(0)
	v_add_nc_u32_e32 v9, v10, v9
	s_or_b32 exec_lo, exec_lo, s6
	s_and_saveexec_b32 s6, s3
	s_cbranch_execz .LBB185_41
.LBB185_45:                             ;   in Loop: Header=BB185_37 Depth=1
	s_delay_alu instid0(VALU_DEP_1) | instskip(NEXT) | instid1(VALU_DEP_1)
	v_add3_u32 v10, v7, -1, v9
	v_lshl_add_u32 v11, v10, 2, 0
	v_lshl_add_u32 v10, v10, 3, 0
	ds_store_b32 v11, v8
	ds_store_b64 v10, v[2:3] offset:2048
	s_or_b32 exec_lo, exec_lo, s6
	s_and_saveexec_b32 s3, vcc_lo
	s_cbranch_execz .LBB185_36
.LBB185_46:                             ;   in Loop: Header=BB185_37 Depth=1
	ds_store_b32 v6, v9 offset:6156
	s_branch .LBB185_36
.LBB185_47:                             ;   in Loop: Header=BB185_48 Depth=1
	s_or_b32 exec_lo, exec_lo, s5
	v_add_co_u32 v3, vcc_lo, 0x100, v3
	v_add_co_ci_u32_e32 v4, vcc_lo, 0, v4, vcc_lo
	s_delay_alu instid0(VALU_DEP_1) | instskip(SKIP_1) | instid1(SALU_CYCLE_1)
	v_cmp_le_i64_e32 vcc_lo, s[2:3], v[3:4]
	s_or_b32 s4, vcc_lo, s4
	s_and_not1_b32 exec_lo, exec_lo, s4
	s_cbranch_execz .LBB185_33
.LBB185_48:                             ; =>This Loop Header: Depth=1
                                        ;     Child Loop BB185_50 Depth 2
                                        ;       Child Loop BB185_56 Depth 3
                                        ;       Child Loop BB185_62 Depth 3
	v_lshlrev_b64 v[5:6], 3, v[3:4]
	v_lshlrev_b64 v[7:8], 2, v[3:4]
	s_mov_b32 s5, 0
	s_delay_alu instid0(VALU_DEP_2) | instskip(NEXT) | instid1(VALU_DEP_3)
	v_add_co_u32 v5, vcc_lo, s8, v5
	v_add_co_ci_u32_e32 v6, vcc_lo, s9, v6, vcc_lo
	s_delay_alu instid0(VALU_DEP_3) | instskip(NEXT) | instid1(VALU_DEP_4)
	v_add_co_u32 v7, vcc_lo, s6, v7
	v_add_co_ci_u32_e32 v8, vcc_lo, s7, v8, vcc_lo
	global_load_b64 v[5:6], v[5:6], off
	global_load_b32 v7, v[7:8], off
	s_waitcnt vmcnt(1)
	v_mul_f64 v[5:6], v[1:2], v[5:6]
	s_waitcnt vmcnt(0)
	v_subrev_nc_u32_e32 v9, s27, v7
	s_delay_alu instid0(VALU_DEP_1) | instskip(NEXT) | instid1(VALU_DEP_1)
	v_mul_lo_u32 v7, 0x89, v9
	v_and_b32_e32 v10, 0x1ff, v7
	s_branch .LBB185_50
.LBB185_49:                             ;   in Loop: Header=BB185_50 Depth=2
	s_or_b32 exec_lo, exec_lo, s15
	s_xor_b32 s15, s16, -1
	s_delay_alu instid0(SALU_CYCLE_1) | instskip(NEXT) | instid1(SALU_CYCLE_1)
	s_and_b32 s15, exec_lo, s15
	s_or_b32 s5, s15, s5
	s_delay_alu instid0(SALU_CYCLE_1)
	s_and_not1_b32 exec_lo, exec_lo, s5
	s_cbranch_execz .LBB185_47
.LBB185_50:                             ;   Parent Loop BB185_48 Depth=1
                                        ; =>  This Loop Header: Depth=2
                                        ;       Child Loop BB185_56 Depth 3
                                        ;       Child Loop BB185_62 Depth 3
	s_delay_alu instid0(VALU_DEP_1)
	v_lshl_add_u32 v7, v10, 2, 0
	s_mov_b32 s15, exec_lo
                                        ; implicit-def: $sgpr16
	ds_load_b32 v8, v7
	s_waitcnt lgkmcnt(0)
	v_cmpx_ne_u32_e64 v8, v9
	s_xor_b32 s15, exec_lo, s15
	s_cbranch_execz .LBB185_60
; %bb.51:                               ;   in Loop: Header=BB185_50 Depth=2
	s_mov_b32 s17, exec_lo
                                        ; implicit-def: $sgpr16
	v_cmpx_ne_u32_e64 s33, v8
	s_xor_b32 s17, exec_lo, s17
; %bb.52:                               ;   in Loop: Header=BB185_50 Depth=2
	v_add_nc_u32_e32 v7, 1, v10
	s_mov_b32 s16, -1
	s_delay_alu instid0(VALU_DEP_1)
	v_and_b32_e32 v10, 0x1ff, v7
                                        ; implicit-def: $vgpr7
; %bb.53:                               ;   in Loop: Header=BB185_50 Depth=2
	s_and_not1_saveexec_b32 s17, s17
	s_cbranch_execz .LBB185_59
; %bb.54:                               ;   in Loop: Header=BB185_50 Depth=2
	v_mov_b32_e32 v8, s33
	s_mov_b32 s19, -1
	s_mov_b32 s18, exec_lo
	ds_cmpstore_rtn_b32 v8, v7, v9, v8
	s_waitcnt lgkmcnt(0)
	v_cmpx_eq_u32_e64 s33, v8
	s_cbranch_execz .LBB185_58
; %bb.55:                               ;   in Loop: Header=BB185_50 Depth=2
	v_lshlrev_b32_e32 v8, 2, v10
	s_mov_b32 s19, 0
	s_delay_alu instid0(VALU_DEP_1)
	v_add_nc_u32_e32 v11, v7, v8
	ds_load_b64 v[7:8], v11 offset:2048
.LBB185_56:                             ;   Parent Loop BB185_48 Depth=1
                                        ;     Parent Loop BB185_50 Depth=2
                                        ; =>    This Inner Loop Header: Depth=3
	s_waitcnt lgkmcnt(0)
	v_add_f64 v[12:13], v[7:8], v[5:6]
	ds_cmpstore_rtn_b64 v[12:13], v11, v[12:13], v[7:8] offset:2048
	s_waitcnt lgkmcnt(0)
	v_cmp_eq_u64_e32 vcc_lo, v[12:13], v[7:8]
	v_dual_mov_b32 v7, v12 :: v_dual_mov_b32 v8, v13
	s_or_b32 s19, vcc_lo, s19
	s_delay_alu instid0(SALU_CYCLE_1)
	s_and_not1_b32 exec_lo, exec_lo, s19
	s_cbranch_execnz .LBB185_56
; %bb.57:                               ;   in Loop: Header=BB185_50 Depth=2
	s_or_b32 exec_lo, exec_lo, s19
	s_delay_alu instid0(SALU_CYCLE_1)
	s_xor_b32 s19, exec_lo, -1
.LBB185_58:                             ;   in Loop: Header=BB185_50 Depth=2
	s_or_b32 exec_lo, exec_lo, s18
	s_delay_alu instid0(SALU_CYCLE_1) | instskip(SKIP_1) | instid1(SALU_CYCLE_1)
	s_and_not1_b32 s16, s16, exec_lo
	s_and_b32 s18, s19, exec_lo
	s_or_b32 s16, s16, s18
.LBB185_59:                             ;   in Loop: Header=BB185_50 Depth=2
	s_or_b32 exec_lo, exec_lo, s17
	s_delay_alu instid0(SALU_CYCLE_1)
	s_and_b32 s16, s16, exec_lo
                                        ; implicit-def: $vgpr7
.LBB185_60:                             ;   in Loop: Header=BB185_50 Depth=2
	s_and_not1_saveexec_b32 s15, s15
	s_cbranch_execz .LBB185_49
; %bb.61:                               ;   in Loop: Header=BB185_50 Depth=2
	v_lshlrev_b32_e32 v8, 2, v10
	s_mov_b32 s17, 0
	s_delay_alu instid0(VALU_DEP_1)
	v_add_nc_u32_e32 v11, v7, v8
	ds_load_b64 v[7:8], v11 offset:2048
.LBB185_62:                             ;   Parent Loop BB185_48 Depth=1
                                        ;     Parent Loop BB185_50 Depth=2
                                        ; =>    This Inner Loop Header: Depth=3
	s_waitcnt lgkmcnt(0)
	v_add_f64 v[12:13], v[7:8], v[5:6]
	ds_cmpstore_rtn_b64 v[12:13], v11, v[12:13], v[7:8] offset:2048
	s_waitcnt lgkmcnt(0)
	v_cmp_eq_u64_e32 vcc_lo, v[12:13], v[7:8]
	v_dual_mov_b32 v7, v12 :: v_dual_mov_b32 v8, v13
	s_or_b32 s17, vcc_lo, s17
	s_delay_alu instid0(SALU_CYCLE_1)
	s_and_not1_b32 exec_lo, exec_lo, s17
	s_cbranch_execnz .LBB185_62
; %bb.63:                               ;   in Loop: Header=BB185_50 Depth=2
	s_or_b32 exec_lo, exec_lo, s17
	s_delay_alu instid0(SALU_CYCLE_1)
	s_and_not1_b32 s16, s16, exec_lo
	s_branch .LBB185_49
.LBB185_64:
	s_or_b32 exec_lo, exec_lo, s4
	s_ashr_i32 s15, s14, 31
	s_mov_b32 s4, exec_lo
	s_lshl_b64 s[0:1], s[14:15], 3
	s_delay_alu instid0(SALU_CYCLE_1) | instskip(SKIP_4) | instid1(SALU_CYCLE_1)
	s_add_u32 s0, s10, s0
	s_addc_u32 s1, s11, s1
	s_load_b128 s[0:3], s[0:1], 0x0
	s_waitcnt lgkmcnt(0)
	s_sub_i32 s3, s2, s0
	v_cmpx_gt_i32_e64 s3, v0
	s_cbranch_execz .LBB185_74
; %bb.65:
	s_sub_u32 s4, s0, s26
	s_subb_u32 s5, s1, 0
	s_sub_i32 s0, s0, s2
	s_and_b32 s1, s3, 7
	s_cmp_lt_u32 s0, -7
	s_mov_b32 s8, 0
	s_cselect_b32 s2, -1, 0
	s_and_b32 s6, s3, -8
	s_cmp_lg_u32 s1, 0
	s_cselect_b32 s7, -1, 0
	s_branch .LBB185_67
.LBB185_66:                             ;   in Loop: Header=BB185_67 Depth=1
	s_delay_alu instid0(VALU_DEP_1) | instskip(SKIP_1) | instid1(VALU_DEP_1)
	v_lshlrev_b64 v[3:4], 3, v[3:4]
	v_add_nc_u32_e32 v0, 0x100, v0
	v_cmp_le_i32_e32 vcc_lo, s3, v0
	s_delay_alu instid0(VALU_DEP_3) | instskip(NEXT) | instid1(VALU_DEP_1)
	v_add_co_u32 v3, s0, s12, v3
	v_add_co_ci_u32_e64 v4, s0, s13, v4, s0
	s_or_b32 s8, vcc_lo, s8
	s_waitcnt lgkmcnt(0)
	global_store_b64 v[3:4], v[1:2], off
	s_and_not1_b32 exec_lo, exec_lo, s8
	s_cbranch_execz .LBB185_74
.LBB185_67:                             ; =>This Loop Header: Depth=1
                                        ;     Child Loop BB185_69 Depth 2
                                        ;     Child Loop BB185_73 Depth 2
	v_lshlrev_b32_e32 v1, 2, v0
	v_dual_mov_b32 v3, s4 :: v_dual_mov_b32 v4, s5
	s_and_not1_b32 vcc_lo, exec_lo, s2
	s_mov_b32 s0, 0
	s_delay_alu instid0(VALU_DEP_2) | instskip(NEXT) | instid1(VALU_DEP_1)
	v_add_nc_u32_e32 v2, 0, v1
	v_add_nc_u32_e32 v1, v2, v1
	ds_load_b32 v5, v2
	ds_load_b64 v[1:2], v1 offset:2048
	s_cbranch_vccnz .LBB185_71
; %bb.68:                               ;   in Loop: Header=BB185_67 Depth=1
	v_dual_mov_b32 v3, s4 :: v_dual_mov_b32 v4, s5
	s_mov_b32 s9, 0
	s_mov_b32 s10, 0
.LBB185_69:                             ;   Parent Loop BB185_67 Depth=1
                                        ; =>  This Inner Loop Header: Depth=2
	s_delay_alu instid0(SALU_CYCLE_1)
	v_mov_b32_e32 v12, s10
	s_add_i32 s9, s9, 8
	s_add_i32 s10, s10, 32
	s_cmp_eq_u32 s6, s9
	ds_load_2addr_b32 v[6:7], v12 offset1:1
	ds_load_2addr_b32 v[8:9], v12 offset0:2 offset1:3
	ds_load_2addr_b32 v[10:11], v12 offset0:4 offset1:5
	;; [unrolled: 1-line block ×3, first 2 shown]
	s_waitcnt lgkmcnt(3)
	v_cmp_gt_i32_e32 vcc_lo, v5, v6
	v_cndmask_b32_e64 v6, 0, 1, vcc_lo
	v_cmp_gt_i32_e32 vcc_lo, v5, v7
	v_cndmask_b32_e64 v7, 0, 1, vcc_lo
	s_waitcnt lgkmcnt(2)
	v_cmp_gt_i32_e32 vcc_lo, v5, v8
	v_cndmask_b32_e64 v8, 0, 1, vcc_lo
	v_cmp_gt_i32_e32 vcc_lo, v5, v9
	v_cndmask_b32_e64 v9, 0, 1, vcc_lo
	s_waitcnt lgkmcnt(1)
	v_cmp_gt_i32_e32 vcc_lo, v5, v10
	v_cndmask_b32_e64 v10, 0, 1, vcc_lo
	v_add_co_u32 v3, vcc_lo, v3, v6
	v_add_co_ci_u32_e32 v4, vcc_lo, 0, v4, vcc_lo
	v_cmp_gt_i32_e32 vcc_lo, v5, v11
	s_delay_alu instid0(VALU_DEP_3) | instskip(NEXT) | instid1(VALU_DEP_1)
	v_add_co_u32 v3, s0, v3, v7
	v_add_co_ci_u32_e64 v4, s0, 0, v4, s0
	v_cndmask_b32_e64 v6, 0, 1, vcc_lo
	s_delay_alu instid0(VALU_DEP_3) | instskip(NEXT) | instid1(VALU_DEP_3)
	v_add_co_u32 v3, vcc_lo, v3, v8
	v_add_co_ci_u32_e32 v4, vcc_lo, 0, v4, vcc_lo
	s_waitcnt lgkmcnt(0)
	v_cmp_gt_i32_e32 vcc_lo, v5, v12
	s_delay_alu instid0(VALU_DEP_3) | instskip(NEXT) | instid1(VALU_DEP_1)
	v_add_co_u32 v3, s0, v3, v9
	v_add_co_ci_u32_e64 v4, s0, 0, v4, s0
	v_cndmask_b32_e64 v7, 0, 1, vcc_lo
	s_delay_alu instid0(VALU_DEP_3) | instskip(NEXT) | instid1(VALU_DEP_3)
	v_add_co_u32 v3, vcc_lo, v3, v10
	v_add_co_ci_u32_e32 v4, vcc_lo, 0, v4, vcc_lo
	v_cmp_gt_i32_e32 vcc_lo, v5, v13
	s_delay_alu instid0(VALU_DEP_3) | instskip(NEXT) | instid1(VALU_DEP_1)
	v_add_co_u32 v3, s0, v3, v6
	v_add_co_ci_u32_e64 v4, s0, 0, v4, s0
	v_cndmask_b32_e64 v6, 0, 1, vcc_lo
	s_delay_alu instid0(VALU_DEP_3) | instskip(NEXT) | instid1(VALU_DEP_3)
	v_add_co_u32 v3, vcc_lo, v3, v7
	v_add_co_ci_u32_e32 v4, vcc_lo, 0, v4, vcc_lo
	s_delay_alu instid0(VALU_DEP_2) | instskip(NEXT) | instid1(VALU_DEP_2)
	v_add_co_u32 v3, vcc_lo, v3, v6
	v_add_co_ci_u32_e32 v4, vcc_lo, 0, v4, vcc_lo
	s_cbranch_scc0 .LBB185_69
; %bb.70:                               ;   in Loop: Header=BB185_67 Depth=1
	s_mov_b32 s0, s6
.LBB185_71:                             ;   in Loop: Header=BB185_67 Depth=1
	s_and_not1_b32 vcc_lo, exec_lo, s7
	s_cbranch_vccnz .LBB185_66
; %bb.72:                               ;   in Loop: Header=BB185_67 Depth=1
	s_lshl_b32 s0, s0, 2
	s_mov_b32 s9, s1
	s_add_i32 s0, s0, 0
.LBB185_73:                             ;   Parent Loop BB185_67 Depth=1
                                        ; =>  This Inner Loop Header: Depth=2
	s_delay_alu instid0(SALU_CYCLE_1)
	v_mov_b32_e32 v6, s0
	s_add_i32 s9, s9, -1
	s_add_i32 s0, s0, 4
	s_cmp_lg_u32 s9, 0
	ds_load_b32 v6, v6
	s_waitcnt lgkmcnt(0)
	v_cmp_gt_i32_e32 vcc_lo, v5, v6
	v_cndmask_b32_e64 v6, 0, 1, vcc_lo
	s_delay_alu instid0(VALU_DEP_1)
	v_add_co_u32 v3, vcc_lo, v3, v6
	v_add_co_ci_u32_e32 v4, vcc_lo, 0, v4, vcc_lo
	s_cbranch_scc1 .LBB185_73
	s_branch .LBB185_66
.LBB185_74:
	s_nop 0
	s_sendmsg sendmsg(MSG_DEALLOC_VGPRS)
	s_endpgm
	.section	.rodata,"a",@progbits
	.p2align	6, 0x0
	.amdhsa_kernel _ZN9rocsparseL41csrgemm_numeric_fill_block_per_row_kernelILj256ELj32ELj512ELj137ELj64ElidEEvT5_PKS1_S3_NS_24const_host_device_scalarIT6_EEPKT4_S3_PKS5_S9_S3_SB_S6_S9_S3_SB_S9_S3_PS5_21rocsparse_index_base_SD_SD_SD_bbb
		.amdhsa_group_segment_fixed_size 0
		.amdhsa_private_segment_fixed_size 0
		.amdhsa_kernarg_size 156
		.amdhsa_user_sgpr_count 15
		.amdhsa_user_sgpr_dispatch_ptr 0
		.amdhsa_user_sgpr_queue_ptr 0
		.amdhsa_user_sgpr_kernarg_segment_ptr 1
		.amdhsa_user_sgpr_dispatch_id 0
		.amdhsa_user_sgpr_private_segment_size 0
		.amdhsa_wavefront_size32 1
		.amdhsa_uses_dynamic_stack 0
		.amdhsa_enable_private_segment 0
		.amdhsa_system_sgpr_workgroup_id_x 1
		.amdhsa_system_sgpr_workgroup_id_y 0
		.amdhsa_system_sgpr_workgroup_id_z 0
		.amdhsa_system_sgpr_workgroup_info 0
		.amdhsa_system_vgpr_workitem_id 0
		.amdhsa_next_free_vgpr 27
		.amdhsa_next_free_sgpr 42
		.amdhsa_reserve_vcc 1
		.amdhsa_float_round_mode_32 0
		.amdhsa_float_round_mode_16_64 0
		.amdhsa_float_denorm_mode_32 3
		.amdhsa_float_denorm_mode_16_64 3
		.amdhsa_dx10_clamp 1
		.amdhsa_ieee_mode 1
		.amdhsa_fp16_overflow 0
		.amdhsa_workgroup_processor_mode 1
		.amdhsa_memory_ordered 1
		.amdhsa_forward_progress 0
		.amdhsa_shared_vgpr_count 0
		.amdhsa_exception_fp_ieee_invalid_op 0
		.amdhsa_exception_fp_denorm_src 0
		.amdhsa_exception_fp_ieee_div_zero 0
		.amdhsa_exception_fp_ieee_overflow 0
		.amdhsa_exception_fp_ieee_underflow 0
		.amdhsa_exception_fp_ieee_inexact 0
		.amdhsa_exception_int_div_zero 0
	.end_amdhsa_kernel
	.section	.text._ZN9rocsparseL41csrgemm_numeric_fill_block_per_row_kernelILj256ELj32ELj512ELj137ELj64ElidEEvT5_PKS1_S3_NS_24const_host_device_scalarIT6_EEPKT4_S3_PKS5_S9_S3_SB_S6_S9_S3_SB_S9_S3_PS5_21rocsparse_index_base_SD_SD_SD_bbb,"axG",@progbits,_ZN9rocsparseL41csrgemm_numeric_fill_block_per_row_kernelILj256ELj32ELj512ELj137ELj64ElidEEvT5_PKS1_S3_NS_24const_host_device_scalarIT6_EEPKT4_S3_PKS5_S9_S3_SB_S6_S9_S3_SB_S9_S3_PS5_21rocsparse_index_base_SD_SD_SD_bbb,comdat
.Lfunc_end185:
	.size	_ZN9rocsparseL41csrgemm_numeric_fill_block_per_row_kernelILj256ELj32ELj512ELj137ELj64ElidEEvT5_PKS1_S3_NS_24const_host_device_scalarIT6_EEPKT4_S3_PKS5_S9_S3_SB_S6_S9_S3_SB_S9_S3_PS5_21rocsparse_index_base_SD_SD_SD_bbb, .Lfunc_end185-_ZN9rocsparseL41csrgemm_numeric_fill_block_per_row_kernelILj256ELj32ELj512ELj137ELj64ElidEEvT5_PKS1_S3_NS_24const_host_device_scalarIT6_EEPKT4_S3_PKS5_S9_S3_SB_S6_S9_S3_SB_S9_S3_PS5_21rocsparse_index_base_SD_SD_SD_bbb
                                        ; -- End function
	.section	.AMDGPU.csdata,"",@progbits
; Kernel info:
; codeLenInByte = 3168
; NumSgprs: 44
; NumVgprs: 27
; ScratchSize: 0
; MemoryBound: 0
; FloatMode: 240
; IeeeMode: 1
; LDSByteSize: 0 bytes/workgroup (compile time only)
; SGPRBlocks: 5
; VGPRBlocks: 3
; NumSGPRsForWavesPerEU: 44
; NumVGPRsForWavesPerEU: 27
; Occupancy: 16
; WaveLimiterHint : 1
; COMPUTE_PGM_RSRC2:SCRATCH_EN: 0
; COMPUTE_PGM_RSRC2:USER_SGPR: 15
; COMPUTE_PGM_RSRC2:TRAP_HANDLER: 0
; COMPUTE_PGM_RSRC2:TGID_X_EN: 1
; COMPUTE_PGM_RSRC2:TGID_Y_EN: 0
; COMPUTE_PGM_RSRC2:TGID_Z_EN: 0
; COMPUTE_PGM_RSRC2:TIDIG_COMP_CNT: 0
	.section	.text._ZN9rocsparseL41csrgemm_numeric_fill_block_per_row_kernelILj512ELj32ELj1024ELj137ELj32ElidEEvT5_PKS1_S3_NS_24const_host_device_scalarIT6_EEPKT4_S3_PKS5_S9_S3_SB_S6_S9_S3_SB_S9_S3_PS5_21rocsparse_index_base_SD_SD_SD_bbb,"axG",@progbits,_ZN9rocsparseL41csrgemm_numeric_fill_block_per_row_kernelILj512ELj32ELj1024ELj137ELj32ElidEEvT5_PKS1_S3_NS_24const_host_device_scalarIT6_EEPKT4_S3_PKS5_S9_S3_SB_S6_S9_S3_SB_S9_S3_PS5_21rocsparse_index_base_SD_SD_SD_bbb,comdat
	.globl	_ZN9rocsparseL41csrgemm_numeric_fill_block_per_row_kernelILj512ELj32ELj1024ELj137ELj32ElidEEvT5_PKS1_S3_NS_24const_host_device_scalarIT6_EEPKT4_S3_PKS5_S9_S3_SB_S6_S9_S3_SB_S9_S3_PS5_21rocsparse_index_base_SD_SD_SD_bbb ; -- Begin function _ZN9rocsparseL41csrgemm_numeric_fill_block_per_row_kernelILj512ELj32ELj1024ELj137ELj32ElidEEvT5_PKS1_S3_NS_24const_host_device_scalarIT6_EEPKT4_S3_PKS5_S9_S3_SB_S6_S9_S3_SB_S9_S3_PS5_21rocsparse_index_base_SD_SD_SD_bbb
	.p2align	8
	.type	_ZN9rocsparseL41csrgemm_numeric_fill_block_per_row_kernelILj512ELj32ELj1024ELj137ELj32ElidEEvT5_PKS1_S3_NS_24const_host_device_scalarIT6_EEPKT4_S3_PKS5_S9_S3_SB_S6_S9_S3_SB_S9_S3_PS5_21rocsparse_index_base_SD_SD_SD_bbb,@function
_ZN9rocsparseL41csrgemm_numeric_fill_block_per_row_kernelILj512ELj32ELj1024ELj137ELj32ElidEEvT5_PKS1_S3_NS_24const_host_device_scalarIT6_EEPKT4_S3_PKS5_S9_S3_SB_S6_S9_S3_SB_S9_S3_PS5_21rocsparse_index_base_SD_SD_SD_bbb: ; @_ZN9rocsparseL41csrgemm_numeric_fill_block_per_row_kernelILj512ELj32ELj1024ELj137ELj32ElidEEvT5_PKS1_S3_NS_24const_host_device_scalarIT6_EEPKT4_S3_PKS5_S9_S3_SB_S6_S9_S3_SB_S9_S3_PS5_21rocsparse_index_base_SD_SD_SD_bbb
; %bb.0:
	s_clause 0x3
	s_load_b32 s12, s[0:1], 0x98
	s_load_b64 s[4:5], s[0:1], 0x18
	s_load_b128 s[24:27], s[0:1], 0x88
	s_load_b64 s[2:3], s[0:1], 0x50
	s_waitcnt lgkmcnt(0)
	s_and_b32 s6, 1, s12
	s_bitcmp1_b32 s12, 16
	s_cselect_b32 s14, -1, 0
	s_cmp_eq_u32 s6, 1
	s_cselect_b32 s13, -1, 0
	s_delay_alu instid0(SALU_CYCLE_1)
	s_and_b32 s6, s13, exec_lo
	s_cselect_b32 s7, s5, 0
	s_cselect_b32 s6, s4, 0
	s_xor_b32 s8, s13, -1
	v_dual_mov_b32 v3, s6 :: v_dual_mov_b32 v4, s7
	s_or_b32 s8, s8, s14
	s_delay_alu instid0(SALU_CYCLE_1)
	s_and_b32 vcc_lo, exec_lo, s8
	s_cbranch_vccnz .LBB186_2
; %bb.1:
	v_dual_mov_b32 v1, s4 :: v_dual_mov_b32 v2, s5
	flat_load_b64 v[3:4], v[1:2]
.LBB186_2:
	s_clause 0x4
	s_load_b64 s[34:35], s[0:1], 0x80
	s_load_b256 s[16:23], s[0:1], 0x58
	s_load_b128 s[28:31], s[0:1], 0x40
	s_load_b128 s[36:39], s[0:1], 0x8
	s_load_b256 s[4:11], s[0:1], 0x20
	s_bitcmp1_b32 s12, 8
	s_cselect_b32 s12, -1, 0
	s_delay_alu instid0(SALU_CYCLE_1)
	s_and_b32 s33, s12, exec_lo
	s_cselect_b32 s41, s3, 0
	s_cselect_b32 s40, s2, 0
	s_xor_b32 s33, s12, -1
	v_dual_mov_b32 v1, s40 :: v_dual_mov_b32 v2, s41
	s_or_b32 s14, s33, s14
	s_delay_alu instid0(SALU_CYCLE_1)
	s_and_b32 vcc_lo, exec_lo, s14
	s_cbranch_vccnz .LBB186_4
; %bb.3:
	v_dual_mov_b32 v1, s2 :: v_dual_mov_b32 v2, s3
	flat_load_b64 v[1:2], v[1:2]
.LBB186_4:
	s_load_b32 s33, s[0:1], 0x0
	v_dual_mov_b32 v5, 0 :: v_dual_lshlrev_b32 v6, 3, v0
	v_lshl_add_u32 v17, v0, 2, 0
	v_or_b32_e32 v18, 0xfffffe00, v0
	s_mov_b32 s0, 0
	s_delay_alu instid0(VALU_DEP_3) | instskip(SKIP_1) | instid1(VALU_DEP_3)
	v_add3_u32 v19, v6, 0, 0x1000
	v_mov_b32_e32 v6, v5
	v_dual_mov_b32 v7, v17 :: v_dual_mov_b32 v8, v18
	s_waitcnt lgkmcnt(0)
	s_delay_alu instid0(VALU_DEP_3)
	v_dual_mov_b32 v10, v19 :: v_dual_mov_b32 v9, s33
.LBB186_5:                              ; =>This Inner Loop Header: Depth=1
	s_delay_alu instid0(VALU_DEP_2) | instskip(NEXT) | instid1(VALU_DEP_1)
	v_add_co_u32 v8, s1, 0x200, v8
	s_xor_b32 s1, s1, -1
	ds_store_b32 v7, v9
	ds_store_b64 v10, v[5:6]
	v_add_nc_u32_e32 v10, 0x1000, v10
	v_add_nc_u32_e32 v7, 0x800, v7
	s_and_b32 s1, exec_lo, s1
	s_delay_alu instid0(SALU_CYCLE_1) | instskip(NEXT) | instid1(SALU_CYCLE_1)
	s_or_b32 s0, s1, s0
	s_and_not1_b32 exec_lo, exec_lo, s0
	s_cbranch_execnz .LBB186_5
; %bb.6:
	s_or_b32 exec_lo, exec_lo, s0
	s_waitcnt vmcnt(0) lgkmcnt(0)
	s_barrier
	buffer_gl0_inv
	s_load_b32 s0, s[36:37], 0x0
	s_mov_b32 s1, 0
	v_lshrrev_b32_e32 v20, 5, v0
	s_waitcnt lgkmcnt(0)
	s_add_i32 s0, s0, s15
	s_delay_alu instid0(SALU_CYCLE_1) | instskip(NEXT) | instid1(SALU_CYCLE_1)
	s_lshl_b64 s[0:1], s[0:1], 2
	s_add_u32 s0, s38, s0
	s_addc_u32 s1, s39, s1
	s_and_b32 vcc_lo, exec_lo, s13
	s_load_b32 s36, s[0:1], 0x0
	s_cbranch_vccz .LBB186_30
; %bb.7:
	s_waitcnt lgkmcnt(0)
	s_ashr_i32 s37, s36, 31
	s_delay_alu instid0(SALU_CYCLE_1) | instskip(NEXT) | instid1(SALU_CYCLE_1)
	s_lshl_b64 s[0:1], s[36:37], 3
	s_add_u32 s0, s4, s0
	s_addc_u32 s1, s5, s1
	v_sub_co_u32 v5, s4, v20, s24
	s_load_b128 s[0:3], s[0:1], 0x0
	v_sub_co_ci_u32_e64 v6, null, 0, 0, s4
	s_waitcnt lgkmcnt(0)
	s_delay_alu instid0(VALU_DEP_2) | instskip(NEXT) | instid1(VALU_DEP_2)
	v_add_co_u32 v5, vcc_lo, s0, v5
	v_add_co_ci_u32_e32 v6, vcc_lo, s1, v6, vcc_lo
	s_sub_u32 s0, s2, s24
	s_subb_u32 s1, s3, 0
	s_mov_b32 s2, exec_lo
	s_delay_alu instid0(VALU_DEP_1)
	v_cmpx_gt_i64_e64 s[0:1], v[5:6]
	s_cbranch_execz .LBB186_29
; %bb.8:
	v_and_b32_e32 v7, 31, v0
	s_mov_b32 s4, s25
	s_delay_alu instid0(VALU_DEP_1) | instskip(NEXT) | instid1(VALU_DEP_1)
	v_sub_co_u32 v21, s3, v7, s25
	v_sub_co_ci_u32_e64 v22, null, 0, 0, s3
	s_mov_b32 s3, 0
	s_branch .LBB186_10
.LBB186_9:                              ;   in Loop: Header=BB186_10 Depth=1
	s_or_b32 exec_lo, exec_lo, s5
	v_add_co_u32 v5, vcc_lo, v5, 16
	v_add_co_ci_u32_e32 v6, vcc_lo, 0, v6, vcc_lo
	s_delay_alu instid0(VALU_DEP_1) | instskip(SKIP_1) | instid1(SALU_CYCLE_1)
	v_cmp_le_i64_e32 vcc_lo, s[0:1], v[5:6]
	s_or_b32 s3, vcc_lo, s3
	s_and_not1_b32 exec_lo, exec_lo, s3
	s_cbranch_execz .LBB186_29
.LBB186_10:                             ; =>This Loop Header: Depth=1
                                        ;     Child Loop BB186_13 Depth 2
                                        ;       Child Loop BB186_15 Depth 3
                                        ;         Child Loop BB186_21 Depth 4
                                        ;         Child Loop BB186_27 Depth 4
	v_lshlrev_b64 v[7:8], 2, v[5:6]
	s_mov_b32 s5, exec_lo
	s_delay_alu instid0(VALU_DEP_1) | instskip(NEXT) | instid1(VALU_DEP_2)
	v_add_co_u32 v7, vcc_lo, s6, v7
	v_add_co_ci_u32_e32 v8, vcc_lo, s7, v8, vcc_lo
	global_load_b32 v7, v[7:8], off
	s_waitcnt vmcnt(0)
	v_subrev_nc_u32_e32 v7, s24, v7
	s_delay_alu instid0(VALU_DEP_1) | instskip(NEXT) | instid1(VALU_DEP_1)
	v_ashrrev_i32_e32 v8, 31, v7
	v_lshlrev_b64 v[7:8], 3, v[7:8]
	s_delay_alu instid0(VALU_DEP_1) | instskip(NEXT) | instid1(VALU_DEP_2)
	v_add_co_u32 v7, vcc_lo, s10, v7
	v_add_co_ci_u32_e32 v8, vcc_lo, s11, v8, vcc_lo
	global_load_b128 v[9:12], v[7:8], off
	s_waitcnt vmcnt(0)
	v_sub_co_u32 v7, vcc_lo, v11, s4
	v_subrev_co_ci_u32_e32 v8, vcc_lo, 0, v12, vcc_lo
	v_add_co_u32 v9, vcc_lo, v9, v21
	v_add_co_ci_u32_e32 v10, vcc_lo, v10, v22, vcc_lo
	s_delay_alu instid0(VALU_DEP_1)
	v_cmpx_lt_i64_e64 v[9:10], v[7:8]
	s_cbranch_execz .LBB186_9
; %bb.11:                               ;   in Loop: Header=BB186_10 Depth=1
	v_lshlrev_b64 v[11:12], 3, v[5:6]
	s_mov_b32 s13, 0
	s_delay_alu instid0(VALU_DEP_1) | instskip(NEXT) | instid1(VALU_DEP_2)
	v_add_co_u32 v11, vcc_lo, s8, v11
	v_add_co_ci_u32_e32 v12, vcc_lo, s9, v12, vcc_lo
	global_load_b64 v[11:12], v[11:12], off
	s_waitcnt vmcnt(0)
	v_mul_f64 v[11:12], v[3:4], v[11:12]
	s_branch .LBB186_13
.LBB186_12:                             ;   in Loop: Header=BB186_13 Depth=2
	s_or_b32 exec_lo, exec_lo, s14
	v_add_co_u32 v9, vcc_lo, v9, 32
	v_add_co_ci_u32_e32 v10, vcc_lo, 0, v10, vcc_lo
	s_delay_alu instid0(VALU_DEP_1) | instskip(SKIP_1) | instid1(SALU_CYCLE_1)
	v_cmp_ge_i64_e32 vcc_lo, v[9:10], v[7:8]
	s_or_b32 s13, vcc_lo, s13
	s_and_not1_b32 exec_lo, exec_lo, s13
	s_cbranch_execz .LBB186_9
.LBB186_13:                             ;   Parent Loop BB186_10 Depth=1
                                        ; =>  This Loop Header: Depth=2
                                        ;       Child Loop BB186_15 Depth 3
                                        ;         Child Loop BB186_21 Depth 4
                                        ;         Child Loop BB186_27 Depth 4
	v_lshlrev_b64 v[13:14], 3, v[9:10]
	v_lshlrev_b64 v[15:16], 2, v[9:10]
	s_mov_b32 s14, 0
	s_delay_alu instid0(VALU_DEP_2) | instskip(NEXT) | instid1(VALU_DEP_3)
	v_add_co_u32 v13, vcc_lo, s30, v13
	v_add_co_ci_u32_e32 v14, vcc_lo, s31, v14, vcc_lo
	s_delay_alu instid0(VALU_DEP_3) | instskip(NEXT) | instid1(VALU_DEP_4)
	v_add_co_u32 v15, vcc_lo, s28, v15
	v_add_co_ci_u32_e32 v16, vcc_lo, s29, v16, vcc_lo
	global_load_b64 v[13:14], v[13:14], off
	global_load_b32 v15, v[15:16], off
	s_waitcnt vmcnt(1)
	v_mul_f64 v[13:14], v[11:12], v[13:14]
	s_waitcnt vmcnt(0)
	v_subrev_nc_u32_e32 v23, s25, v15
	s_delay_alu instid0(VALU_DEP_1) | instskip(NEXT) | instid1(VALU_DEP_1)
	v_mul_lo_u32 v15, 0x89, v23
	v_and_b32_e32 v24, 0x3ff, v15
	s_branch .LBB186_15
.LBB186_14:                             ;   in Loop: Header=BB186_15 Depth=3
	s_or_b32 exec_lo, exec_lo, s15
	s_xor_b32 s15, s37, -1
	s_delay_alu instid0(SALU_CYCLE_1) | instskip(NEXT) | instid1(SALU_CYCLE_1)
	s_and_b32 s15, exec_lo, s15
	s_or_b32 s14, s15, s14
	s_delay_alu instid0(SALU_CYCLE_1)
	s_and_not1_b32 exec_lo, exec_lo, s14
	s_cbranch_execz .LBB186_12
.LBB186_15:                             ;   Parent Loop BB186_10 Depth=1
                                        ;     Parent Loop BB186_13 Depth=2
                                        ; =>    This Loop Header: Depth=3
                                        ;         Child Loop BB186_21 Depth 4
                                        ;         Child Loop BB186_27 Depth 4
	s_delay_alu instid0(VALU_DEP_1)
	v_lshl_add_u32 v15, v24, 2, 0
	s_mov_b32 s15, exec_lo
                                        ; implicit-def: $sgpr37
	ds_load_b32 v16, v15
	s_waitcnt lgkmcnt(0)
	v_cmpx_ne_u32_e64 v16, v23
	s_xor_b32 s15, exec_lo, s15
	s_cbranch_execz .LBB186_25
; %bb.16:                               ;   in Loop: Header=BB186_15 Depth=3
	s_mov_b32 s38, exec_lo
                                        ; implicit-def: $sgpr37
	v_cmpx_ne_u32_e64 s33, v16
	s_xor_b32 s38, exec_lo, s38
; %bb.17:                               ;   in Loop: Header=BB186_15 Depth=3
	v_add_nc_u32_e32 v15, 1, v24
	s_mov_b32 s37, -1
	s_delay_alu instid0(VALU_DEP_1)
	v_and_b32_e32 v24, 0x3ff, v15
                                        ; implicit-def: $vgpr15
; %bb.18:                               ;   in Loop: Header=BB186_15 Depth=3
	s_and_not1_saveexec_b32 s38, s38
	s_cbranch_execz .LBB186_24
; %bb.19:                               ;   in Loop: Header=BB186_15 Depth=3
	v_mov_b32_e32 v16, s33
	s_mov_b32 s40, -1
	s_mov_b32 s39, exec_lo
	ds_cmpstore_rtn_b32 v16, v15, v23, v16
	s_waitcnt lgkmcnt(0)
	v_cmpx_eq_u32_e64 s33, v16
	s_cbranch_execz .LBB186_23
; %bb.20:                               ;   in Loop: Header=BB186_15 Depth=3
	v_lshlrev_b32_e32 v16, 2, v24
	s_mov_b32 s40, 0
	s_delay_alu instid0(VALU_DEP_1)
	v_add_nc_u32_e32 v25, v15, v16
	ds_load_b64 v[15:16], v25 offset:4096
.LBB186_21:                             ;   Parent Loop BB186_10 Depth=1
                                        ;     Parent Loop BB186_13 Depth=2
                                        ;       Parent Loop BB186_15 Depth=3
                                        ; =>      This Inner Loop Header: Depth=4
	s_waitcnt lgkmcnt(0)
	v_add_f64 v[26:27], v[15:16], v[13:14]
	ds_cmpstore_rtn_b64 v[26:27], v25, v[26:27], v[15:16] offset:4096
	s_waitcnt lgkmcnt(0)
	v_cmp_eq_u64_e32 vcc_lo, v[26:27], v[15:16]
	v_dual_mov_b32 v15, v26 :: v_dual_mov_b32 v16, v27
	s_or_b32 s40, vcc_lo, s40
	s_delay_alu instid0(SALU_CYCLE_1)
	s_and_not1_b32 exec_lo, exec_lo, s40
	s_cbranch_execnz .LBB186_21
; %bb.22:                               ;   in Loop: Header=BB186_15 Depth=3
	s_or_b32 exec_lo, exec_lo, s40
	s_delay_alu instid0(SALU_CYCLE_1)
	s_xor_b32 s40, exec_lo, -1
.LBB186_23:                             ;   in Loop: Header=BB186_15 Depth=3
	s_or_b32 exec_lo, exec_lo, s39
	s_delay_alu instid0(SALU_CYCLE_1) | instskip(SKIP_1) | instid1(SALU_CYCLE_1)
	s_and_not1_b32 s37, s37, exec_lo
	s_and_b32 s39, s40, exec_lo
	s_or_b32 s37, s37, s39
.LBB186_24:                             ;   in Loop: Header=BB186_15 Depth=3
	s_or_b32 exec_lo, exec_lo, s38
	s_delay_alu instid0(SALU_CYCLE_1)
	s_and_b32 s37, s37, exec_lo
                                        ; implicit-def: $vgpr15
.LBB186_25:                             ;   in Loop: Header=BB186_15 Depth=3
	s_and_not1_saveexec_b32 s15, s15
	s_cbranch_execz .LBB186_14
; %bb.26:                               ;   in Loop: Header=BB186_15 Depth=3
	v_lshlrev_b32_e32 v16, 2, v24
	s_mov_b32 s38, 0
	s_delay_alu instid0(VALU_DEP_1)
	v_add_nc_u32_e32 v25, v15, v16
	ds_load_b64 v[15:16], v25 offset:4096
.LBB186_27:                             ;   Parent Loop BB186_10 Depth=1
                                        ;     Parent Loop BB186_13 Depth=2
                                        ;       Parent Loop BB186_15 Depth=3
                                        ; =>      This Inner Loop Header: Depth=4
	s_waitcnt lgkmcnt(0)
	v_add_f64 v[26:27], v[15:16], v[13:14]
	ds_cmpstore_rtn_b64 v[26:27], v25, v[26:27], v[15:16] offset:4096
	s_waitcnt lgkmcnt(0)
	v_cmp_eq_u64_e32 vcc_lo, v[26:27], v[15:16]
	v_dual_mov_b32 v15, v26 :: v_dual_mov_b32 v16, v27
	s_or_b32 s38, vcc_lo, s38
	s_delay_alu instid0(SALU_CYCLE_1)
	s_and_not1_b32 exec_lo, exec_lo, s38
	s_cbranch_execnz .LBB186_27
; %bb.28:                               ;   in Loop: Header=BB186_15 Depth=3
	s_or_b32 exec_lo, exec_lo, s38
	s_delay_alu instid0(SALU_CYCLE_1)
	s_and_not1_b32 s37, s37, exec_lo
	s_branch .LBB186_14
.LBB186_29:
	s_or_b32 exec_lo, exec_lo, s2
.LBB186_30:
	s_delay_alu instid0(SALU_CYCLE_1)
	s_and_not1_b32 vcc_lo, exec_lo, s12
	s_cbranch_vccnz .LBB186_33
; %bb.31:
	s_waitcnt lgkmcnt(0)
	s_ashr_i32 s37, s36, 31
	v_sub_co_u32 v3, s4, v0, s27
	s_lshl_b64 s[0:1], s[36:37], 3
	v_sub_co_ci_u32_e64 v4, null, 0, 0, s4
	s_add_u32 s0, s16, s0
	s_addc_u32 s1, s17, s1
	s_load_b128 s[0:3], s[0:1], 0x0
	s_waitcnt lgkmcnt(0)
	v_add_co_u32 v3, vcc_lo, s0, v3
	v_add_co_ci_u32_e32 v4, vcc_lo, s1, v4, vcc_lo
	s_sub_u32 s0, s2, s27
	s_subb_u32 s1, s3, 0
	s_mov_b32 s3, 0
	s_mov_b32 s2, exec_lo
	v_cmpx_gt_i64_e64 s[0:1], v[3:4]
	s_cbranch_execnz .LBB186_70
.LBB186_32:
	s_or_b32 exec_lo, exec_lo, s2
.LBB186_33:
	v_mbcnt_lo_u32_b32 v1, -1, 0
	v_lshl_add_u32 v4, v20, 2, 0
	v_cmp_eq_u32_e32 vcc_lo, 0x1ff, v0
	v_cmp_lt_u32_e64 s0, 31, v0
	v_cmp_lt_u32_e64 s1, 63, v0
	v_xor_b32_e32 v1, 63, v1
	v_cmp_lt_u32_e64 s2, 0x5f, v0
	v_cmp_lt_u32_e64 s3, 0x7f, v0
	;; [unrolled: 1-line block ×4, first 2 shown]
	v_lshrrev_b64 v[1:2], v1, -1
	v_cmp_lt_u32_e64 s6, 0xdf, v0
	v_cmp_lt_u32_e64 s7, 0xff, v0
	;; [unrolled: 1-line block ×9, first 2 shown]
	v_dual_mov_b32 v5, 0 :: v_dual_mov_b32 v6, 0
	s_mov_b32 s16, 0
	s_waitcnt lgkmcnt(0)
	s_barrier
	buffer_gl0_inv
	s_branch .LBB186_35
.LBB186_34:                             ;   in Loop: Header=BB186_35 Depth=1
	s_or_b32 exec_lo, exec_lo, s15
	s_waitcnt lgkmcnt(0)
	s_barrier
	buffer_gl0_inv
	ds_load_b32 v2, v5 offset:12348
	v_add_co_u32 v18, s15, 0x200, v18
	s_delay_alu instid0(VALU_DEP_1) | instskip(SKIP_3) | instid1(SALU_CYCLE_1)
	s_xor_b32 s15, s15, -1
	v_add_nc_u32_e32 v19, 0x1000, v19
	v_add_nc_u32_e32 v17, 0x800, v17
	s_and_b32 s15, exec_lo, s15
	s_or_b32 s16, s15, s16
	s_waitcnt lgkmcnt(0)
	v_add_nc_u32_e32 v6, v2, v6
	s_and_not1_b32 exec_lo, exec_lo, s16
	s_cbranch_execz .LBB186_86
.LBB186_35:                             ; =>This Inner Loop Header: Depth=1
	ds_load_b32 v7, v17
	ds_load_b64 v[2:3], v19
	s_waitcnt lgkmcnt(0)
	s_barrier
	buffer_gl0_inv
	v_cmp_gt_i32_e64 s15, s33, v7
	s_delay_alu instid0(VALU_DEP_1) | instskip(NEXT) | instid1(SALU_CYCLE_1)
	s_bcnt1_i32_b32 s17, s15
	v_dual_mov_b32 v9, s17 :: v_dual_and_b32 v8, s15, v1
	s_delay_alu instid0(VALU_DEP_1)
	v_bcnt_u32_b32 v8, v8, 0
	ds_store_b32 v4, v9 offset:12288
	s_waitcnt lgkmcnt(0)
	s_barrier
	buffer_gl0_inv
	s_and_saveexec_b32 s17, s0
	s_cbranch_execnz .LBB186_52
; %bb.36:                               ;   in Loop: Header=BB186_35 Depth=1
	s_or_b32 exec_lo, exec_lo, s17
	s_and_saveexec_b32 s17, s1
	s_cbranch_execnz .LBB186_53
.LBB186_37:                             ;   in Loop: Header=BB186_35 Depth=1
	s_or_b32 exec_lo, exec_lo, s17
	s_and_saveexec_b32 s17, s2
	s_cbranch_execnz .LBB186_54
.LBB186_38:                             ;   in Loop: Header=BB186_35 Depth=1
	s_or_b32 exec_lo, exec_lo, s17
	s_and_saveexec_b32 s17, s3
	s_cbranch_execnz .LBB186_55
.LBB186_39:                             ;   in Loop: Header=BB186_35 Depth=1
	s_or_b32 exec_lo, exec_lo, s17
	s_and_saveexec_b32 s17, s4
	s_cbranch_execnz .LBB186_56
.LBB186_40:                             ;   in Loop: Header=BB186_35 Depth=1
	s_or_b32 exec_lo, exec_lo, s17
	s_and_saveexec_b32 s17, s5
	s_cbranch_execnz .LBB186_57
.LBB186_41:                             ;   in Loop: Header=BB186_35 Depth=1
	s_or_b32 exec_lo, exec_lo, s17
	s_and_saveexec_b32 s17, s6
	s_cbranch_execnz .LBB186_58
.LBB186_42:                             ;   in Loop: Header=BB186_35 Depth=1
	s_or_b32 exec_lo, exec_lo, s17
	s_and_saveexec_b32 s17, s7
	s_cbranch_execnz .LBB186_59
.LBB186_43:                             ;   in Loop: Header=BB186_35 Depth=1
	s_or_b32 exec_lo, exec_lo, s17
	s_and_saveexec_b32 s17, s8
	s_cbranch_execnz .LBB186_60
.LBB186_44:                             ;   in Loop: Header=BB186_35 Depth=1
	s_or_b32 exec_lo, exec_lo, s17
	s_and_saveexec_b32 s17, s9
	s_cbranch_execnz .LBB186_61
.LBB186_45:                             ;   in Loop: Header=BB186_35 Depth=1
	s_or_b32 exec_lo, exec_lo, s17
	s_and_saveexec_b32 s17, s10
	s_cbranch_execnz .LBB186_62
.LBB186_46:                             ;   in Loop: Header=BB186_35 Depth=1
	s_or_b32 exec_lo, exec_lo, s17
	s_and_saveexec_b32 s17, s11
	s_cbranch_execnz .LBB186_63
.LBB186_47:                             ;   in Loop: Header=BB186_35 Depth=1
	s_or_b32 exec_lo, exec_lo, s17
	s_and_saveexec_b32 s17, s12
	s_cbranch_execnz .LBB186_64
.LBB186_48:                             ;   in Loop: Header=BB186_35 Depth=1
	s_or_b32 exec_lo, exec_lo, s17
	s_and_saveexec_b32 s17, s13
	s_cbranch_execnz .LBB186_65
.LBB186_49:                             ;   in Loop: Header=BB186_35 Depth=1
	s_or_b32 exec_lo, exec_lo, s17
	s_and_saveexec_b32 s17, s14
	s_cbranch_execnz .LBB186_66
.LBB186_50:                             ;   in Loop: Header=BB186_35 Depth=1
	s_or_b32 exec_lo, exec_lo, s17
	s_and_saveexec_b32 s17, s15
	s_cbranch_execnz .LBB186_67
.LBB186_51:                             ;   in Loop: Header=BB186_35 Depth=1
	s_or_b32 exec_lo, exec_lo, s17
	s_and_saveexec_b32 s15, vcc_lo
	s_cbranch_execz .LBB186_34
	s_branch .LBB186_68
.LBB186_52:                             ;   in Loop: Header=BB186_35 Depth=1
	ds_load_b32 v9, v5 offset:12288
	s_waitcnt lgkmcnt(0)
	v_add_nc_u32_e32 v8, v9, v8
	s_or_b32 exec_lo, exec_lo, s17
	s_and_saveexec_b32 s17, s1
	s_cbranch_execz .LBB186_37
.LBB186_53:                             ;   in Loop: Header=BB186_35 Depth=1
	ds_load_b32 v9, v5 offset:12292
	s_waitcnt lgkmcnt(0)
	v_add_nc_u32_e32 v8, v9, v8
	s_or_b32 exec_lo, exec_lo, s17
	s_and_saveexec_b32 s17, s2
	s_cbranch_execz .LBB186_38
.LBB186_54:                             ;   in Loop: Header=BB186_35 Depth=1
	ds_load_b32 v9, v5 offset:12296
	s_waitcnt lgkmcnt(0)
	v_add_nc_u32_e32 v8, v9, v8
	s_or_b32 exec_lo, exec_lo, s17
	s_and_saveexec_b32 s17, s3
	s_cbranch_execz .LBB186_39
.LBB186_55:                             ;   in Loop: Header=BB186_35 Depth=1
	ds_load_b32 v9, v5 offset:12300
	s_waitcnt lgkmcnt(0)
	v_add_nc_u32_e32 v8, v9, v8
	s_or_b32 exec_lo, exec_lo, s17
	s_and_saveexec_b32 s17, s4
	s_cbranch_execz .LBB186_40
.LBB186_56:                             ;   in Loop: Header=BB186_35 Depth=1
	ds_load_b32 v9, v5 offset:12304
	s_waitcnt lgkmcnt(0)
	v_add_nc_u32_e32 v8, v9, v8
	s_or_b32 exec_lo, exec_lo, s17
	s_and_saveexec_b32 s17, s5
	s_cbranch_execz .LBB186_41
.LBB186_57:                             ;   in Loop: Header=BB186_35 Depth=1
	ds_load_b32 v9, v5 offset:12308
	s_waitcnt lgkmcnt(0)
	v_add_nc_u32_e32 v8, v9, v8
	s_or_b32 exec_lo, exec_lo, s17
	s_and_saveexec_b32 s17, s6
	s_cbranch_execz .LBB186_42
.LBB186_58:                             ;   in Loop: Header=BB186_35 Depth=1
	ds_load_b32 v9, v5 offset:12312
	s_waitcnt lgkmcnt(0)
	v_add_nc_u32_e32 v8, v9, v8
	s_or_b32 exec_lo, exec_lo, s17
	s_and_saveexec_b32 s17, s7
	s_cbranch_execz .LBB186_43
.LBB186_59:                             ;   in Loop: Header=BB186_35 Depth=1
	ds_load_b32 v9, v5 offset:12316
	s_waitcnt lgkmcnt(0)
	v_add_nc_u32_e32 v8, v9, v8
	s_or_b32 exec_lo, exec_lo, s17
	s_and_saveexec_b32 s17, s8
	s_cbranch_execz .LBB186_44
.LBB186_60:                             ;   in Loop: Header=BB186_35 Depth=1
	ds_load_b32 v9, v5 offset:12320
	s_waitcnt lgkmcnt(0)
	v_add_nc_u32_e32 v8, v9, v8
	s_or_b32 exec_lo, exec_lo, s17
	s_and_saveexec_b32 s17, s9
	s_cbranch_execz .LBB186_45
.LBB186_61:                             ;   in Loop: Header=BB186_35 Depth=1
	ds_load_b32 v9, v5 offset:12324
	s_waitcnt lgkmcnt(0)
	v_add_nc_u32_e32 v8, v9, v8
	s_or_b32 exec_lo, exec_lo, s17
	s_and_saveexec_b32 s17, s10
	s_cbranch_execz .LBB186_46
.LBB186_62:                             ;   in Loop: Header=BB186_35 Depth=1
	ds_load_b32 v9, v5 offset:12328
	s_waitcnt lgkmcnt(0)
	v_add_nc_u32_e32 v8, v9, v8
	s_or_b32 exec_lo, exec_lo, s17
	s_and_saveexec_b32 s17, s11
	s_cbranch_execz .LBB186_47
.LBB186_63:                             ;   in Loop: Header=BB186_35 Depth=1
	ds_load_b32 v9, v5 offset:12332
	s_waitcnt lgkmcnt(0)
	v_add_nc_u32_e32 v8, v9, v8
	s_or_b32 exec_lo, exec_lo, s17
	s_and_saveexec_b32 s17, s12
	s_cbranch_execz .LBB186_48
.LBB186_64:                             ;   in Loop: Header=BB186_35 Depth=1
	ds_load_b32 v9, v5 offset:12336
	s_waitcnt lgkmcnt(0)
	v_add_nc_u32_e32 v8, v9, v8
	s_or_b32 exec_lo, exec_lo, s17
	s_and_saveexec_b32 s17, s13
	s_cbranch_execz .LBB186_49
.LBB186_65:                             ;   in Loop: Header=BB186_35 Depth=1
	ds_load_b32 v9, v5 offset:12340
	s_waitcnt lgkmcnt(0)
	v_add_nc_u32_e32 v8, v9, v8
	s_or_b32 exec_lo, exec_lo, s17
	s_and_saveexec_b32 s17, s14
	s_cbranch_execz .LBB186_50
.LBB186_66:                             ;   in Loop: Header=BB186_35 Depth=1
	ds_load_b32 v9, v5 offset:12344
	s_waitcnt lgkmcnt(0)
	v_add_nc_u32_e32 v8, v9, v8
	s_or_b32 exec_lo, exec_lo, s17
	s_and_saveexec_b32 s17, s15
	s_cbranch_execz .LBB186_51
.LBB186_67:                             ;   in Loop: Header=BB186_35 Depth=1
	s_delay_alu instid0(VALU_DEP_1) | instskip(NEXT) | instid1(VALU_DEP_1)
	v_add3_u32 v9, v6, -1, v8
	v_lshl_add_u32 v10, v9, 2, 0
	v_lshl_add_u32 v9, v9, 3, 0
	ds_store_b32 v10, v7
	ds_store_b64 v9, v[2:3] offset:4096
	s_or_b32 exec_lo, exec_lo, s17
	s_and_saveexec_b32 s15, vcc_lo
	s_cbranch_execz .LBB186_34
.LBB186_68:                             ;   in Loop: Header=BB186_35 Depth=1
	ds_store_b32 v5, v8 offset:12348
	s_branch .LBB186_34
.LBB186_69:                             ;   in Loop: Header=BB186_70 Depth=1
	s_or_b32 exec_lo, exec_lo, s4
	v_add_co_u32 v3, vcc_lo, 0x200, v3
	v_add_co_ci_u32_e32 v4, vcc_lo, 0, v4, vcc_lo
	s_delay_alu instid0(VALU_DEP_1) | instskip(SKIP_1) | instid1(SALU_CYCLE_1)
	v_cmp_le_i64_e32 vcc_lo, s[0:1], v[3:4]
	s_or_b32 s3, vcc_lo, s3
	s_and_not1_b32 exec_lo, exec_lo, s3
	s_cbranch_execz .LBB186_32
.LBB186_70:                             ; =>This Loop Header: Depth=1
                                        ;     Child Loop BB186_72 Depth 2
                                        ;       Child Loop BB186_78 Depth 3
                                        ;       Child Loop BB186_84 Depth 3
	v_lshlrev_b64 v[5:6], 3, v[3:4]
	v_lshlrev_b64 v[7:8], 2, v[3:4]
	s_mov_b32 s4, 0
	s_delay_alu instid0(VALU_DEP_2) | instskip(NEXT) | instid1(VALU_DEP_3)
	v_add_co_u32 v5, vcc_lo, s20, v5
	v_add_co_ci_u32_e32 v6, vcc_lo, s21, v6, vcc_lo
	s_delay_alu instid0(VALU_DEP_3) | instskip(NEXT) | instid1(VALU_DEP_4)
	v_add_co_u32 v7, vcc_lo, s18, v7
	v_add_co_ci_u32_e32 v8, vcc_lo, s19, v8, vcc_lo
	global_load_b64 v[5:6], v[5:6], off
	global_load_b32 v7, v[7:8], off
	s_waitcnt vmcnt(1)
	v_mul_f64 v[5:6], v[1:2], v[5:6]
	s_waitcnt vmcnt(0)
	v_subrev_nc_u32_e32 v9, s27, v7
	s_delay_alu instid0(VALU_DEP_1) | instskip(NEXT) | instid1(VALU_DEP_1)
	v_mul_lo_u32 v7, 0x89, v9
	v_and_b32_e32 v10, 0x3ff, v7
	s_branch .LBB186_72
.LBB186_71:                             ;   in Loop: Header=BB186_72 Depth=2
	s_or_b32 exec_lo, exec_lo, s5
	s_xor_b32 s5, s6, -1
	s_delay_alu instid0(SALU_CYCLE_1) | instskip(NEXT) | instid1(SALU_CYCLE_1)
	s_and_b32 s5, exec_lo, s5
	s_or_b32 s4, s5, s4
	s_delay_alu instid0(SALU_CYCLE_1)
	s_and_not1_b32 exec_lo, exec_lo, s4
	s_cbranch_execz .LBB186_69
.LBB186_72:                             ;   Parent Loop BB186_70 Depth=1
                                        ; =>  This Loop Header: Depth=2
                                        ;       Child Loop BB186_78 Depth 3
                                        ;       Child Loop BB186_84 Depth 3
	s_delay_alu instid0(VALU_DEP_1)
	v_lshl_add_u32 v7, v10, 2, 0
	s_mov_b32 s5, exec_lo
                                        ; implicit-def: $sgpr6
	ds_load_b32 v8, v7
	s_waitcnt lgkmcnt(0)
	v_cmpx_ne_u32_e64 v8, v9
	s_xor_b32 s5, exec_lo, s5
	s_cbranch_execz .LBB186_82
; %bb.73:                               ;   in Loop: Header=BB186_72 Depth=2
	s_mov_b32 s7, exec_lo
                                        ; implicit-def: $sgpr6
	v_cmpx_ne_u32_e64 s33, v8
	s_xor_b32 s7, exec_lo, s7
; %bb.74:                               ;   in Loop: Header=BB186_72 Depth=2
	v_add_nc_u32_e32 v7, 1, v10
	s_mov_b32 s6, -1
	s_delay_alu instid0(VALU_DEP_1)
	v_and_b32_e32 v10, 0x3ff, v7
                                        ; implicit-def: $vgpr7
; %bb.75:                               ;   in Loop: Header=BB186_72 Depth=2
	s_and_not1_saveexec_b32 s7, s7
	s_cbranch_execz .LBB186_81
; %bb.76:                               ;   in Loop: Header=BB186_72 Depth=2
	v_mov_b32_e32 v8, s33
	s_mov_b32 s9, -1
	s_mov_b32 s8, exec_lo
	ds_cmpstore_rtn_b32 v8, v7, v9, v8
	s_waitcnt lgkmcnt(0)
	v_cmpx_eq_u32_e64 s33, v8
	s_cbranch_execz .LBB186_80
; %bb.77:                               ;   in Loop: Header=BB186_72 Depth=2
	v_lshlrev_b32_e32 v8, 2, v10
	s_mov_b32 s9, 0
	s_delay_alu instid0(VALU_DEP_1)
	v_add_nc_u32_e32 v11, v7, v8
	ds_load_b64 v[7:8], v11 offset:4096
.LBB186_78:                             ;   Parent Loop BB186_70 Depth=1
                                        ;     Parent Loop BB186_72 Depth=2
                                        ; =>    This Inner Loop Header: Depth=3
	s_waitcnt lgkmcnt(0)
	v_add_f64 v[12:13], v[7:8], v[5:6]
	ds_cmpstore_rtn_b64 v[12:13], v11, v[12:13], v[7:8] offset:4096
	s_waitcnt lgkmcnt(0)
	v_cmp_eq_u64_e32 vcc_lo, v[12:13], v[7:8]
	v_dual_mov_b32 v7, v12 :: v_dual_mov_b32 v8, v13
	s_or_b32 s9, vcc_lo, s9
	s_delay_alu instid0(SALU_CYCLE_1)
	s_and_not1_b32 exec_lo, exec_lo, s9
	s_cbranch_execnz .LBB186_78
; %bb.79:                               ;   in Loop: Header=BB186_72 Depth=2
	s_or_b32 exec_lo, exec_lo, s9
	s_delay_alu instid0(SALU_CYCLE_1)
	s_xor_b32 s9, exec_lo, -1
.LBB186_80:                             ;   in Loop: Header=BB186_72 Depth=2
	s_or_b32 exec_lo, exec_lo, s8
	s_delay_alu instid0(SALU_CYCLE_1) | instskip(SKIP_1) | instid1(SALU_CYCLE_1)
	s_and_not1_b32 s6, s6, exec_lo
	s_and_b32 s8, s9, exec_lo
	s_or_b32 s6, s6, s8
.LBB186_81:                             ;   in Loop: Header=BB186_72 Depth=2
	s_or_b32 exec_lo, exec_lo, s7
	s_delay_alu instid0(SALU_CYCLE_1)
	s_and_b32 s6, s6, exec_lo
                                        ; implicit-def: $vgpr7
.LBB186_82:                             ;   in Loop: Header=BB186_72 Depth=2
	s_and_not1_saveexec_b32 s5, s5
	s_cbranch_execz .LBB186_71
; %bb.83:                               ;   in Loop: Header=BB186_72 Depth=2
	v_lshlrev_b32_e32 v8, 2, v10
	s_mov_b32 s7, 0
	s_delay_alu instid0(VALU_DEP_1)
	v_add_nc_u32_e32 v11, v7, v8
	ds_load_b64 v[7:8], v11 offset:4096
.LBB186_84:                             ;   Parent Loop BB186_70 Depth=1
                                        ;     Parent Loop BB186_72 Depth=2
                                        ; =>    This Inner Loop Header: Depth=3
	s_waitcnt lgkmcnt(0)
	v_add_f64 v[12:13], v[7:8], v[5:6]
	ds_cmpstore_rtn_b64 v[12:13], v11, v[12:13], v[7:8] offset:4096
	s_waitcnt lgkmcnt(0)
	v_cmp_eq_u64_e32 vcc_lo, v[12:13], v[7:8]
	v_dual_mov_b32 v7, v12 :: v_dual_mov_b32 v8, v13
	s_or_b32 s7, vcc_lo, s7
	s_delay_alu instid0(SALU_CYCLE_1)
	s_and_not1_b32 exec_lo, exec_lo, s7
	s_cbranch_execnz .LBB186_84
; %bb.85:                               ;   in Loop: Header=BB186_72 Depth=2
	s_or_b32 exec_lo, exec_lo, s7
	s_delay_alu instid0(SALU_CYCLE_1)
	s_and_not1_b32 s6, s6, exec_lo
	s_branch .LBB186_71
.LBB186_86:
	s_or_b32 exec_lo, exec_lo, s16
	s_ashr_i32 s37, s36, 31
	s_mov_b32 s4, exec_lo
	s_lshl_b64 s[0:1], s[36:37], 3
	s_delay_alu instid0(SALU_CYCLE_1) | instskip(SKIP_4) | instid1(SALU_CYCLE_1)
	s_add_u32 s0, s22, s0
	s_addc_u32 s1, s23, s1
	s_load_b128 s[0:3], s[0:1], 0x0
	s_waitcnt lgkmcnt(0)
	s_sub_i32 s3, s2, s0
	v_cmpx_gt_i32_e64 s3, v0
	s_cbranch_execz .LBB186_96
; %bb.87:
	s_sub_u32 s4, s0, s26
	s_subb_u32 s5, s1, 0
	s_sub_i32 s0, s0, s2
	s_and_b32 s1, s3, 7
	s_cmp_lt_u32 s0, -7
	s_mov_b32 s8, 0
	s_cselect_b32 s2, -1, 0
	s_and_b32 s6, s3, -8
	s_cmp_lg_u32 s1, 0
	s_cselect_b32 s7, -1, 0
	s_branch .LBB186_89
.LBB186_88:                             ;   in Loop: Header=BB186_89 Depth=1
	s_delay_alu instid0(VALU_DEP_1) | instskip(SKIP_1) | instid1(VALU_DEP_1)
	v_lshlrev_b64 v[3:4], 3, v[3:4]
	v_add_nc_u32_e32 v0, 0x200, v0
	v_cmp_le_i32_e32 vcc_lo, s3, v0
	s_delay_alu instid0(VALU_DEP_3) | instskip(NEXT) | instid1(VALU_DEP_1)
	v_add_co_u32 v3, s0, s34, v3
	v_add_co_ci_u32_e64 v4, s0, s35, v4, s0
	s_or_b32 s8, vcc_lo, s8
	s_waitcnt lgkmcnt(0)
	global_store_b64 v[3:4], v[1:2], off
	s_and_not1_b32 exec_lo, exec_lo, s8
	s_cbranch_execz .LBB186_96
.LBB186_89:                             ; =>This Loop Header: Depth=1
                                        ;     Child Loop BB186_91 Depth 2
                                        ;     Child Loop BB186_95 Depth 2
	v_lshlrev_b32_e32 v1, 2, v0
	v_dual_mov_b32 v3, s4 :: v_dual_mov_b32 v4, s5
	s_and_not1_b32 vcc_lo, exec_lo, s2
	s_mov_b32 s0, 0
	s_delay_alu instid0(VALU_DEP_2) | instskip(NEXT) | instid1(VALU_DEP_1)
	v_add_nc_u32_e32 v2, 0, v1
	v_add_nc_u32_e32 v1, v2, v1
	ds_load_b32 v5, v2
	ds_load_b64 v[1:2], v1 offset:4096
	s_cbranch_vccnz .LBB186_93
; %bb.90:                               ;   in Loop: Header=BB186_89 Depth=1
	v_dual_mov_b32 v3, s4 :: v_dual_mov_b32 v4, s5
	s_mov_b32 s9, 0
	s_mov_b32 s10, 0
.LBB186_91:                             ;   Parent Loop BB186_89 Depth=1
                                        ; =>  This Inner Loop Header: Depth=2
	s_delay_alu instid0(SALU_CYCLE_1)
	v_mov_b32_e32 v12, s10
	s_add_i32 s9, s9, 8
	s_add_i32 s10, s10, 32
	s_cmp_eq_u32 s6, s9
	ds_load_2addr_b32 v[6:7], v12 offset1:1
	ds_load_2addr_b32 v[8:9], v12 offset0:2 offset1:3
	ds_load_2addr_b32 v[10:11], v12 offset0:4 offset1:5
	;; [unrolled: 1-line block ×3, first 2 shown]
	s_waitcnt lgkmcnt(3)
	v_cmp_gt_i32_e32 vcc_lo, v5, v6
	v_cndmask_b32_e64 v6, 0, 1, vcc_lo
	v_cmp_gt_i32_e32 vcc_lo, v5, v7
	v_cndmask_b32_e64 v7, 0, 1, vcc_lo
	s_waitcnt lgkmcnt(2)
	v_cmp_gt_i32_e32 vcc_lo, v5, v8
	v_cndmask_b32_e64 v8, 0, 1, vcc_lo
	v_cmp_gt_i32_e32 vcc_lo, v5, v9
	v_cndmask_b32_e64 v9, 0, 1, vcc_lo
	s_waitcnt lgkmcnt(1)
	v_cmp_gt_i32_e32 vcc_lo, v5, v10
	v_cndmask_b32_e64 v10, 0, 1, vcc_lo
	v_add_co_u32 v3, vcc_lo, v3, v6
	v_add_co_ci_u32_e32 v4, vcc_lo, 0, v4, vcc_lo
	v_cmp_gt_i32_e32 vcc_lo, v5, v11
	s_delay_alu instid0(VALU_DEP_3) | instskip(NEXT) | instid1(VALU_DEP_1)
	v_add_co_u32 v3, s0, v3, v7
	v_add_co_ci_u32_e64 v4, s0, 0, v4, s0
	v_cndmask_b32_e64 v6, 0, 1, vcc_lo
	s_delay_alu instid0(VALU_DEP_3) | instskip(NEXT) | instid1(VALU_DEP_3)
	v_add_co_u32 v3, vcc_lo, v3, v8
	v_add_co_ci_u32_e32 v4, vcc_lo, 0, v4, vcc_lo
	s_waitcnt lgkmcnt(0)
	v_cmp_gt_i32_e32 vcc_lo, v5, v12
	s_delay_alu instid0(VALU_DEP_3) | instskip(NEXT) | instid1(VALU_DEP_1)
	v_add_co_u32 v3, s0, v3, v9
	v_add_co_ci_u32_e64 v4, s0, 0, v4, s0
	v_cndmask_b32_e64 v7, 0, 1, vcc_lo
	s_delay_alu instid0(VALU_DEP_3) | instskip(NEXT) | instid1(VALU_DEP_3)
	v_add_co_u32 v3, vcc_lo, v3, v10
	v_add_co_ci_u32_e32 v4, vcc_lo, 0, v4, vcc_lo
	v_cmp_gt_i32_e32 vcc_lo, v5, v13
	s_delay_alu instid0(VALU_DEP_3) | instskip(NEXT) | instid1(VALU_DEP_1)
	v_add_co_u32 v3, s0, v3, v6
	v_add_co_ci_u32_e64 v4, s0, 0, v4, s0
	v_cndmask_b32_e64 v6, 0, 1, vcc_lo
	s_delay_alu instid0(VALU_DEP_3) | instskip(NEXT) | instid1(VALU_DEP_3)
	v_add_co_u32 v3, vcc_lo, v3, v7
	v_add_co_ci_u32_e32 v4, vcc_lo, 0, v4, vcc_lo
	s_delay_alu instid0(VALU_DEP_2) | instskip(NEXT) | instid1(VALU_DEP_2)
	v_add_co_u32 v3, vcc_lo, v3, v6
	v_add_co_ci_u32_e32 v4, vcc_lo, 0, v4, vcc_lo
	s_cbranch_scc0 .LBB186_91
; %bb.92:                               ;   in Loop: Header=BB186_89 Depth=1
	s_mov_b32 s0, s6
.LBB186_93:                             ;   in Loop: Header=BB186_89 Depth=1
	s_and_not1_b32 vcc_lo, exec_lo, s7
	s_cbranch_vccnz .LBB186_88
; %bb.94:                               ;   in Loop: Header=BB186_89 Depth=1
	s_lshl_b32 s0, s0, 2
	s_mov_b32 s9, s1
	s_add_i32 s0, s0, 0
.LBB186_95:                             ;   Parent Loop BB186_89 Depth=1
                                        ; =>  This Inner Loop Header: Depth=2
	s_delay_alu instid0(SALU_CYCLE_1)
	v_mov_b32_e32 v6, s0
	s_add_i32 s9, s9, -1
	s_add_i32 s0, s0, 4
	s_cmp_lg_u32 s9, 0
	ds_load_b32 v6, v6
	s_waitcnt lgkmcnt(0)
	v_cmp_gt_i32_e32 vcc_lo, v5, v6
	v_cndmask_b32_e64 v6, 0, 1, vcc_lo
	s_delay_alu instid0(VALU_DEP_1)
	v_add_co_u32 v3, vcc_lo, v3, v6
	v_add_co_ci_u32_e32 v4, vcc_lo, 0, v4, vcc_lo
	s_cbranch_scc1 .LBB186_95
	s_branch .LBB186_88
.LBB186_96:
	s_nop 0
	s_sendmsg sendmsg(MSG_DEALLOC_VGPRS)
	s_endpgm
	.section	.rodata,"a",@progbits
	.p2align	6, 0x0
	.amdhsa_kernel _ZN9rocsparseL41csrgemm_numeric_fill_block_per_row_kernelILj512ELj32ELj1024ELj137ELj32ElidEEvT5_PKS1_S3_NS_24const_host_device_scalarIT6_EEPKT4_S3_PKS5_S9_S3_SB_S6_S9_S3_SB_S9_S3_PS5_21rocsparse_index_base_SD_SD_SD_bbb
		.amdhsa_group_segment_fixed_size 0
		.amdhsa_private_segment_fixed_size 0
		.amdhsa_kernarg_size 156
		.amdhsa_user_sgpr_count 15
		.amdhsa_user_sgpr_dispatch_ptr 0
		.amdhsa_user_sgpr_queue_ptr 0
		.amdhsa_user_sgpr_kernarg_segment_ptr 1
		.amdhsa_user_sgpr_dispatch_id 0
		.amdhsa_user_sgpr_private_segment_size 0
		.amdhsa_wavefront_size32 1
		.amdhsa_uses_dynamic_stack 0
		.amdhsa_enable_private_segment 0
		.amdhsa_system_sgpr_workgroup_id_x 1
		.amdhsa_system_sgpr_workgroup_id_y 0
		.amdhsa_system_sgpr_workgroup_id_z 0
		.amdhsa_system_sgpr_workgroup_info 0
		.amdhsa_system_vgpr_workitem_id 0
		.amdhsa_next_free_vgpr 28
		.amdhsa_next_free_sgpr 42
		.amdhsa_reserve_vcc 1
		.amdhsa_float_round_mode_32 0
		.amdhsa_float_round_mode_16_64 0
		.amdhsa_float_denorm_mode_32 3
		.amdhsa_float_denorm_mode_16_64 3
		.amdhsa_dx10_clamp 1
		.amdhsa_ieee_mode 1
		.amdhsa_fp16_overflow 0
		.amdhsa_workgroup_processor_mode 1
		.amdhsa_memory_ordered 1
		.amdhsa_forward_progress 0
		.amdhsa_shared_vgpr_count 0
		.amdhsa_exception_fp_ieee_invalid_op 0
		.amdhsa_exception_fp_denorm_src 0
		.amdhsa_exception_fp_ieee_div_zero 0
		.amdhsa_exception_fp_ieee_overflow 0
		.amdhsa_exception_fp_ieee_underflow 0
		.amdhsa_exception_fp_ieee_inexact 0
		.amdhsa_exception_int_div_zero 0
	.end_amdhsa_kernel
	.section	.text._ZN9rocsparseL41csrgemm_numeric_fill_block_per_row_kernelILj512ELj32ELj1024ELj137ELj32ElidEEvT5_PKS1_S3_NS_24const_host_device_scalarIT6_EEPKT4_S3_PKS5_S9_S3_SB_S6_S9_S3_SB_S9_S3_PS5_21rocsparse_index_base_SD_SD_SD_bbb,"axG",@progbits,_ZN9rocsparseL41csrgemm_numeric_fill_block_per_row_kernelILj512ELj32ELj1024ELj137ELj32ElidEEvT5_PKS1_S3_NS_24const_host_device_scalarIT6_EEPKT4_S3_PKS5_S9_S3_SB_S6_S9_S3_SB_S9_S3_PS5_21rocsparse_index_base_SD_SD_SD_bbb,comdat
.Lfunc_end186:
	.size	_ZN9rocsparseL41csrgemm_numeric_fill_block_per_row_kernelILj512ELj32ELj1024ELj137ELj32ElidEEvT5_PKS1_S3_NS_24const_host_device_scalarIT6_EEPKT4_S3_PKS5_S9_S3_SB_S6_S9_S3_SB_S9_S3_PS5_21rocsparse_index_base_SD_SD_SD_bbb, .Lfunc_end186-_ZN9rocsparseL41csrgemm_numeric_fill_block_per_row_kernelILj512ELj32ELj1024ELj137ELj32ElidEEvT5_PKS1_S3_NS_24const_host_device_scalarIT6_EEPKT4_S3_PKS5_S9_S3_SB_S6_S9_S3_SB_S9_S3_PS5_21rocsparse_index_base_SD_SD_SD_bbb
                                        ; -- End function
	.section	.AMDGPU.csdata,"",@progbits
; Kernel info:
; codeLenInByte = 3732
; NumSgprs: 44
; NumVgprs: 28
; ScratchSize: 0
; MemoryBound: 0
; FloatMode: 240
; IeeeMode: 1
; LDSByteSize: 0 bytes/workgroup (compile time only)
; SGPRBlocks: 5
; VGPRBlocks: 3
; NumSGPRsForWavesPerEU: 44
; NumVGPRsForWavesPerEU: 28
; Occupancy: 16
; WaveLimiterHint : 1
; COMPUTE_PGM_RSRC2:SCRATCH_EN: 0
; COMPUTE_PGM_RSRC2:USER_SGPR: 15
; COMPUTE_PGM_RSRC2:TRAP_HANDLER: 0
; COMPUTE_PGM_RSRC2:TGID_X_EN: 1
; COMPUTE_PGM_RSRC2:TGID_Y_EN: 0
; COMPUTE_PGM_RSRC2:TGID_Z_EN: 0
; COMPUTE_PGM_RSRC2:TIDIG_COMP_CNT: 0
	.section	.text._ZN9rocsparseL41csrgemm_numeric_fill_block_per_row_kernelILj512ELj32ELj1024ELj137ELj64ElidEEvT5_PKS1_S3_NS_24const_host_device_scalarIT6_EEPKT4_S3_PKS5_S9_S3_SB_S6_S9_S3_SB_S9_S3_PS5_21rocsparse_index_base_SD_SD_SD_bbb,"axG",@progbits,_ZN9rocsparseL41csrgemm_numeric_fill_block_per_row_kernelILj512ELj32ELj1024ELj137ELj64ElidEEvT5_PKS1_S3_NS_24const_host_device_scalarIT6_EEPKT4_S3_PKS5_S9_S3_SB_S6_S9_S3_SB_S9_S3_PS5_21rocsparse_index_base_SD_SD_SD_bbb,comdat
	.globl	_ZN9rocsparseL41csrgemm_numeric_fill_block_per_row_kernelILj512ELj32ELj1024ELj137ELj64ElidEEvT5_PKS1_S3_NS_24const_host_device_scalarIT6_EEPKT4_S3_PKS5_S9_S3_SB_S6_S9_S3_SB_S9_S3_PS5_21rocsparse_index_base_SD_SD_SD_bbb ; -- Begin function _ZN9rocsparseL41csrgemm_numeric_fill_block_per_row_kernelILj512ELj32ELj1024ELj137ELj64ElidEEvT5_PKS1_S3_NS_24const_host_device_scalarIT6_EEPKT4_S3_PKS5_S9_S3_SB_S6_S9_S3_SB_S9_S3_PS5_21rocsparse_index_base_SD_SD_SD_bbb
	.p2align	8
	.type	_ZN9rocsparseL41csrgemm_numeric_fill_block_per_row_kernelILj512ELj32ELj1024ELj137ELj64ElidEEvT5_PKS1_S3_NS_24const_host_device_scalarIT6_EEPKT4_S3_PKS5_S9_S3_SB_S6_S9_S3_SB_S9_S3_PS5_21rocsparse_index_base_SD_SD_SD_bbb,@function
_ZN9rocsparseL41csrgemm_numeric_fill_block_per_row_kernelILj512ELj32ELj1024ELj137ELj64ElidEEvT5_PKS1_S3_NS_24const_host_device_scalarIT6_EEPKT4_S3_PKS5_S9_S3_SB_S6_S9_S3_SB_S9_S3_PS5_21rocsparse_index_base_SD_SD_SD_bbb: ; @_ZN9rocsparseL41csrgemm_numeric_fill_block_per_row_kernelILj512ELj32ELj1024ELj137ELj64ElidEEvT5_PKS1_S3_NS_24const_host_device_scalarIT6_EEPKT4_S3_PKS5_S9_S3_SB_S6_S9_S3_SB_S9_S3_PS5_21rocsparse_index_base_SD_SD_SD_bbb
; %bb.0:
	s_clause 0x3
	s_load_b32 s14, s[0:1], 0x98
	s_load_b64 s[4:5], s[0:1], 0x18
	s_load_b128 s[24:27], s[0:1], 0x88
	s_load_b64 s[2:3], s[0:1], 0x50
	s_waitcnt lgkmcnt(0)
	s_and_b32 s6, 1, s14
	s_bitcmp1_b32 s14, 16
	s_cselect_b32 s33, -1, 0
	s_cmp_eq_u32 s6, 1
	s_cselect_b32 s35, -1, 0
	s_delay_alu instid0(SALU_CYCLE_1)
	s_and_b32 s6, s35, exec_lo
	s_cselect_b32 s7, s5, 0
	s_cselect_b32 s6, s4, 0
	s_xor_b32 s8, s35, -1
	v_dual_mov_b32 v3, s6 :: v_dual_mov_b32 v4, s7
	s_or_b32 s8, s8, s33
	s_delay_alu instid0(SALU_CYCLE_1)
	s_and_b32 vcc_lo, exec_lo, s8
	s_cbranch_vccnz .LBB187_2
; %bb.1:
	v_dual_mov_b32 v1, s4 :: v_dual_mov_b32 v2, s5
	flat_load_b64 v[3:4], v[1:2]
.LBB187_2:
	s_clause 0x4
	s_load_b64 s[12:13], s[0:1], 0x80
	s_load_b256 s[4:11], s[0:1], 0x58
	s_load_b128 s[28:31], s[0:1], 0x40
	s_load_b128 s[36:39], s[0:1], 0x8
	s_load_b256 s[16:23], s[0:1], 0x20
	s_bitcmp1_b32 s14, 8
	s_cselect_b32 s34, -1, 0
	s_delay_alu instid0(SALU_CYCLE_1)
	s_and_b32 s14, s34, exec_lo
	s_cselect_b32 s41, s3, 0
	s_cselect_b32 s40, s2, 0
	s_xor_b32 s14, s34, -1
	v_dual_mov_b32 v1, s40 :: v_dual_mov_b32 v2, s41
	s_or_b32 s14, s14, s33
	s_delay_alu instid0(SALU_CYCLE_1)
	s_and_b32 vcc_lo, exec_lo, s14
	s_cbranch_vccnz .LBB187_4
; %bb.3:
	v_dual_mov_b32 v1, s2 :: v_dual_mov_b32 v2, s3
	flat_load_b64 v[1:2], v[1:2]
.LBB187_4:
	s_load_b32 s33, s[0:1], 0x0
	v_dual_mov_b32 v5, 0 :: v_dual_lshlrev_b32 v6, 3, v0
	v_lshl_add_u32 v17, v0, 2, 0
	v_or_b32_e32 v18, 0xfffffe00, v0
	s_mov_b32 s0, 0
	s_delay_alu instid0(VALU_DEP_3) | instskip(SKIP_1) | instid1(VALU_DEP_3)
	v_add3_u32 v19, v6, 0, 0x1000
	v_mov_b32_e32 v6, v5
	v_dual_mov_b32 v7, v17 :: v_dual_mov_b32 v8, v18
	s_waitcnt lgkmcnt(0)
	s_delay_alu instid0(VALU_DEP_3)
	v_dual_mov_b32 v10, v19 :: v_dual_mov_b32 v9, s33
.LBB187_5:                              ; =>This Inner Loop Header: Depth=1
	s_delay_alu instid0(VALU_DEP_2) | instskip(NEXT) | instid1(VALU_DEP_1)
	v_add_co_u32 v8, s1, 0x200, v8
	s_xor_b32 s1, s1, -1
	ds_store_b32 v7, v9
	ds_store_b64 v10, v[5:6]
	v_add_nc_u32_e32 v10, 0x1000, v10
	v_add_nc_u32_e32 v7, 0x800, v7
	s_and_b32 s1, exec_lo, s1
	s_delay_alu instid0(SALU_CYCLE_1) | instskip(NEXT) | instid1(SALU_CYCLE_1)
	s_or_b32 s0, s1, s0
	s_and_not1_b32 exec_lo, exec_lo, s0
	s_cbranch_execnz .LBB187_5
; %bb.6:
	s_or_b32 exec_lo, exec_lo, s0
	s_waitcnt vmcnt(0) lgkmcnt(0)
	s_barrier
	buffer_gl0_inv
	s_load_b32 s0, s[36:37], 0x0
	s_mov_b32 s1, 0
	s_waitcnt lgkmcnt(0)
	s_add_i32 s0, s0, s15
	s_delay_alu instid0(SALU_CYCLE_1) | instskip(NEXT) | instid1(SALU_CYCLE_1)
	s_lshl_b64 s[0:1], s[0:1], 2
	s_add_u32 s0, s38, s0
	s_addc_u32 s1, s39, s1
	s_and_b32 vcc_lo, exec_lo, s35
	s_load_b32 s14, s[0:1], 0x0
	s_cbranch_vccz .LBB187_30
; %bb.7:
	s_waitcnt lgkmcnt(0)
	s_ashr_i32 s15, s14, 31
	v_lshrrev_b32_e32 v5, 5, v0
	s_lshl_b64 s[0:1], s[14:15], 3
	s_delay_alu instid0(SALU_CYCLE_1) | instskip(SKIP_1) | instid1(VALU_DEP_1)
	s_add_u32 s0, s16, s0
	s_addc_u32 s1, s17, s1
	v_sub_co_u32 v5, s15, v5, s24
	s_load_b128 s[0:3], s[0:1], 0x0
	v_sub_co_ci_u32_e64 v6, null, 0, 0, s15
	s_waitcnt lgkmcnt(0)
	s_delay_alu instid0(VALU_DEP_2) | instskip(NEXT) | instid1(VALU_DEP_2)
	v_add_co_u32 v5, vcc_lo, s0, v5
	v_add_co_ci_u32_e32 v6, vcc_lo, s1, v6, vcc_lo
	s_sub_u32 s0, s2, s24
	s_subb_u32 s1, s3, 0
	s_mov_b32 s2, exec_lo
	s_delay_alu instid0(VALU_DEP_1)
	v_cmpx_gt_i64_e64 s[0:1], v[5:6]
	s_cbranch_execz .LBB187_29
; %bb.8:
	v_and_b32_e32 v7, 31, v0
	s_mov_b32 s15, s25
	s_delay_alu instid0(VALU_DEP_1) | instskip(NEXT) | instid1(VALU_DEP_1)
	v_sub_co_u32 v20, s3, v7, s25
	v_sub_co_ci_u32_e64 v21, null, 0, 0, s3
	s_mov_b32 s3, 0
	s_branch .LBB187_10
.LBB187_9:                              ;   in Loop: Header=BB187_10 Depth=1
	s_or_b32 exec_lo, exec_lo, s16
	v_add_co_u32 v5, vcc_lo, v5, 16
	v_add_co_ci_u32_e32 v6, vcc_lo, 0, v6, vcc_lo
	s_delay_alu instid0(VALU_DEP_1) | instskip(SKIP_1) | instid1(SALU_CYCLE_1)
	v_cmp_le_i64_e32 vcc_lo, s[0:1], v[5:6]
	s_or_b32 s3, vcc_lo, s3
	s_and_not1_b32 exec_lo, exec_lo, s3
	s_cbranch_execz .LBB187_29
.LBB187_10:                             ; =>This Loop Header: Depth=1
                                        ;     Child Loop BB187_13 Depth 2
                                        ;       Child Loop BB187_15 Depth 3
                                        ;         Child Loop BB187_21 Depth 4
                                        ;         Child Loop BB187_27 Depth 4
	v_lshlrev_b64 v[7:8], 2, v[5:6]
	s_mov_b32 s16, exec_lo
	s_delay_alu instid0(VALU_DEP_1) | instskip(NEXT) | instid1(VALU_DEP_2)
	v_add_co_u32 v7, vcc_lo, s18, v7
	v_add_co_ci_u32_e32 v8, vcc_lo, s19, v8, vcc_lo
	global_load_b32 v7, v[7:8], off
	s_waitcnt vmcnt(0)
	v_subrev_nc_u32_e32 v7, s24, v7
	s_delay_alu instid0(VALU_DEP_1) | instskip(NEXT) | instid1(VALU_DEP_1)
	v_ashrrev_i32_e32 v8, 31, v7
	v_lshlrev_b64 v[7:8], 3, v[7:8]
	s_delay_alu instid0(VALU_DEP_1) | instskip(NEXT) | instid1(VALU_DEP_2)
	v_add_co_u32 v7, vcc_lo, s22, v7
	v_add_co_ci_u32_e32 v8, vcc_lo, s23, v8, vcc_lo
	global_load_b128 v[9:12], v[7:8], off
	s_waitcnt vmcnt(0)
	v_sub_co_u32 v7, vcc_lo, v11, s15
	v_subrev_co_ci_u32_e32 v8, vcc_lo, 0, v12, vcc_lo
	v_add_co_u32 v9, vcc_lo, v9, v20
	v_add_co_ci_u32_e32 v10, vcc_lo, v10, v21, vcc_lo
	s_delay_alu instid0(VALU_DEP_1)
	v_cmpx_lt_i64_e64 v[9:10], v[7:8]
	s_cbranch_execz .LBB187_9
; %bb.11:                               ;   in Loop: Header=BB187_10 Depth=1
	v_lshlrev_b64 v[11:12], 3, v[5:6]
	s_mov_b32 s17, 0
	s_delay_alu instid0(VALU_DEP_1) | instskip(NEXT) | instid1(VALU_DEP_2)
	v_add_co_u32 v11, vcc_lo, s20, v11
	v_add_co_ci_u32_e32 v12, vcc_lo, s21, v12, vcc_lo
	global_load_b64 v[11:12], v[11:12], off
	s_waitcnt vmcnt(0)
	v_mul_f64 v[11:12], v[3:4], v[11:12]
	s_branch .LBB187_13
.LBB187_12:                             ;   in Loop: Header=BB187_13 Depth=2
	s_or_b32 exec_lo, exec_lo, s35
	v_add_co_u32 v9, vcc_lo, v9, 32
	v_add_co_ci_u32_e32 v10, vcc_lo, 0, v10, vcc_lo
	s_delay_alu instid0(VALU_DEP_1) | instskip(SKIP_1) | instid1(SALU_CYCLE_1)
	v_cmp_ge_i64_e32 vcc_lo, v[9:10], v[7:8]
	s_or_b32 s17, vcc_lo, s17
	s_and_not1_b32 exec_lo, exec_lo, s17
	s_cbranch_execz .LBB187_9
.LBB187_13:                             ;   Parent Loop BB187_10 Depth=1
                                        ; =>  This Loop Header: Depth=2
                                        ;       Child Loop BB187_15 Depth 3
                                        ;         Child Loop BB187_21 Depth 4
                                        ;         Child Loop BB187_27 Depth 4
	v_lshlrev_b64 v[13:14], 3, v[9:10]
	v_lshlrev_b64 v[15:16], 2, v[9:10]
	s_mov_b32 s35, 0
	s_delay_alu instid0(VALU_DEP_2) | instskip(NEXT) | instid1(VALU_DEP_3)
	v_add_co_u32 v13, vcc_lo, s30, v13
	v_add_co_ci_u32_e32 v14, vcc_lo, s31, v14, vcc_lo
	s_delay_alu instid0(VALU_DEP_3) | instskip(NEXT) | instid1(VALU_DEP_4)
	v_add_co_u32 v15, vcc_lo, s28, v15
	v_add_co_ci_u32_e32 v16, vcc_lo, s29, v16, vcc_lo
	global_load_b64 v[13:14], v[13:14], off
	global_load_b32 v15, v[15:16], off
	s_waitcnt vmcnt(1)
	v_mul_f64 v[13:14], v[11:12], v[13:14]
	s_waitcnt vmcnt(0)
	v_subrev_nc_u32_e32 v22, s25, v15
	s_delay_alu instid0(VALU_DEP_1) | instskip(NEXT) | instid1(VALU_DEP_1)
	v_mul_lo_u32 v15, 0x89, v22
	v_and_b32_e32 v23, 0x3ff, v15
	s_branch .LBB187_15
.LBB187_14:                             ;   in Loop: Header=BB187_15 Depth=3
	s_or_b32 exec_lo, exec_lo, s36
	s_xor_b32 s36, s37, -1
	s_delay_alu instid0(SALU_CYCLE_1) | instskip(NEXT) | instid1(SALU_CYCLE_1)
	s_and_b32 s36, exec_lo, s36
	s_or_b32 s35, s36, s35
	s_delay_alu instid0(SALU_CYCLE_1)
	s_and_not1_b32 exec_lo, exec_lo, s35
	s_cbranch_execz .LBB187_12
.LBB187_15:                             ;   Parent Loop BB187_10 Depth=1
                                        ;     Parent Loop BB187_13 Depth=2
                                        ; =>    This Loop Header: Depth=3
                                        ;         Child Loop BB187_21 Depth 4
                                        ;         Child Loop BB187_27 Depth 4
	s_delay_alu instid0(VALU_DEP_1)
	v_lshl_add_u32 v15, v23, 2, 0
	s_mov_b32 s36, exec_lo
                                        ; implicit-def: $sgpr37
	ds_load_b32 v16, v15
	s_waitcnt lgkmcnt(0)
	v_cmpx_ne_u32_e64 v16, v22
	s_xor_b32 s36, exec_lo, s36
	s_cbranch_execz .LBB187_25
; %bb.16:                               ;   in Loop: Header=BB187_15 Depth=3
	s_mov_b32 s38, exec_lo
                                        ; implicit-def: $sgpr37
	v_cmpx_ne_u32_e64 s33, v16
	s_xor_b32 s38, exec_lo, s38
; %bb.17:                               ;   in Loop: Header=BB187_15 Depth=3
	v_add_nc_u32_e32 v15, 1, v23
	s_mov_b32 s37, -1
	s_delay_alu instid0(VALU_DEP_1)
	v_and_b32_e32 v23, 0x3ff, v15
                                        ; implicit-def: $vgpr15
; %bb.18:                               ;   in Loop: Header=BB187_15 Depth=3
	s_and_not1_saveexec_b32 s38, s38
	s_cbranch_execz .LBB187_24
; %bb.19:                               ;   in Loop: Header=BB187_15 Depth=3
	v_mov_b32_e32 v16, s33
	s_mov_b32 s40, -1
	s_mov_b32 s39, exec_lo
	ds_cmpstore_rtn_b32 v16, v15, v22, v16
	s_waitcnt lgkmcnt(0)
	v_cmpx_eq_u32_e64 s33, v16
	s_cbranch_execz .LBB187_23
; %bb.20:                               ;   in Loop: Header=BB187_15 Depth=3
	v_lshlrev_b32_e32 v16, 2, v23
	s_mov_b32 s40, 0
	s_delay_alu instid0(VALU_DEP_1)
	v_add_nc_u32_e32 v24, v15, v16
	ds_load_b64 v[15:16], v24 offset:4096
.LBB187_21:                             ;   Parent Loop BB187_10 Depth=1
                                        ;     Parent Loop BB187_13 Depth=2
                                        ;       Parent Loop BB187_15 Depth=3
                                        ; =>      This Inner Loop Header: Depth=4
	s_waitcnt lgkmcnt(0)
	v_add_f64 v[25:26], v[15:16], v[13:14]
	ds_cmpstore_rtn_b64 v[25:26], v24, v[25:26], v[15:16] offset:4096
	s_waitcnt lgkmcnt(0)
	v_cmp_eq_u64_e32 vcc_lo, v[25:26], v[15:16]
	v_dual_mov_b32 v15, v25 :: v_dual_mov_b32 v16, v26
	s_or_b32 s40, vcc_lo, s40
	s_delay_alu instid0(SALU_CYCLE_1)
	s_and_not1_b32 exec_lo, exec_lo, s40
	s_cbranch_execnz .LBB187_21
; %bb.22:                               ;   in Loop: Header=BB187_15 Depth=3
	s_or_b32 exec_lo, exec_lo, s40
	s_delay_alu instid0(SALU_CYCLE_1)
	s_xor_b32 s40, exec_lo, -1
.LBB187_23:                             ;   in Loop: Header=BB187_15 Depth=3
	s_or_b32 exec_lo, exec_lo, s39
	s_delay_alu instid0(SALU_CYCLE_1) | instskip(SKIP_1) | instid1(SALU_CYCLE_1)
	s_and_not1_b32 s37, s37, exec_lo
	s_and_b32 s39, s40, exec_lo
	s_or_b32 s37, s37, s39
.LBB187_24:                             ;   in Loop: Header=BB187_15 Depth=3
	s_or_b32 exec_lo, exec_lo, s38
	s_delay_alu instid0(SALU_CYCLE_1)
	s_and_b32 s37, s37, exec_lo
                                        ; implicit-def: $vgpr15
.LBB187_25:                             ;   in Loop: Header=BB187_15 Depth=3
	s_and_not1_saveexec_b32 s36, s36
	s_cbranch_execz .LBB187_14
; %bb.26:                               ;   in Loop: Header=BB187_15 Depth=3
	v_lshlrev_b32_e32 v16, 2, v23
	s_mov_b32 s38, 0
	s_delay_alu instid0(VALU_DEP_1)
	v_add_nc_u32_e32 v24, v15, v16
	ds_load_b64 v[15:16], v24 offset:4096
.LBB187_27:                             ;   Parent Loop BB187_10 Depth=1
                                        ;     Parent Loop BB187_13 Depth=2
                                        ;       Parent Loop BB187_15 Depth=3
                                        ; =>      This Inner Loop Header: Depth=4
	s_waitcnt lgkmcnt(0)
	v_add_f64 v[25:26], v[15:16], v[13:14]
	ds_cmpstore_rtn_b64 v[25:26], v24, v[25:26], v[15:16] offset:4096
	s_waitcnt lgkmcnt(0)
	v_cmp_eq_u64_e32 vcc_lo, v[25:26], v[15:16]
	v_dual_mov_b32 v15, v25 :: v_dual_mov_b32 v16, v26
	s_or_b32 s38, vcc_lo, s38
	s_delay_alu instid0(SALU_CYCLE_1)
	s_and_not1_b32 exec_lo, exec_lo, s38
	s_cbranch_execnz .LBB187_27
; %bb.28:                               ;   in Loop: Header=BB187_15 Depth=3
	s_or_b32 exec_lo, exec_lo, s38
	s_delay_alu instid0(SALU_CYCLE_1)
	s_and_not1_b32 s37, s37, exec_lo
	s_branch .LBB187_14
.LBB187_29:
	s_or_b32 exec_lo, exec_lo, s2
.LBB187_30:
	s_delay_alu instid0(SALU_CYCLE_1)
	s_and_not1_b32 vcc_lo, exec_lo, s34
	s_cbranch_vccnz .LBB187_33
; %bb.31:
	s_waitcnt lgkmcnt(0)
	s_ashr_i32 s15, s14, 31
	s_delay_alu instid0(SALU_CYCLE_1) | instskip(NEXT) | instid1(SALU_CYCLE_1)
	s_lshl_b64 s[0:1], s[14:15], 3
	s_add_u32 s0, s4, s0
	s_addc_u32 s1, s5, s1
	v_sub_co_u32 v3, s4, v0, s27
	s_load_b128 s[0:3], s[0:1], 0x0
	v_sub_co_ci_u32_e64 v4, null, 0, 0, s4
	s_waitcnt lgkmcnt(0)
	s_delay_alu instid0(VALU_DEP_2) | instskip(NEXT) | instid1(VALU_DEP_2)
	v_add_co_u32 v3, vcc_lo, s0, v3
	v_add_co_ci_u32_e32 v4, vcc_lo, s1, v4, vcc_lo
	s_sub_u32 s0, s2, s27
	s_subb_u32 s1, s3, 0
	s_mov_b32 s3, 0
	s_mov_b32 s2, exec_lo
	v_cmpx_gt_i64_e64 s[0:1], v[3:4]
	s_cbranch_execnz .LBB187_54
.LBB187_32:
	s_or_b32 exec_lo, exec_lo, s2
.LBB187_33:
	v_mbcnt_lo_u32_b32 v1, -1, 0
	v_lshrrev_b32_e32 v2, 4, v0
	v_cmp_eq_u32_e32 vcc_lo, 0x1ff, v0
	v_cmp_lt_u32_e64 s0, 63, v0
	v_cmp_lt_u32_e64 s1, 0x7f, v0
	v_xor_b32_e32 v1, 63, v1
	v_dual_mov_b32 v6, 0 :: v_dual_and_b32 v3, 28, v2
	v_cmp_lt_u32_e64 s2, 0xbf, v0
	v_cmp_lt_u32_e64 s3, 0xff, v0
	s_delay_alu instid0(VALU_DEP_4) | instskip(NEXT) | instid1(VALU_DEP_4)
	v_lshrrev_b64 v[1:2], v1, -1
	v_dual_mov_b32 v5, 0 :: v_dual_add_nc_u32 v4, 0, v3
	v_cmp_lt_u32_e64 s4, 0x13f, v0
	v_cmp_lt_u32_e64 s5, 0x17f, v0
	;; [unrolled: 1-line block ×3, first 2 shown]
	s_mov_b32 s8, 0
	s_waitcnt lgkmcnt(0)
	s_barrier
	buffer_gl0_inv
	s_branch .LBB187_35
.LBB187_34:                             ;   in Loop: Header=BB187_35 Depth=1
	s_or_b32 exec_lo, exec_lo, s7
	s_waitcnt lgkmcnt(0)
	s_barrier
	buffer_gl0_inv
	ds_load_b32 v2, v5 offset:12316
	v_add_co_u32 v18, s7, 0x200, v18
	s_delay_alu instid0(VALU_DEP_1) | instskip(SKIP_3) | instid1(SALU_CYCLE_1)
	s_xor_b32 s7, s7, -1
	v_add_nc_u32_e32 v19, 0x1000, v19
	v_add_nc_u32_e32 v17, 0x800, v17
	s_and_b32 s7, exec_lo, s7
	s_or_b32 s8, s7, s8
	s_waitcnt lgkmcnt(0)
	v_add_nc_u32_e32 v6, v2, v6
	s_and_not1_b32 exec_lo, exec_lo, s8
	s_cbranch_execz .LBB187_70
.LBB187_35:                             ; =>This Inner Loop Header: Depth=1
	ds_load_b32 v7, v17
	ds_load_b64 v[2:3], v19
	s_waitcnt lgkmcnt(0)
	s_barrier
	buffer_gl0_inv
	v_cmp_gt_i32_e64 s7, s33, v7
	s_delay_alu instid0(VALU_DEP_1) | instskip(NEXT) | instid1(SALU_CYCLE_1)
	s_bcnt1_i32_b32 s9, s7
	v_dual_mov_b32 v9, s9 :: v_dual_and_b32 v8, s7, v1
	s_delay_alu instid0(VALU_DEP_1)
	v_bcnt_u32_b32 v8, v8, 0
	ds_store_b32 v4, v9 offset:12288
	s_waitcnt lgkmcnt(0)
	s_barrier
	buffer_gl0_inv
	s_and_saveexec_b32 s9, s0
	s_cbranch_execnz .LBB187_44
; %bb.36:                               ;   in Loop: Header=BB187_35 Depth=1
	s_or_b32 exec_lo, exec_lo, s9
	s_and_saveexec_b32 s9, s1
	s_cbranch_execnz .LBB187_45
.LBB187_37:                             ;   in Loop: Header=BB187_35 Depth=1
	s_or_b32 exec_lo, exec_lo, s9
	s_and_saveexec_b32 s9, s2
	s_cbranch_execnz .LBB187_46
.LBB187_38:                             ;   in Loop: Header=BB187_35 Depth=1
	s_or_b32 exec_lo, exec_lo, s9
	s_and_saveexec_b32 s9, s3
	s_cbranch_execnz .LBB187_47
.LBB187_39:                             ;   in Loop: Header=BB187_35 Depth=1
	s_or_b32 exec_lo, exec_lo, s9
	s_and_saveexec_b32 s9, s4
	s_cbranch_execnz .LBB187_48
.LBB187_40:                             ;   in Loop: Header=BB187_35 Depth=1
	s_or_b32 exec_lo, exec_lo, s9
	s_and_saveexec_b32 s9, s5
	s_cbranch_execnz .LBB187_49
.LBB187_41:                             ;   in Loop: Header=BB187_35 Depth=1
	s_or_b32 exec_lo, exec_lo, s9
	s_and_saveexec_b32 s9, s6
	s_cbranch_execnz .LBB187_50
.LBB187_42:                             ;   in Loop: Header=BB187_35 Depth=1
	s_or_b32 exec_lo, exec_lo, s9
	s_and_saveexec_b32 s9, s7
	s_cbranch_execnz .LBB187_51
.LBB187_43:                             ;   in Loop: Header=BB187_35 Depth=1
	s_or_b32 exec_lo, exec_lo, s9
	s_and_saveexec_b32 s7, vcc_lo
	s_cbranch_execz .LBB187_34
	s_branch .LBB187_52
.LBB187_44:                             ;   in Loop: Header=BB187_35 Depth=1
	ds_load_b32 v9, v5 offset:12288
	s_waitcnt lgkmcnt(0)
	v_add_nc_u32_e32 v8, v9, v8
	s_or_b32 exec_lo, exec_lo, s9
	s_and_saveexec_b32 s9, s1
	s_cbranch_execz .LBB187_37
.LBB187_45:                             ;   in Loop: Header=BB187_35 Depth=1
	ds_load_b32 v9, v5 offset:12292
	s_waitcnt lgkmcnt(0)
	v_add_nc_u32_e32 v8, v9, v8
	s_or_b32 exec_lo, exec_lo, s9
	s_and_saveexec_b32 s9, s2
	s_cbranch_execz .LBB187_38
.LBB187_46:                             ;   in Loop: Header=BB187_35 Depth=1
	ds_load_b32 v9, v5 offset:12296
	s_waitcnt lgkmcnt(0)
	v_add_nc_u32_e32 v8, v9, v8
	s_or_b32 exec_lo, exec_lo, s9
	s_and_saveexec_b32 s9, s3
	s_cbranch_execz .LBB187_39
.LBB187_47:                             ;   in Loop: Header=BB187_35 Depth=1
	ds_load_b32 v9, v5 offset:12300
	s_waitcnt lgkmcnt(0)
	v_add_nc_u32_e32 v8, v9, v8
	s_or_b32 exec_lo, exec_lo, s9
	s_and_saveexec_b32 s9, s4
	s_cbranch_execz .LBB187_40
.LBB187_48:                             ;   in Loop: Header=BB187_35 Depth=1
	ds_load_b32 v9, v5 offset:12304
	s_waitcnt lgkmcnt(0)
	v_add_nc_u32_e32 v8, v9, v8
	s_or_b32 exec_lo, exec_lo, s9
	s_and_saveexec_b32 s9, s5
	s_cbranch_execz .LBB187_41
.LBB187_49:                             ;   in Loop: Header=BB187_35 Depth=1
	ds_load_b32 v9, v5 offset:12308
	s_waitcnt lgkmcnt(0)
	v_add_nc_u32_e32 v8, v9, v8
	s_or_b32 exec_lo, exec_lo, s9
	s_and_saveexec_b32 s9, s6
	s_cbranch_execz .LBB187_42
.LBB187_50:                             ;   in Loop: Header=BB187_35 Depth=1
	ds_load_b32 v9, v5 offset:12312
	s_waitcnt lgkmcnt(0)
	v_add_nc_u32_e32 v8, v9, v8
	s_or_b32 exec_lo, exec_lo, s9
	s_and_saveexec_b32 s9, s7
	s_cbranch_execz .LBB187_43
.LBB187_51:                             ;   in Loop: Header=BB187_35 Depth=1
	s_delay_alu instid0(VALU_DEP_1) | instskip(NEXT) | instid1(VALU_DEP_1)
	v_add3_u32 v9, v6, -1, v8
	v_lshl_add_u32 v10, v9, 2, 0
	v_lshl_add_u32 v9, v9, 3, 0
	ds_store_b32 v10, v7
	ds_store_b64 v9, v[2:3] offset:4096
	s_or_b32 exec_lo, exec_lo, s9
	s_and_saveexec_b32 s7, vcc_lo
	s_cbranch_execz .LBB187_34
.LBB187_52:                             ;   in Loop: Header=BB187_35 Depth=1
	ds_store_b32 v5, v8 offset:12316
	s_branch .LBB187_34
.LBB187_53:                             ;   in Loop: Header=BB187_54 Depth=1
	s_or_b32 exec_lo, exec_lo, s4
	v_add_co_u32 v3, vcc_lo, 0x200, v3
	v_add_co_ci_u32_e32 v4, vcc_lo, 0, v4, vcc_lo
	s_delay_alu instid0(VALU_DEP_1) | instskip(SKIP_1) | instid1(SALU_CYCLE_1)
	v_cmp_le_i64_e32 vcc_lo, s[0:1], v[3:4]
	s_or_b32 s3, vcc_lo, s3
	s_and_not1_b32 exec_lo, exec_lo, s3
	s_cbranch_execz .LBB187_32
.LBB187_54:                             ; =>This Loop Header: Depth=1
                                        ;     Child Loop BB187_56 Depth 2
                                        ;       Child Loop BB187_62 Depth 3
                                        ;       Child Loop BB187_68 Depth 3
	v_lshlrev_b64 v[5:6], 3, v[3:4]
	v_lshlrev_b64 v[7:8], 2, v[3:4]
	s_mov_b32 s4, 0
	s_delay_alu instid0(VALU_DEP_2) | instskip(NEXT) | instid1(VALU_DEP_3)
	v_add_co_u32 v5, vcc_lo, s8, v5
	v_add_co_ci_u32_e32 v6, vcc_lo, s9, v6, vcc_lo
	s_delay_alu instid0(VALU_DEP_3) | instskip(NEXT) | instid1(VALU_DEP_4)
	v_add_co_u32 v7, vcc_lo, s6, v7
	v_add_co_ci_u32_e32 v8, vcc_lo, s7, v8, vcc_lo
	global_load_b64 v[5:6], v[5:6], off
	global_load_b32 v7, v[7:8], off
	s_waitcnt vmcnt(1)
	v_mul_f64 v[5:6], v[1:2], v[5:6]
	s_waitcnt vmcnt(0)
	v_subrev_nc_u32_e32 v9, s27, v7
	s_delay_alu instid0(VALU_DEP_1) | instskip(NEXT) | instid1(VALU_DEP_1)
	v_mul_lo_u32 v7, 0x89, v9
	v_and_b32_e32 v10, 0x3ff, v7
	s_branch .LBB187_56
.LBB187_55:                             ;   in Loop: Header=BB187_56 Depth=2
	s_or_b32 exec_lo, exec_lo, s5
	s_xor_b32 s5, s15, -1
	s_delay_alu instid0(SALU_CYCLE_1) | instskip(NEXT) | instid1(SALU_CYCLE_1)
	s_and_b32 s5, exec_lo, s5
	s_or_b32 s4, s5, s4
	s_delay_alu instid0(SALU_CYCLE_1)
	s_and_not1_b32 exec_lo, exec_lo, s4
	s_cbranch_execz .LBB187_53
.LBB187_56:                             ;   Parent Loop BB187_54 Depth=1
                                        ; =>  This Loop Header: Depth=2
                                        ;       Child Loop BB187_62 Depth 3
                                        ;       Child Loop BB187_68 Depth 3
	s_delay_alu instid0(VALU_DEP_1)
	v_lshl_add_u32 v7, v10, 2, 0
	s_mov_b32 s5, exec_lo
                                        ; implicit-def: $sgpr15
	ds_load_b32 v8, v7
	s_waitcnt lgkmcnt(0)
	v_cmpx_ne_u32_e64 v8, v9
	s_xor_b32 s5, exec_lo, s5
	s_cbranch_execz .LBB187_66
; %bb.57:                               ;   in Loop: Header=BB187_56 Depth=2
	s_mov_b32 s16, exec_lo
                                        ; implicit-def: $sgpr15
	v_cmpx_ne_u32_e64 s33, v8
	s_xor_b32 s16, exec_lo, s16
; %bb.58:                               ;   in Loop: Header=BB187_56 Depth=2
	v_add_nc_u32_e32 v7, 1, v10
	s_mov_b32 s15, -1
	s_delay_alu instid0(VALU_DEP_1)
	v_and_b32_e32 v10, 0x3ff, v7
                                        ; implicit-def: $vgpr7
; %bb.59:                               ;   in Loop: Header=BB187_56 Depth=2
	s_and_not1_saveexec_b32 s16, s16
	s_cbranch_execz .LBB187_65
; %bb.60:                               ;   in Loop: Header=BB187_56 Depth=2
	v_mov_b32_e32 v8, s33
	s_mov_b32 s18, -1
	s_mov_b32 s17, exec_lo
	ds_cmpstore_rtn_b32 v8, v7, v9, v8
	s_waitcnt lgkmcnt(0)
	v_cmpx_eq_u32_e64 s33, v8
	s_cbranch_execz .LBB187_64
; %bb.61:                               ;   in Loop: Header=BB187_56 Depth=2
	v_lshlrev_b32_e32 v8, 2, v10
	s_mov_b32 s18, 0
	s_delay_alu instid0(VALU_DEP_1)
	v_add_nc_u32_e32 v11, v7, v8
	ds_load_b64 v[7:8], v11 offset:4096
.LBB187_62:                             ;   Parent Loop BB187_54 Depth=1
                                        ;     Parent Loop BB187_56 Depth=2
                                        ; =>    This Inner Loop Header: Depth=3
	s_waitcnt lgkmcnt(0)
	v_add_f64 v[12:13], v[7:8], v[5:6]
	ds_cmpstore_rtn_b64 v[12:13], v11, v[12:13], v[7:8] offset:4096
	s_waitcnt lgkmcnt(0)
	v_cmp_eq_u64_e32 vcc_lo, v[12:13], v[7:8]
	v_dual_mov_b32 v7, v12 :: v_dual_mov_b32 v8, v13
	s_or_b32 s18, vcc_lo, s18
	s_delay_alu instid0(SALU_CYCLE_1)
	s_and_not1_b32 exec_lo, exec_lo, s18
	s_cbranch_execnz .LBB187_62
; %bb.63:                               ;   in Loop: Header=BB187_56 Depth=2
	s_or_b32 exec_lo, exec_lo, s18
	s_delay_alu instid0(SALU_CYCLE_1)
	s_xor_b32 s18, exec_lo, -1
.LBB187_64:                             ;   in Loop: Header=BB187_56 Depth=2
	s_or_b32 exec_lo, exec_lo, s17
	s_delay_alu instid0(SALU_CYCLE_1) | instskip(SKIP_1) | instid1(SALU_CYCLE_1)
	s_and_not1_b32 s15, s15, exec_lo
	s_and_b32 s17, s18, exec_lo
	s_or_b32 s15, s15, s17
.LBB187_65:                             ;   in Loop: Header=BB187_56 Depth=2
	s_or_b32 exec_lo, exec_lo, s16
	s_delay_alu instid0(SALU_CYCLE_1)
	s_and_b32 s15, s15, exec_lo
                                        ; implicit-def: $vgpr7
.LBB187_66:                             ;   in Loop: Header=BB187_56 Depth=2
	s_and_not1_saveexec_b32 s5, s5
	s_cbranch_execz .LBB187_55
; %bb.67:                               ;   in Loop: Header=BB187_56 Depth=2
	v_lshlrev_b32_e32 v8, 2, v10
	s_mov_b32 s16, 0
	s_delay_alu instid0(VALU_DEP_1)
	v_add_nc_u32_e32 v11, v7, v8
	ds_load_b64 v[7:8], v11 offset:4096
.LBB187_68:                             ;   Parent Loop BB187_54 Depth=1
                                        ;     Parent Loop BB187_56 Depth=2
                                        ; =>    This Inner Loop Header: Depth=3
	s_waitcnt lgkmcnt(0)
	v_add_f64 v[12:13], v[7:8], v[5:6]
	ds_cmpstore_rtn_b64 v[12:13], v11, v[12:13], v[7:8] offset:4096
	s_waitcnt lgkmcnt(0)
	v_cmp_eq_u64_e32 vcc_lo, v[12:13], v[7:8]
	v_dual_mov_b32 v7, v12 :: v_dual_mov_b32 v8, v13
	s_or_b32 s16, vcc_lo, s16
	s_delay_alu instid0(SALU_CYCLE_1)
	s_and_not1_b32 exec_lo, exec_lo, s16
	s_cbranch_execnz .LBB187_68
; %bb.69:                               ;   in Loop: Header=BB187_56 Depth=2
	s_or_b32 exec_lo, exec_lo, s16
	s_delay_alu instid0(SALU_CYCLE_1)
	s_and_not1_b32 s15, s15, exec_lo
	s_branch .LBB187_55
.LBB187_70:
	s_or_b32 exec_lo, exec_lo, s8
	s_ashr_i32 s15, s14, 31
	s_mov_b32 s4, exec_lo
	s_lshl_b64 s[0:1], s[14:15], 3
	s_delay_alu instid0(SALU_CYCLE_1) | instskip(SKIP_4) | instid1(SALU_CYCLE_1)
	s_add_u32 s0, s10, s0
	s_addc_u32 s1, s11, s1
	s_load_b128 s[0:3], s[0:1], 0x0
	s_waitcnt lgkmcnt(0)
	s_sub_i32 s3, s2, s0
	v_cmpx_gt_i32_e64 s3, v0
	s_cbranch_execz .LBB187_80
; %bb.71:
	s_sub_u32 s4, s0, s26
	s_subb_u32 s5, s1, 0
	s_sub_i32 s0, s0, s2
	s_and_b32 s1, s3, 7
	s_cmp_lt_u32 s0, -7
	s_mov_b32 s8, 0
	s_cselect_b32 s2, -1, 0
	s_and_b32 s6, s3, -8
	s_cmp_lg_u32 s1, 0
	s_cselect_b32 s7, -1, 0
	s_branch .LBB187_73
.LBB187_72:                             ;   in Loop: Header=BB187_73 Depth=1
	s_delay_alu instid0(VALU_DEP_1) | instskip(SKIP_1) | instid1(VALU_DEP_1)
	v_lshlrev_b64 v[3:4], 3, v[3:4]
	v_add_nc_u32_e32 v0, 0x200, v0
	v_cmp_le_i32_e32 vcc_lo, s3, v0
	s_delay_alu instid0(VALU_DEP_3) | instskip(NEXT) | instid1(VALU_DEP_1)
	v_add_co_u32 v3, s0, s12, v3
	v_add_co_ci_u32_e64 v4, s0, s13, v4, s0
	s_or_b32 s8, vcc_lo, s8
	s_waitcnt lgkmcnt(0)
	global_store_b64 v[3:4], v[1:2], off
	s_and_not1_b32 exec_lo, exec_lo, s8
	s_cbranch_execz .LBB187_80
.LBB187_73:                             ; =>This Loop Header: Depth=1
                                        ;     Child Loop BB187_75 Depth 2
                                        ;     Child Loop BB187_79 Depth 2
	v_lshlrev_b32_e32 v1, 2, v0
	v_dual_mov_b32 v3, s4 :: v_dual_mov_b32 v4, s5
	s_and_not1_b32 vcc_lo, exec_lo, s2
	s_mov_b32 s0, 0
	s_delay_alu instid0(VALU_DEP_2) | instskip(NEXT) | instid1(VALU_DEP_1)
	v_add_nc_u32_e32 v2, 0, v1
	v_add_nc_u32_e32 v1, v2, v1
	ds_load_b32 v5, v2
	ds_load_b64 v[1:2], v1 offset:4096
	s_cbranch_vccnz .LBB187_77
; %bb.74:                               ;   in Loop: Header=BB187_73 Depth=1
	v_dual_mov_b32 v3, s4 :: v_dual_mov_b32 v4, s5
	s_mov_b32 s9, 0
	s_mov_b32 s10, 0
.LBB187_75:                             ;   Parent Loop BB187_73 Depth=1
                                        ; =>  This Inner Loop Header: Depth=2
	s_delay_alu instid0(SALU_CYCLE_1)
	v_mov_b32_e32 v12, s10
	s_add_i32 s9, s9, 8
	s_add_i32 s10, s10, 32
	s_cmp_eq_u32 s6, s9
	ds_load_2addr_b32 v[6:7], v12 offset1:1
	ds_load_2addr_b32 v[8:9], v12 offset0:2 offset1:3
	ds_load_2addr_b32 v[10:11], v12 offset0:4 offset1:5
	ds_load_2addr_b32 v[12:13], v12 offset0:6 offset1:7
	s_waitcnt lgkmcnt(3)
	v_cmp_gt_i32_e32 vcc_lo, v5, v6
	v_cndmask_b32_e64 v6, 0, 1, vcc_lo
	v_cmp_gt_i32_e32 vcc_lo, v5, v7
	v_cndmask_b32_e64 v7, 0, 1, vcc_lo
	s_waitcnt lgkmcnt(2)
	v_cmp_gt_i32_e32 vcc_lo, v5, v8
	v_cndmask_b32_e64 v8, 0, 1, vcc_lo
	v_cmp_gt_i32_e32 vcc_lo, v5, v9
	v_cndmask_b32_e64 v9, 0, 1, vcc_lo
	s_waitcnt lgkmcnt(1)
	v_cmp_gt_i32_e32 vcc_lo, v5, v10
	v_cndmask_b32_e64 v10, 0, 1, vcc_lo
	v_add_co_u32 v3, vcc_lo, v3, v6
	v_add_co_ci_u32_e32 v4, vcc_lo, 0, v4, vcc_lo
	v_cmp_gt_i32_e32 vcc_lo, v5, v11
	s_delay_alu instid0(VALU_DEP_3) | instskip(NEXT) | instid1(VALU_DEP_1)
	v_add_co_u32 v3, s0, v3, v7
	v_add_co_ci_u32_e64 v4, s0, 0, v4, s0
	v_cndmask_b32_e64 v6, 0, 1, vcc_lo
	s_delay_alu instid0(VALU_DEP_3) | instskip(NEXT) | instid1(VALU_DEP_3)
	v_add_co_u32 v3, vcc_lo, v3, v8
	v_add_co_ci_u32_e32 v4, vcc_lo, 0, v4, vcc_lo
	s_waitcnt lgkmcnt(0)
	v_cmp_gt_i32_e32 vcc_lo, v5, v12
	s_delay_alu instid0(VALU_DEP_3) | instskip(NEXT) | instid1(VALU_DEP_1)
	v_add_co_u32 v3, s0, v3, v9
	v_add_co_ci_u32_e64 v4, s0, 0, v4, s0
	v_cndmask_b32_e64 v7, 0, 1, vcc_lo
	s_delay_alu instid0(VALU_DEP_3) | instskip(NEXT) | instid1(VALU_DEP_3)
	v_add_co_u32 v3, vcc_lo, v3, v10
	v_add_co_ci_u32_e32 v4, vcc_lo, 0, v4, vcc_lo
	v_cmp_gt_i32_e32 vcc_lo, v5, v13
	s_delay_alu instid0(VALU_DEP_3) | instskip(NEXT) | instid1(VALU_DEP_1)
	v_add_co_u32 v3, s0, v3, v6
	v_add_co_ci_u32_e64 v4, s0, 0, v4, s0
	v_cndmask_b32_e64 v6, 0, 1, vcc_lo
	s_delay_alu instid0(VALU_DEP_3) | instskip(NEXT) | instid1(VALU_DEP_3)
	v_add_co_u32 v3, vcc_lo, v3, v7
	v_add_co_ci_u32_e32 v4, vcc_lo, 0, v4, vcc_lo
	s_delay_alu instid0(VALU_DEP_2) | instskip(NEXT) | instid1(VALU_DEP_2)
	v_add_co_u32 v3, vcc_lo, v3, v6
	v_add_co_ci_u32_e32 v4, vcc_lo, 0, v4, vcc_lo
	s_cbranch_scc0 .LBB187_75
; %bb.76:                               ;   in Loop: Header=BB187_73 Depth=1
	s_mov_b32 s0, s6
.LBB187_77:                             ;   in Loop: Header=BB187_73 Depth=1
	s_and_not1_b32 vcc_lo, exec_lo, s7
	s_cbranch_vccnz .LBB187_72
; %bb.78:                               ;   in Loop: Header=BB187_73 Depth=1
	s_lshl_b32 s0, s0, 2
	s_mov_b32 s9, s1
	s_add_i32 s0, s0, 0
.LBB187_79:                             ;   Parent Loop BB187_73 Depth=1
                                        ; =>  This Inner Loop Header: Depth=2
	s_delay_alu instid0(SALU_CYCLE_1)
	v_mov_b32_e32 v6, s0
	s_add_i32 s9, s9, -1
	s_add_i32 s0, s0, 4
	s_cmp_lg_u32 s9, 0
	ds_load_b32 v6, v6
	s_waitcnt lgkmcnt(0)
	v_cmp_gt_i32_e32 vcc_lo, v5, v6
	v_cndmask_b32_e64 v6, 0, 1, vcc_lo
	s_delay_alu instid0(VALU_DEP_1)
	v_add_co_u32 v3, vcc_lo, v3, v6
	v_add_co_ci_u32_e32 v4, vcc_lo, 0, v4, vcc_lo
	s_cbranch_scc1 .LBB187_79
	s_branch .LBB187_72
.LBB187_80:
	s_nop 0
	s_sendmsg sendmsg(MSG_DEALLOC_VGPRS)
	s_endpgm
	.section	.rodata,"a",@progbits
	.p2align	6, 0x0
	.amdhsa_kernel _ZN9rocsparseL41csrgemm_numeric_fill_block_per_row_kernelILj512ELj32ELj1024ELj137ELj64ElidEEvT5_PKS1_S3_NS_24const_host_device_scalarIT6_EEPKT4_S3_PKS5_S9_S3_SB_S6_S9_S3_SB_S9_S3_PS5_21rocsparse_index_base_SD_SD_SD_bbb
		.amdhsa_group_segment_fixed_size 0
		.amdhsa_private_segment_fixed_size 0
		.amdhsa_kernarg_size 156
		.amdhsa_user_sgpr_count 15
		.amdhsa_user_sgpr_dispatch_ptr 0
		.amdhsa_user_sgpr_queue_ptr 0
		.amdhsa_user_sgpr_kernarg_segment_ptr 1
		.amdhsa_user_sgpr_dispatch_id 0
		.amdhsa_user_sgpr_private_segment_size 0
		.amdhsa_wavefront_size32 1
		.amdhsa_uses_dynamic_stack 0
		.amdhsa_enable_private_segment 0
		.amdhsa_system_sgpr_workgroup_id_x 1
		.amdhsa_system_sgpr_workgroup_id_y 0
		.amdhsa_system_sgpr_workgroup_id_z 0
		.amdhsa_system_sgpr_workgroup_info 0
		.amdhsa_system_vgpr_workitem_id 0
		.amdhsa_next_free_vgpr 27
		.amdhsa_next_free_sgpr 42
		.amdhsa_reserve_vcc 1
		.amdhsa_float_round_mode_32 0
		.amdhsa_float_round_mode_16_64 0
		.amdhsa_float_denorm_mode_32 3
		.amdhsa_float_denorm_mode_16_64 3
		.amdhsa_dx10_clamp 1
		.amdhsa_ieee_mode 1
		.amdhsa_fp16_overflow 0
		.amdhsa_workgroup_processor_mode 1
		.amdhsa_memory_ordered 1
		.amdhsa_forward_progress 0
		.amdhsa_shared_vgpr_count 0
		.amdhsa_exception_fp_ieee_invalid_op 0
		.amdhsa_exception_fp_denorm_src 0
		.amdhsa_exception_fp_ieee_div_zero 0
		.amdhsa_exception_fp_ieee_overflow 0
		.amdhsa_exception_fp_ieee_underflow 0
		.amdhsa_exception_fp_ieee_inexact 0
		.amdhsa_exception_int_div_zero 0
	.end_amdhsa_kernel
	.section	.text._ZN9rocsparseL41csrgemm_numeric_fill_block_per_row_kernelILj512ELj32ELj1024ELj137ELj64ElidEEvT5_PKS1_S3_NS_24const_host_device_scalarIT6_EEPKT4_S3_PKS5_S9_S3_SB_S6_S9_S3_SB_S9_S3_PS5_21rocsparse_index_base_SD_SD_SD_bbb,"axG",@progbits,_ZN9rocsparseL41csrgemm_numeric_fill_block_per_row_kernelILj512ELj32ELj1024ELj137ELj64ElidEEvT5_PKS1_S3_NS_24const_host_device_scalarIT6_EEPKT4_S3_PKS5_S9_S3_SB_S6_S9_S3_SB_S9_S3_PS5_21rocsparse_index_base_SD_SD_SD_bbb,comdat
.Lfunc_end187:
	.size	_ZN9rocsparseL41csrgemm_numeric_fill_block_per_row_kernelILj512ELj32ELj1024ELj137ELj64ElidEEvT5_PKS1_S3_NS_24const_host_device_scalarIT6_EEPKT4_S3_PKS5_S9_S3_SB_S6_S9_S3_SB_S9_S3_PS5_21rocsparse_index_base_SD_SD_SD_bbb, .Lfunc_end187-_ZN9rocsparseL41csrgemm_numeric_fill_block_per_row_kernelILj512ELj32ELj1024ELj137ELj64ElidEEvT5_PKS1_S3_NS_24const_host_device_scalarIT6_EEPKT4_S3_PKS5_S9_S3_SB_S6_S9_S3_SB_S9_S3_PS5_21rocsparse_index_base_SD_SD_SD_bbb
                                        ; -- End function
	.section	.AMDGPU.csdata,"",@progbits
; Kernel info:
; codeLenInByte = 3336
; NumSgprs: 44
; NumVgprs: 27
; ScratchSize: 0
; MemoryBound: 0
; FloatMode: 240
; IeeeMode: 1
; LDSByteSize: 0 bytes/workgroup (compile time only)
; SGPRBlocks: 5
; VGPRBlocks: 3
; NumSGPRsForWavesPerEU: 44
; NumVGPRsForWavesPerEU: 27
; Occupancy: 16
; WaveLimiterHint : 1
; COMPUTE_PGM_RSRC2:SCRATCH_EN: 0
; COMPUTE_PGM_RSRC2:USER_SGPR: 15
; COMPUTE_PGM_RSRC2:TRAP_HANDLER: 0
; COMPUTE_PGM_RSRC2:TGID_X_EN: 1
; COMPUTE_PGM_RSRC2:TGID_Y_EN: 0
; COMPUTE_PGM_RSRC2:TGID_Z_EN: 0
; COMPUTE_PGM_RSRC2:TIDIG_COMP_CNT: 0
	.section	.text._ZN9rocsparseL41csrgemm_numeric_fill_block_per_row_kernelILj1024ELj32ELj2048ELj137ELj32ElidEEvT5_PKS1_S3_NS_24const_host_device_scalarIT6_EEPKT4_S3_PKS5_S9_S3_SB_S6_S9_S3_SB_S9_S3_PS5_21rocsparse_index_base_SD_SD_SD_bbb,"axG",@progbits,_ZN9rocsparseL41csrgemm_numeric_fill_block_per_row_kernelILj1024ELj32ELj2048ELj137ELj32ElidEEvT5_PKS1_S3_NS_24const_host_device_scalarIT6_EEPKT4_S3_PKS5_S9_S3_SB_S6_S9_S3_SB_S9_S3_PS5_21rocsparse_index_base_SD_SD_SD_bbb,comdat
	.globl	_ZN9rocsparseL41csrgemm_numeric_fill_block_per_row_kernelILj1024ELj32ELj2048ELj137ELj32ElidEEvT5_PKS1_S3_NS_24const_host_device_scalarIT6_EEPKT4_S3_PKS5_S9_S3_SB_S6_S9_S3_SB_S9_S3_PS5_21rocsparse_index_base_SD_SD_SD_bbb ; -- Begin function _ZN9rocsparseL41csrgemm_numeric_fill_block_per_row_kernelILj1024ELj32ELj2048ELj137ELj32ElidEEvT5_PKS1_S3_NS_24const_host_device_scalarIT6_EEPKT4_S3_PKS5_S9_S3_SB_S6_S9_S3_SB_S9_S3_PS5_21rocsparse_index_base_SD_SD_SD_bbb
	.p2align	8
	.type	_ZN9rocsparseL41csrgemm_numeric_fill_block_per_row_kernelILj1024ELj32ELj2048ELj137ELj32ElidEEvT5_PKS1_S3_NS_24const_host_device_scalarIT6_EEPKT4_S3_PKS5_S9_S3_SB_S6_S9_S3_SB_S9_S3_PS5_21rocsparse_index_base_SD_SD_SD_bbb,@function
_ZN9rocsparseL41csrgemm_numeric_fill_block_per_row_kernelILj1024ELj32ELj2048ELj137ELj32ElidEEvT5_PKS1_S3_NS_24const_host_device_scalarIT6_EEPKT4_S3_PKS5_S9_S3_SB_S6_S9_S3_SB_S9_S3_PS5_21rocsparse_index_base_SD_SD_SD_bbb: ; @_ZN9rocsparseL41csrgemm_numeric_fill_block_per_row_kernelILj1024ELj32ELj2048ELj137ELj32ElidEEvT5_PKS1_S3_NS_24const_host_device_scalarIT6_EEPKT4_S3_PKS5_S9_S3_SB_S6_S9_S3_SB_S9_S3_PS5_21rocsparse_index_base_SD_SD_SD_bbb
; %bb.0:
	s_clause 0x3
	s_load_b32 s12, s[0:1], 0x98
	s_load_b64 s[4:5], s[0:1], 0x18
	s_load_b128 s[44:47], s[0:1], 0x88
	s_load_b64 s[2:3], s[0:1], 0x50
	s_waitcnt lgkmcnt(0)
	s_and_b32 s6, 1, s12
	s_bitcmp1_b32 s12, 16
	s_cselect_b32 s14, -1, 0
	s_cmp_eq_u32 s6, 1
	s_cselect_b32 s13, -1, 0
	s_delay_alu instid0(SALU_CYCLE_1)
	s_and_b32 s6, s13, exec_lo
	s_cselect_b32 s7, s5, 0
	s_cselect_b32 s6, s4, 0
	s_xor_b32 s8, s13, -1
	v_dual_mov_b32 v3, s6 :: v_dual_mov_b32 v4, s7
	s_or_b32 s8, s8, s14
	s_delay_alu instid0(SALU_CYCLE_1)
	s_and_b32 vcc_lo, exec_lo, s8
	s_cbranch_vccnz .LBB188_2
; %bb.1:
	v_dual_mov_b32 v1, s4 :: v_dual_mov_b32 v2, s5
	flat_load_b64 v[3:4], v[1:2]
.LBB188_2:
	s_clause 0x4
	s_load_b64 s[34:35], s[0:1], 0x80
	s_load_b256 s[36:43], s[0:1], 0x58
	s_load_b128 s[16:19], s[0:1], 0x40
	s_load_b128 s[20:23], s[0:1], 0x8
	s_load_b256 s[4:11], s[0:1], 0x20
	s_bitcmp1_b32 s12, 8
	s_cselect_b32 s12, -1, 0
	s_delay_alu instid0(SALU_CYCLE_1)
	s_and_b32 s24, s12, exec_lo
	s_cselect_b32 s25, s3, 0
	s_cselect_b32 s24, s2, 0
	s_xor_b32 s26, s12, -1
	v_dual_mov_b32 v1, s24 :: v_dual_mov_b32 v2, s25
	s_or_b32 s14, s26, s14
	s_delay_alu instid0(SALU_CYCLE_1)
	s_and_b32 vcc_lo, exec_lo, s14
	s_cbranch_vccnz .LBB188_4
; %bb.3:
	v_dual_mov_b32 v1, s2 :: v_dual_mov_b32 v2, s3
	flat_load_b64 v[1:2], v[1:2]
.LBB188_4:
	s_load_b32 s33, s[0:1], 0x0
	v_dual_mov_b32 v5, 0 :: v_dual_lshlrev_b32 v6, 3, v0
	v_lshl_add_u32 v17, v0, 2, 0
	v_or_b32_e32 v18, 0xfffffc00, v0
	s_mov_b32 s0, 0
	s_delay_alu instid0(VALU_DEP_3) | instskip(SKIP_1) | instid1(VALU_DEP_3)
	v_add3_u32 v19, v6, 0, 0x2000
	v_mov_b32_e32 v6, v5
	v_dual_mov_b32 v7, v17 :: v_dual_mov_b32 v8, v18
	s_waitcnt lgkmcnt(0)
	s_delay_alu instid0(VALU_DEP_3)
	v_dual_mov_b32 v10, v19 :: v_dual_mov_b32 v9, s33
.LBB188_5:                              ; =>This Inner Loop Header: Depth=1
	s_delay_alu instid0(VALU_DEP_2) | instskip(NEXT) | instid1(VALU_DEP_1)
	v_add_co_u32 v8, s1, 0x400, v8
	s_xor_b32 s1, s1, -1
	ds_store_b32 v7, v9
	ds_store_b64 v10, v[5:6]
	v_add_nc_u32_e32 v10, 0x2000, v10
	v_add_nc_u32_e32 v7, 0x1000, v7
	s_and_b32 s1, exec_lo, s1
	s_delay_alu instid0(SALU_CYCLE_1) | instskip(NEXT) | instid1(SALU_CYCLE_1)
	s_or_b32 s0, s1, s0
	s_and_not1_b32 exec_lo, exec_lo, s0
	s_cbranch_execnz .LBB188_5
; %bb.6:
	s_or_b32 exec_lo, exec_lo, s0
	s_waitcnt vmcnt(0) lgkmcnt(0)
	s_barrier
	buffer_gl0_inv
	s_load_b32 s0, s[20:21], 0x0
	s_mov_b32 s1, 0
	v_lshrrev_b32_e32 v20, 5, v0
	s_waitcnt lgkmcnt(0)
	s_add_i32 s0, s0, s15
	s_delay_alu instid0(SALU_CYCLE_1) | instskip(NEXT) | instid1(SALU_CYCLE_1)
	s_lshl_b64 s[0:1], s[0:1], 2
	s_add_u32 s0, s22, s0
	s_addc_u32 s1, s23, s1
	s_and_b32 vcc_lo, exec_lo, s13
	s_load_b32 s48, s[0:1], 0x0
	s_cbranch_vccz .LBB188_30
; %bb.7:
	s_waitcnt lgkmcnt(0)
	s_ashr_i32 s49, s48, 31
	s_delay_alu instid0(SALU_CYCLE_1) | instskip(NEXT) | instid1(SALU_CYCLE_1)
	s_lshl_b64 s[0:1], s[48:49], 3
	s_add_u32 s0, s4, s0
	s_addc_u32 s1, s5, s1
	v_sub_co_u32 v5, s4, v20, s44
	s_load_b128 s[0:3], s[0:1], 0x0
	v_sub_co_ci_u32_e64 v6, null, 0, 0, s4
	s_waitcnt lgkmcnt(0)
	s_delay_alu instid0(VALU_DEP_2) | instskip(NEXT) | instid1(VALU_DEP_2)
	v_add_co_u32 v5, vcc_lo, s0, v5
	v_add_co_ci_u32_e32 v6, vcc_lo, s1, v6, vcc_lo
	s_sub_u32 s0, s2, s44
	s_subb_u32 s1, s3, 0
	s_mov_b32 s2, exec_lo
	s_delay_alu instid0(VALU_DEP_1)
	v_cmpx_gt_i64_e64 s[0:1], v[5:6]
	s_cbranch_execz .LBB188_29
; %bb.8:
	v_and_b32_e32 v7, 31, v0
	s_mov_b32 s4, s45
	s_delay_alu instid0(VALU_DEP_1) | instskip(NEXT) | instid1(VALU_DEP_1)
	v_sub_co_u32 v21, s3, v7, s45
	v_sub_co_ci_u32_e64 v22, null, 0, 0, s3
	s_mov_b32 s3, 0
	s_branch .LBB188_10
.LBB188_9:                              ;   in Loop: Header=BB188_10 Depth=1
	s_or_b32 exec_lo, exec_lo, s5
	v_add_co_u32 v5, vcc_lo, v5, 32
	v_add_co_ci_u32_e32 v6, vcc_lo, 0, v6, vcc_lo
	s_delay_alu instid0(VALU_DEP_1) | instskip(SKIP_1) | instid1(SALU_CYCLE_1)
	v_cmp_le_i64_e32 vcc_lo, s[0:1], v[5:6]
	s_or_b32 s3, vcc_lo, s3
	s_and_not1_b32 exec_lo, exec_lo, s3
	s_cbranch_execz .LBB188_29
.LBB188_10:                             ; =>This Loop Header: Depth=1
                                        ;     Child Loop BB188_13 Depth 2
                                        ;       Child Loop BB188_15 Depth 3
                                        ;         Child Loop BB188_21 Depth 4
                                        ;         Child Loop BB188_27 Depth 4
	v_lshlrev_b64 v[7:8], 2, v[5:6]
	s_mov_b32 s5, exec_lo
	s_delay_alu instid0(VALU_DEP_1) | instskip(NEXT) | instid1(VALU_DEP_2)
	v_add_co_u32 v7, vcc_lo, s6, v7
	v_add_co_ci_u32_e32 v8, vcc_lo, s7, v8, vcc_lo
	global_load_b32 v7, v[7:8], off
	s_waitcnt vmcnt(0)
	v_subrev_nc_u32_e32 v7, s44, v7
	s_delay_alu instid0(VALU_DEP_1) | instskip(NEXT) | instid1(VALU_DEP_1)
	v_ashrrev_i32_e32 v8, 31, v7
	v_lshlrev_b64 v[7:8], 3, v[7:8]
	s_delay_alu instid0(VALU_DEP_1) | instskip(NEXT) | instid1(VALU_DEP_2)
	v_add_co_u32 v7, vcc_lo, s10, v7
	v_add_co_ci_u32_e32 v8, vcc_lo, s11, v8, vcc_lo
	global_load_b128 v[9:12], v[7:8], off
	s_waitcnt vmcnt(0)
	v_sub_co_u32 v7, vcc_lo, v11, s4
	v_subrev_co_ci_u32_e32 v8, vcc_lo, 0, v12, vcc_lo
	v_add_co_u32 v9, vcc_lo, v9, v21
	v_add_co_ci_u32_e32 v10, vcc_lo, v10, v22, vcc_lo
	s_delay_alu instid0(VALU_DEP_1)
	v_cmpx_lt_i64_e64 v[9:10], v[7:8]
	s_cbranch_execz .LBB188_9
; %bb.11:                               ;   in Loop: Header=BB188_10 Depth=1
	v_lshlrev_b64 v[11:12], 3, v[5:6]
	s_mov_b32 s13, 0
	s_delay_alu instid0(VALU_DEP_1) | instskip(NEXT) | instid1(VALU_DEP_2)
	v_add_co_u32 v11, vcc_lo, s8, v11
	v_add_co_ci_u32_e32 v12, vcc_lo, s9, v12, vcc_lo
	global_load_b64 v[11:12], v[11:12], off
	s_waitcnt vmcnt(0)
	v_mul_f64 v[11:12], v[3:4], v[11:12]
	s_branch .LBB188_13
.LBB188_12:                             ;   in Loop: Header=BB188_13 Depth=2
	s_or_b32 exec_lo, exec_lo, s14
	v_add_co_u32 v9, vcc_lo, v9, 32
	v_add_co_ci_u32_e32 v10, vcc_lo, 0, v10, vcc_lo
	s_delay_alu instid0(VALU_DEP_1) | instskip(SKIP_1) | instid1(SALU_CYCLE_1)
	v_cmp_ge_i64_e32 vcc_lo, v[9:10], v[7:8]
	s_or_b32 s13, vcc_lo, s13
	s_and_not1_b32 exec_lo, exec_lo, s13
	s_cbranch_execz .LBB188_9
.LBB188_13:                             ;   Parent Loop BB188_10 Depth=1
                                        ; =>  This Loop Header: Depth=2
                                        ;       Child Loop BB188_15 Depth 3
                                        ;         Child Loop BB188_21 Depth 4
                                        ;         Child Loop BB188_27 Depth 4
	v_lshlrev_b64 v[13:14], 3, v[9:10]
	v_lshlrev_b64 v[15:16], 2, v[9:10]
	s_mov_b32 s14, 0
	s_delay_alu instid0(VALU_DEP_2) | instskip(NEXT) | instid1(VALU_DEP_3)
	v_add_co_u32 v13, vcc_lo, s18, v13
	v_add_co_ci_u32_e32 v14, vcc_lo, s19, v14, vcc_lo
	s_delay_alu instid0(VALU_DEP_3) | instskip(NEXT) | instid1(VALU_DEP_4)
	v_add_co_u32 v15, vcc_lo, s16, v15
	v_add_co_ci_u32_e32 v16, vcc_lo, s17, v16, vcc_lo
	global_load_b64 v[13:14], v[13:14], off
	global_load_b32 v15, v[15:16], off
	s_waitcnt vmcnt(1)
	v_mul_f64 v[13:14], v[11:12], v[13:14]
	s_waitcnt vmcnt(0)
	v_subrev_nc_u32_e32 v23, s45, v15
	s_delay_alu instid0(VALU_DEP_1) | instskip(NEXT) | instid1(VALU_DEP_1)
	v_mul_lo_u32 v15, 0x89, v23
	v_and_b32_e32 v24, 0x7ff, v15
	s_branch .LBB188_15
.LBB188_14:                             ;   in Loop: Header=BB188_15 Depth=3
	s_or_b32 exec_lo, exec_lo, s15
	s_xor_b32 s15, s20, -1
	s_delay_alu instid0(SALU_CYCLE_1) | instskip(NEXT) | instid1(SALU_CYCLE_1)
	s_and_b32 s15, exec_lo, s15
	s_or_b32 s14, s15, s14
	s_delay_alu instid0(SALU_CYCLE_1)
	s_and_not1_b32 exec_lo, exec_lo, s14
	s_cbranch_execz .LBB188_12
.LBB188_15:                             ;   Parent Loop BB188_10 Depth=1
                                        ;     Parent Loop BB188_13 Depth=2
                                        ; =>    This Loop Header: Depth=3
                                        ;         Child Loop BB188_21 Depth 4
                                        ;         Child Loop BB188_27 Depth 4
	s_delay_alu instid0(VALU_DEP_1)
	v_lshl_add_u32 v15, v24, 2, 0
	s_mov_b32 s15, exec_lo
                                        ; implicit-def: $sgpr20
	ds_load_b32 v16, v15
	s_waitcnt lgkmcnt(0)
	v_cmpx_ne_u32_e64 v16, v23
	s_xor_b32 s15, exec_lo, s15
	s_cbranch_execz .LBB188_25
; %bb.16:                               ;   in Loop: Header=BB188_15 Depth=3
	s_mov_b32 s21, exec_lo
                                        ; implicit-def: $sgpr20
	v_cmpx_ne_u32_e64 s33, v16
	s_xor_b32 s21, exec_lo, s21
; %bb.17:                               ;   in Loop: Header=BB188_15 Depth=3
	v_add_nc_u32_e32 v15, 1, v24
	s_mov_b32 s20, -1
	s_delay_alu instid0(VALU_DEP_1)
	v_and_b32_e32 v24, 0x7ff, v15
                                        ; implicit-def: $vgpr15
; %bb.18:                               ;   in Loop: Header=BB188_15 Depth=3
	s_and_not1_saveexec_b32 s21, s21
	s_cbranch_execz .LBB188_24
; %bb.19:                               ;   in Loop: Header=BB188_15 Depth=3
	v_mov_b32_e32 v16, s33
	s_mov_b32 s23, -1
	s_mov_b32 s22, exec_lo
	ds_cmpstore_rtn_b32 v16, v15, v23, v16
	s_waitcnt lgkmcnt(0)
	v_cmpx_eq_u32_e64 s33, v16
	s_cbranch_execz .LBB188_23
; %bb.20:                               ;   in Loop: Header=BB188_15 Depth=3
	v_lshlrev_b32_e32 v16, 2, v24
	s_mov_b32 s23, 0
	s_delay_alu instid0(VALU_DEP_1)
	v_add_nc_u32_e32 v25, v15, v16
	ds_load_b64 v[15:16], v25 offset:8192
.LBB188_21:                             ;   Parent Loop BB188_10 Depth=1
                                        ;     Parent Loop BB188_13 Depth=2
                                        ;       Parent Loop BB188_15 Depth=3
                                        ; =>      This Inner Loop Header: Depth=4
	s_waitcnt lgkmcnt(0)
	v_add_f64 v[26:27], v[15:16], v[13:14]
	ds_cmpstore_rtn_b64 v[26:27], v25, v[26:27], v[15:16] offset:8192
	s_waitcnt lgkmcnt(0)
	v_cmp_eq_u64_e32 vcc_lo, v[26:27], v[15:16]
	v_dual_mov_b32 v15, v26 :: v_dual_mov_b32 v16, v27
	s_or_b32 s23, vcc_lo, s23
	s_delay_alu instid0(SALU_CYCLE_1)
	s_and_not1_b32 exec_lo, exec_lo, s23
	s_cbranch_execnz .LBB188_21
; %bb.22:                               ;   in Loop: Header=BB188_15 Depth=3
	s_or_b32 exec_lo, exec_lo, s23
	s_delay_alu instid0(SALU_CYCLE_1)
	s_xor_b32 s23, exec_lo, -1
.LBB188_23:                             ;   in Loop: Header=BB188_15 Depth=3
	s_or_b32 exec_lo, exec_lo, s22
	s_delay_alu instid0(SALU_CYCLE_1) | instskip(SKIP_1) | instid1(SALU_CYCLE_1)
	s_and_not1_b32 s20, s20, exec_lo
	s_and_b32 s22, s23, exec_lo
	s_or_b32 s20, s20, s22
.LBB188_24:                             ;   in Loop: Header=BB188_15 Depth=3
	s_or_b32 exec_lo, exec_lo, s21
	s_delay_alu instid0(SALU_CYCLE_1)
	s_and_b32 s20, s20, exec_lo
                                        ; implicit-def: $vgpr15
.LBB188_25:                             ;   in Loop: Header=BB188_15 Depth=3
	s_and_not1_saveexec_b32 s15, s15
	s_cbranch_execz .LBB188_14
; %bb.26:                               ;   in Loop: Header=BB188_15 Depth=3
	v_lshlrev_b32_e32 v16, 2, v24
	s_mov_b32 s21, 0
	s_delay_alu instid0(VALU_DEP_1)
	v_add_nc_u32_e32 v25, v15, v16
	ds_load_b64 v[15:16], v25 offset:8192
.LBB188_27:                             ;   Parent Loop BB188_10 Depth=1
                                        ;     Parent Loop BB188_13 Depth=2
                                        ;       Parent Loop BB188_15 Depth=3
                                        ; =>      This Inner Loop Header: Depth=4
	s_waitcnt lgkmcnt(0)
	v_add_f64 v[26:27], v[15:16], v[13:14]
	ds_cmpstore_rtn_b64 v[26:27], v25, v[26:27], v[15:16] offset:8192
	s_waitcnt lgkmcnt(0)
	v_cmp_eq_u64_e32 vcc_lo, v[26:27], v[15:16]
	v_dual_mov_b32 v15, v26 :: v_dual_mov_b32 v16, v27
	s_or_b32 s21, vcc_lo, s21
	s_delay_alu instid0(SALU_CYCLE_1)
	s_and_not1_b32 exec_lo, exec_lo, s21
	s_cbranch_execnz .LBB188_27
; %bb.28:                               ;   in Loop: Header=BB188_15 Depth=3
	s_or_b32 exec_lo, exec_lo, s21
	s_delay_alu instid0(SALU_CYCLE_1)
	s_and_not1_b32 s20, s20, exec_lo
	s_branch .LBB188_14
.LBB188_29:
	s_or_b32 exec_lo, exec_lo, s2
.LBB188_30:
	s_delay_alu instid0(SALU_CYCLE_1)
	s_and_not1_b32 vcc_lo, exec_lo, s12
	s_cbranch_vccnz .LBB188_33
; %bb.31:
	s_waitcnt lgkmcnt(0)
	s_ashr_i32 s49, s48, 31
	v_sub_co_u32 v3, s4, v0, s47
	s_lshl_b64 s[0:1], s[48:49], 3
	v_sub_co_ci_u32_e64 v4, null, 0, 0, s4
	s_add_u32 s0, s36, s0
	s_addc_u32 s1, s37, s1
	s_load_b128 s[0:3], s[0:1], 0x0
	s_waitcnt lgkmcnt(0)
	v_add_co_u32 v3, vcc_lo, s0, v3
	v_add_co_ci_u32_e32 v4, vcc_lo, s1, v4, vcc_lo
	s_sub_u32 s0, s2, s47
	s_subb_u32 s1, s3, 0
	s_mov_b32 s3, 0
	s_mov_b32 s2, exec_lo
	v_cmpx_gt_i64_e64 s[0:1], v[3:4]
	s_cbranch_execnz .LBB188_102
.LBB188_32:
	s_or_b32 exec_lo, exec_lo, s2
.LBB188_33:
	v_mbcnt_lo_u32_b32 v1, -1, 0
	v_lshl_add_u32 v4, v20, 2, 0
	v_cmp_eq_u32_e32 vcc_lo, 0x3ff, v0
	v_cmp_lt_u32_e64 s0, 31, v0
	v_cmp_lt_u32_e64 s1, 63, v0
	v_xor_b32_e32 v1, 63, v1
	v_cmp_lt_u32_e64 s2, 0x5f, v0
	v_cmp_lt_u32_e64 s3, 0x7f, v0
	;; [unrolled: 1-line block ×4, first 2 shown]
	v_lshrrev_b64 v[1:2], v1, -1
	v_cmp_lt_u32_e64 s6, 0xdf, v0
	v_cmp_lt_u32_e64 s7, 0xff, v0
	;; [unrolled: 1-line block ×25, first 2 shown]
	v_dual_mov_b32 v5, 0 :: v_dual_mov_b32 v6, 0
	s_mov_b32 s36, 0
	s_waitcnt lgkmcnt(0)
	s_barrier
	buffer_gl0_inv
	s_branch .LBB188_35
.LBB188_34:                             ;   in Loop: Header=BB188_35 Depth=1
	s_or_b32 exec_lo, exec_lo, s31
	s_waitcnt lgkmcnt(0)
	s_barrier
	buffer_gl0_inv
	ds_load_b32 v2, v5 offset:24700
	v_add_co_u32 v18, s31, 0x400, v18
	s_delay_alu instid0(VALU_DEP_1) | instskip(SKIP_3) | instid1(SALU_CYCLE_1)
	s_xor_b32 s31, s31, -1
	v_add_nc_u32_e32 v19, 0x2000, v19
	v_add_nc_u32_e32 v17, 0x1000, v17
	s_and_b32 s31, exec_lo, s31
	s_or_b32 s36, s31, s36
	s_waitcnt lgkmcnt(0)
	v_add_nc_u32_e32 v6, v2, v6
	s_and_not1_b32 exec_lo, exec_lo, s36
	s_cbranch_execz .LBB188_118
.LBB188_35:                             ; =>This Inner Loop Header: Depth=1
	ds_load_b32 v7, v17
	ds_load_b64 v[2:3], v19
	s_waitcnt lgkmcnt(0)
	s_barrier
	buffer_gl0_inv
	v_cmp_gt_i32_e64 s31, s33, v7
	s_delay_alu instid0(VALU_DEP_1) | instskip(NEXT) | instid1(SALU_CYCLE_1)
	s_bcnt1_i32_b32 s37, s31
	v_dual_mov_b32 v9, s37 :: v_dual_and_b32 v8, s31, v1
	s_delay_alu instid0(VALU_DEP_1)
	v_bcnt_u32_b32 v8, v8, 0
	ds_store_b32 v4, v9 offset:24576
	s_waitcnt lgkmcnt(0)
	s_barrier
	buffer_gl0_inv
	s_and_saveexec_b32 s37, s0
	s_cbranch_execnz .LBB188_68
; %bb.36:                               ;   in Loop: Header=BB188_35 Depth=1
	s_or_b32 exec_lo, exec_lo, s37
	s_and_saveexec_b32 s37, s1
	s_cbranch_execnz .LBB188_69
.LBB188_37:                             ;   in Loop: Header=BB188_35 Depth=1
	s_or_b32 exec_lo, exec_lo, s37
	s_and_saveexec_b32 s37, s2
	s_cbranch_execnz .LBB188_70
.LBB188_38:                             ;   in Loop: Header=BB188_35 Depth=1
	s_or_b32 exec_lo, exec_lo, s37
	s_and_saveexec_b32 s37, s3
	s_cbranch_execnz .LBB188_71
.LBB188_39:                             ;   in Loop: Header=BB188_35 Depth=1
	s_or_b32 exec_lo, exec_lo, s37
	s_and_saveexec_b32 s37, s4
	s_cbranch_execnz .LBB188_72
.LBB188_40:                             ;   in Loop: Header=BB188_35 Depth=1
	s_or_b32 exec_lo, exec_lo, s37
	s_and_saveexec_b32 s37, s5
	s_cbranch_execnz .LBB188_73
.LBB188_41:                             ;   in Loop: Header=BB188_35 Depth=1
	s_or_b32 exec_lo, exec_lo, s37
	s_and_saveexec_b32 s37, s6
	s_cbranch_execnz .LBB188_74
.LBB188_42:                             ;   in Loop: Header=BB188_35 Depth=1
	s_or_b32 exec_lo, exec_lo, s37
	s_and_saveexec_b32 s37, s7
	s_cbranch_execnz .LBB188_75
.LBB188_43:                             ;   in Loop: Header=BB188_35 Depth=1
	s_or_b32 exec_lo, exec_lo, s37
	s_and_saveexec_b32 s37, s8
	s_cbranch_execnz .LBB188_76
.LBB188_44:                             ;   in Loop: Header=BB188_35 Depth=1
	s_or_b32 exec_lo, exec_lo, s37
	s_and_saveexec_b32 s37, s9
	s_cbranch_execnz .LBB188_77
.LBB188_45:                             ;   in Loop: Header=BB188_35 Depth=1
	s_or_b32 exec_lo, exec_lo, s37
	s_and_saveexec_b32 s37, s10
	s_cbranch_execnz .LBB188_78
.LBB188_46:                             ;   in Loop: Header=BB188_35 Depth=1
	s_or_b32 exec_lo, exec_lo, s37
	s_and_saveexec_b32 s37, s11
	s_cbranch_execnz .LBB188_79
.LBB188_47:                             ;   in Loop: Header=BB188_35 Depth=1
	s_or_b32 exec_lo, exec_lo, s37
	s_and_saveexec_b32 s37, s12
	s_cbranch_execnz .LBB188_80
.LBB188_48:                             ;   in Loop: Header=BB188_35 Depth=1
	s_or_b32 exec_lo, exec_lo, s37
	s_and_saveexec_b32 s37, s13
	s_cbranch_execnz .LBB188_81
.LBB188_49:                             ;   in Loop: Header=BB188_35 Depth=1
	s_or_b32 exec_lo, exec_lo, s37
	s_and_saveexec_b32 s37, s14
	s_cbranch_execnz .LBB188_82
.LBB188_50:                             ;   in Loop: Header=BB188_35 Depth=1
	s_or_b32 exec_lo, exec_lo, s37
	s_and_saveexec_b32 s37, s15
	s_cbranch_execnz .LBB188_83
.LBB188_51:                             ;   in Loop: Header=BB188_35 Depth=1
	s_or_b32 exec_lo, exec_lo, s37
	s_and_saveexec_b32 s37, s16
	s_cbranch_execnz .LBB188_84
.LBB188_52:                             ;   in Loop: Header=BB188_35 Depth=1
	s_or_b32 exec_lo, exec_lo, s37
	s_and_saveexec_b32 s37, s17
	s_cbranch_execnz .LBB188_85
.LBB188_53:                             ;   in Loop: Header=BB188_35 Depth=1
	s_or_b32 exec_lo, exec_lo, s37
	s_and_saveexec_b32 s37, s18
	s_cbranch_execnz .LBB188_86
.LBB188_54:                             ;   in Loop: Header=BB188_35 Depth=1
	s_or_b32 exec_lo, exec_lo, s37
	s_and_saveexec_b32 s37, s19
	s_cbranch_execnz .LBB188_87
.LBB188_55:                             ;   in Loop: Header=BB188_35 Depth=1
	s_or_b32 exec_lo, exec_lo, s37
	s_and_saveexec_b32 s37, s20
	s_cbranch_execnz .LBB188_88
.LBB188_56:                             ;   in Loop: Header=BB188_35 Depth=1
	s_or_b32 exec_lo, exec_lo, s37
	s_and_saveexec_b32 s37, s21
	s_cbranch_execnz .LBB188_89
.LBB188_57:                             ;   in Loop: Header=BB188_35 Depth=1
	s_or_b32 exec_lo, exec_lo, s37
	s_and_saveexec_b32 s37, s22
	s_cbranch_execnz .LBB188_90
.LBB188_58:                             ;   in Loop: Header=BB188_35 Depth=1
	s_or_b32 exec_lo, exec_lo, s37
	s_and_saveexec_b32 s37, s23
	s_cbranch_execnz .LBB188_91
.LBB188_59:                             ;   in Loop: Header=BB188_35 Depth=1
	s_or_b32 exec_lo, exec_lo, s37
	s_and_saveexec_b32 s37, s24
	s_cbranch_execnz .LBB188_92
.LBB188_60:                             ;   in Loop: Header=BB188_35 Depth=1
	s_or_b32 exec_lo, exec_lo, s37
	s_and_saveexec_b32 s37, s25
	s_cbranch_execnz .LBB188_93
.LBB188_61:                             ;   in Loop: Header=BB188_35 Depth=1
	s_or_b32 exec_lo, exec_lo, s37
	s_and_saveexec_b32 s37, s26
	s_cbranch_execnz .LBB188_94
.LBB188_62:                             ;   in Loop: Header=BB188_35 Depth=1
	s_or_b32 exec_lo, exec_lo, s37
	s_and_saveexec_b32 s37, s27
	s_cbranch_execnz .LBB188_95
.LBB188_63:                             ;   in Loop: Header=BB188_35 Depth=1
	s_or_b32 exec_lo, exec_lo, s37
	s_and_saveexec_b32 s37, s28
	s_cbranch_execnz .LBB188_96
.LBB188_64:                             ;   in Loop: Header=BB188_35 Depth=1
	s_or_b32 exec_lo, exec_lo, s37
	s_and_saveexec_b32 s37, s29
	s_cbranch_execnz .LBB188_97
.LBB188_65:                             ;   in Loop: Header=BB188_35 Depth=1
	s_or_b32 exec_lo, exec_lo, s37
	s_and_saveexec_b32 s37, s30
	s_cbranch_execnz .LBB188_98
.LBB188_66:                             ;   in Loop: Header=BB188_35 Depth=1
	s_or_b32 exec_lo, exec_lo, s37
	s_and_saveexec_b32 s37, s31
	s_cbranch_execnz .LBB188_99
.LBB188_67:                             ;   in Loop: Header=BB188_35 Depth=1
	s_or_b32 exec_lo, exec_lo, s37
	s_and_saveexec_b32 s31, vcc_lo
	s_cbranch_execz .LBB188_34
	s_branch .LBB188_100
.LBB188_68:                             ;   in Loop: Header=BB188_35 Depth=1
	ds_load_b32 v9, v5 offset:24576
	s_waitcnt lgkmcnt(0)
	v_add_nc_u32_e32 v8, v9, v8
	s_or_b32 exec_lo, exec_lo, s37
	s_and_saveexec_b32 s37, s1
	s_cbranch_execz .LBB188_37
.LBB188_69:                             ;   in Loop: Header=BB188_35 Depth=1
	ds_load_b32 v9, v5 offset:24580
	s_waitcnt lgkmcnt(0)
	v_add_nc_u32_e32 v8, v9, v8
	s_or_b32 exec_lo, exec_lo, s37
	s_and_saveexec_b32 s37, s2
	s_cbranch_execz .LBB188_38
.LBB188_70:                             ;   in Loop: Header=BB188_35 Depth=1
	ds_load_b32 v9, v5 offset:24584
	s_waitcnt lgkmcnt(0)
	v_add_nc_u32_e32 v8, v9, v8
	s_or_b32 exec_lo, exec_lo, s37
	s_and_saveexec_b32 s37, s3
	s_cbranch_execz .LBB188_39
.LBB188_71:                             ;   in Loop: Header=BB188_35 Depth=1
	ds_load_b32 v9, v5 offset:24588
	s_waitcnt lgkmcnt(0)
	v_add_nc_u32_e32 v8, v9, v8
	s_or_b32 exec_lo, exec_lo, s37
	s_and_saveexec_b32 s37, s4
	s_cbranch_execz .LBB188_40
.LBB188_72:                             ;   in Loop: Header=BB188_35 Depth=1
	ds_load_b32 v9, v5 offset:24592
	s_waitcnt lgkmcnt(0)
	v_add_nc_u32_e32 v8, v9, v8
	s_or_b32 exec_lo, exec_lo, s37
	s_and_saveexec_b32 s37, s5
	s_cbranch_execz .LBB188_41
.LBB188_73:                             ;   in Loop: Header=BB188_35 Depth=1
	ds_load_b32 v9, v5 offset:24596
	s_waitcnt lgkmcnt(0)
	v_add_nc_u32_e32 v8, v9, v8
	s_or_b32 exec_lo, exec_lo, s37
	s_and_saveexec_b32 s37, s6
	s_cbranch_execz .LBB188_42
.LBB188_74:                             ;   in Loop: Header=BB188_35 Depth=1
	ds_load_b32 v9, v5 offset:24600
	s_waitcnt lgkmcnt(0)
	v_add_nc_u32_e32 v8, v9, v8
	s_or_b32 exec_lo, exec_lo, s37
	s_and_saveexec_b32 s37, s7
	s_cbranch_execz .LBB188_43
.LBB188_75:                             ;   in Loop: Header=BB188_35 Depth=1
	ds_load_b32 v9, v5 offset:24604
	s_waitcnt lgkmcnt(0)
	v_add_nc_u32_e32 v8, v9, v8
	s_or_b32 exec_lo, exec_lo, s37
	s_and_saveexec_b32 s37, s8
	s_cbranch_execz .LBB188_44
.LBB188_76:                             ;   in Loop: Header=BB188_35 Depth=1
	ds_load_b32 v9, v5 offset:24608
	s_waitcnt lgkmcnt(0)
	v_add_nc_u32_e32 v8, v9, v8
	s_or_b32 exec_lo, exec_lo, s37
	s_and_saveexec_b32 s37, s9
	s_cbranch_execz .LBB188_45
.LBB188_77:                             ;   in Loop: Header=BB188_35 Depth=1
	ds_load_b32 v9, v5 offset:24612
	s_waitcnt lgkmcnt(0)
	v_add_nc_u32_e32 v8, v9, v8
	s_or_b32 exec_lo, exec_lo, s37
	s_and_saveexec_b32 s37, s10
	s_cbranch_execz .LBB188_46
.LBB188_78:                             ;   in Loop: Header=BB188_35 Depth=1
	ds_load_b32 v9, v5 offset:24616
	s_waitcnt lgkmcnt(0)
	v_add_nc_u32_e32 v8, v9, v8
	s_or_b32 exec_lo, exec_lo, s37
	s_and_saveexec_b32 s37, s11
	s_cbranch_execz .LBB188_47
.LBB188_79:                             ;   in Loop: Header=BB188_35 Depth=1
	ds_load_b32 v9, v5 offset:24620
	s_waitcnt lgkmcnt(0)
	v_add_nc_u32_e32 v8, v9, v8
	s_or_b32 exec_lo, exec_lo, s37
	s_and_saveexec_b32 s37, s12
	s_cbranch_execz .LBB188_48
.LBB188_80:                             ;   in Loop: Header=BB188_35 Depth=1
	ds_load_b32 v9, v5 offset:24624
	s_waitcnt lgkmcnt(0)
	v_add_nc_u32_e32 v8, v9, v8
	s_or_b32 exec_lo, exec_lo, s37
	s_and_saveexec_b32 s37, s13
	s_cbranch_execz .LBB188_49
.LBB188_81:                             ;   in Loop: Header=BB188_35 Depth=1
	ds_load_b32 v9, v5 offset:24628
	s_waitcnt lgkmcnt(0)
	v_add_nc_u32_e32 v8, v9, v8
	s_or_b32 exec_lo, exec_lo, s37
	s_and_saveexec_b32 s37, s14
	s_cbranch_execz .LBB188_50
.LBB188_82:                             ;   in Loop: Header=BB188_35 Depth=1
	ds_load_b32 v9, v5 offset:24632
	s_waitcnt lgkmcnt(0)
	v_add_nc_u32_e32 v8, v9, v8
	s_or_b32 exec_lo, exec_lo, s37
	s_and_saveexec_b32 s37, s15
	s_cbranch_execz .LBB188_51
.LBB188_83:                             ;   in Loop: Header=BB188_35 Depth=1
	ds_load_b32 v9, v5 offset:24636
	s_waitcnt lgkmcnt(0)
	v_add_nc_u32_e32 v8, v9, v8
	s_or_b32 exec_lo, exec_lo, s37
	s_and_saveexec_b32 s37, s16
	s_cbranch_execz .LBB188_52
.LBB188_84:                             ;   in Loop: Header=BB188_35 Depth=1
	ds_load_b32 v9, v5 offset:24640
	s_waitcnt lgkmcnt(0)
	v_add_nc_u32_e32 v8, v9, v8
	s_or_b32 exec_lo, exec_lo, s37
	s_and_saveexec_b32 s37, s17
	s_cbranch_execz .LBB188_53
.LBB188_85:                             ;   in Loop: Header=BB188_35 Depth=1
	ds_load_b32 v9, v5 offset:24644
	s_waitcnt lgkmcnt(0)
	v_add_nc_u32_e32 v8, v9, v8
	s_or_b32 exec_lo, exec_lo, s37
	s_and_saveexec_b32 s37, s18
	s_cbranch_execz .LBB188_54
.LBB188_86:                             ;   in Loop: Header=BB188_35 Depth=1
	ds_load_b32 v9, v5 offset:24648
	s_waitcnt lgkmcnt(0)
	v_add_nc_u32_e32 v8, v9, v8
	s_or_b32 exec_lo, exec_lo, s37
	s_and_saveexec_b32 s37, s19
	s_cbranch_execz .LBB188_55
.LBB188_87:                             ;   in Loop: Header=BB188_35 Depth=1
	ds_load_b32 v9, v5 offset:24652
	s_waitcnt lgkmcnt(0)
	v_add_nc_u32_e32 v8, v9, v8
	s_or_b32 exec_lo, exec_lo, s37
	s_and_saveexec_b32 s37, s20
	s_cbranch_execz .LBB188_56
.LBB188_88:                             ;   in Loop: Header=BB188_35 Depth=1
	ds_load_b32 v9, v5 offset:24656
	s_waitcnt lgkmcnt(0)
	v_add_nc_u32_e32 v8, v9, v8
	s_or_b32 exec_lo, exec_lo, s37
	s_and_saveexec_b32 s37, s21
	s_cbranch_execz .LBB188_57
.LBB188_89:                             ;   in Loop: Header=BB188_35 Depth=1
	ds_load_b32 v9, v5 offset:24660
	s_waitcnt lgkmcnt(0)
	v_add_nc_u32_e32 v8, v9, v8
	s_or_b32 exec_lo, exec_lo, s37
	s_and_saveexec_b32 s37, s22
	s_cbranch_execz .LBB188_58
.LBB188_90:                             ;   in Loop: Header=BB188_35 Depth=1
	ds_load_b32 v9, v5 offset:24664
	s_waitcnt lgkmcnt(0)
	v_add_nc_u32_e32 v8, v9, v8
	s_or_b32 exec_lo, exec_lo, s37
	s_and_saveexec_b32 s37, s23
	s_cbranch_execz .LBB188_59
.LBB188_91:                             ;   in Loop: Header=BB188_35 Depth=1
	ds_load_b32 v9, v5 offset:24668
	s_waitcnt lgkmcnt(0)
	v_add_nc_u32_e32 v8, v9, v8
	s_or_b32 exec_lo, exec_lo, s37
	s_and_saveexec_b32 s37, s24
	s_cbranch_execz .LBB188_60
.LBB188_92:                             ;   in Loop: Header=BB188_35 Depth=1
	ds_load_b32 v9, v5 offset:24672
	s_waitcnt lgkmcnt(0)
	v_add_nc_u32_e32 v8, v9, v8
	s_or_b32 exec_lo, exec_lo, s37
	s_and_saveexec_b32 s37, s25
	s_cbranch_execz .LBB188_61
.LBB188_93:                             ;   in Loop: Header=BB188_35 Depth=1
	ds_load_b32 v9, v5 offset:24676
	s_waitcnt lgkmcnt(0)
	v_add_nc_u32_e32 v8, v9, v8
	s_or_b32 exec_lo, exec_lo, s37
	s_and_saveexec_b32 s37, s26
	s_cbranch_execz .LBB188_62
.LBB188_94:                             ;   in Loop: Header=BB188_35 Depth=1
	ds_load_b32 v9, v5 offset:24680
	s_waitcnt lgkmcnt(0)
	v_add_nc_u32_e32 v8, v9, v8
	s_or_b32 exec_lo, exec_lo, s37
	s_and_saveexec_b32 s37, s27
	s_cbranch_execz .LBB188_63
.LBB188_95:                             ;   in Loop: Header=BB188_35 Depth=1
	ds_load_b32 v9, v5 offset:24684
	s_waitcnt lgkmcnt(0)
	v_add_nc_u32_e32 v8, v9, v8
	s_or_b32 exec_lo, exec_lo, s37
	s_and_saveexec_b32 s37, s28
	s_cbranch_execz .LBB188_64
.LBB188_96:                             ;   in Loop: Header=BB188_35 Depth=1
	ds_load_b32 v9, v5 offset:24688
	s_waitcnt lgkmcnt(0)
	v_add_nc_u32_e32 v8, v9, v8
	s_or_b32 exec_lo, exec_lo, s37
	s_and_saveexec_b32 s37, s29
	s_cbranch_execz .LBB188_65
.LBB188_97:                             ;   in Loop: Header=BB188_35 Depth=1
	ds_load_b32 v9, v5 offset:24692
	s_waitcnt lgkmcnt(0)
	v_add_nc_u32_e32 v8, v9, v8
	s_or_b32 exec_lo, exec_lo, s37
	s_and_saveexec_b32 s37, s30
	s_cbranch_execz .LBB188_66
.LBB188_98:                             ;   in Loop: Header=BB188_35 Depth=1
	ds_load_b32 v9, v5 offset:24696
	s_waitcnt lgkmcnt(0)
	v_add_nc_u32_e32 v8, v9, v8
	s_or_b32 exec_lo, exec_lo, s37
	s_and_saveexec_b32 s37, s31
	s_cbranch_execz .LBB188_67
.LBB188_99:                             ;   in Loop: Header=BB188_35 Depth=1
	s_delay_alu instid0(VALU_DEP_1) | instskip(NEXT) | instid1(VALU_DEP_1)
	v_add3_u32 v9, v6, -1, v8
	v_lshl_add_u32 v10, v9, 2, 0
	v_lshl_add_u32 v9, v9, 3, 0
	ds_store_b32 v10, v7
	ds_store_b64 v9, v[2:3] offset:8192
	s_or_b32 exec_lo, exec_lo, s37
	s_and_saveexec_b32 s31, vcc_lo
	s_cbranch_execz .LBB188_34
.LBB188_100:                            ;   in Loop: Header=BB188_35 Depth=1
	ds_store_b32 v5, v8 offset:24700
	s_branch .LBB188_34
.LBB188_101:                            ;   in Loop: Header=BB188_102 Depth=1
	s_or_b32 exec_lo, exec_lo, s4
	v_add_co_u32 v3, vcc_lo, 0x400, v3
	v_add_co_ci_u32_e32 v4, vcc_lo, 0, v4, vcc_lo
	s_delay_alu instid0(VALU_DEP_1) | instskip(SKIP_1) | instid1(SALU_CYCLE_1)
	v_cmp_le_i64_e32 vcc_lo, s[0:1], v[3:4]
	s_or_b32 s3, vcc_lo, s3
	s_and_not1_b32 exec_lo, exec_lo, s3
	s_cbranch_execz .LBB188_32
.LBB188_102:                            ; =>This Loop Header: Depth=1
                                        ;     Child Loop BB188_104 Depth 2
                                        ;       Child Loop BB188_110 Depth 3
                                        ;       Child Loop BB188_116 Depth 3
	v_lshlrev_b64 v[5:6], 3, v[3:4]
	v_lshlrev_b64 v[7:8], 2, v[3:4]
	s_mov_b32 s4, 0
	s_delay_alu instid0(VALU_DEP_2) | instskip(NEXT) | instid1(VALU_DEP_3)
	v_add_co_u32 v5, vcc_lo, s40, v5
	v_add_co_ci_u32_e32 v6, vcc_lo, s41, v6, vcc_lo
	s_delay_alu instid0(VALU_DEP_3) | instskip(NEXT) | instid1(VALU_DEP_4)
	v_add_co_u32 v7, vcc_lo, s38, v7
	v_add_co_ci_u32_e32 v8, vcc_lo, s39, v8, vcc_lo
	global_load_b64 v[5:6], v[5:6], off
	global_load_b32 v7, v[7:8], off
	s_waitcnt vmcnt(1)
	v_mul_f64 v[5:6], v[1:2], v[5:6]
	s_waitcnt vmcnt(0)
	v_subrev_nc_u32_e32 v9, s47, v7
	s_delay_alu instid0(VALU_DEP_1) | instskip(NEXT) | instid1(VALU_DEP_1)
	v_mul_lo_u32 v7, 0x89, v9
	v_and_b32_e32 v10, 0x7ff, v7
	s_branch .LBB188_104
.LBB188_103:                            ;   in Loop: Header=BB188_104 Depth=2
	s_or_b32 exec_lo, exec_lo, s5
	s_xor_b32 s5, s6, -1
	s_delay_alu instid0(SALU_CYCLE_1) | instskip(NEXT) | instid1(SALU_CYCLE_1)
	s_and_b32 s5, exec_lo, s5
	s_or_b32 s4, s5, s4
	s_delay_alu instid0(SALU_CYCLE_1)
	s_and_not1_b32 exec_lo, exec_lo, s4
	s_cbranch_execz .LBB188_101
.LBB188_104:                            ;   Parent Loop BB188_102 Depth=1
                                        ; =>  This Loop Header: Depth=2
                                        ;       Child Loop BB188_110 Depth 3
                                        ;       Child Loop BB188_116 Depth 3
	s_delay_alu instid0(VALU_DEP_1)
	v_lshl_add_u32 v7, v10, 2, 0
	s_mov_b32 s5, exec_lo
                                        ; implicit-def: $sgpr6
	ds_load_b32 v8, v7
	s_waitcnt lgkmcnt(0)
	v_cmpx_ne_u32_e64 v8, v9
	s_xor_b32 s5, exec_lo, s5
	s_cbranch_execz .LBB188_114
; %bb.105:                              ;   in Loop: Header=BB188_104 Depth=2
	s_mov_b32 s7, exec_lo
                                        ; implicit-def: $sgpr6
	v_cmpx_ne_u32_e64 s33, v8
	s_xor_b32 s7, exec_lo, s7
; %bb.106:                              ;   in Loop: Header=BB188_104 Depth=2
	v_add_nc_u32_e32 v7, 1, v10
	s_mov_b32 s6, -1
	s_delay_alu instid0(VALU_DEP_1)
	v_and_b32_e32 v10, 0x7ff, v7
                                        ; implicit-def: $vgpr7
; %bb.107:                              ;   in Loop: Header=BB188_104 Depth=2
	s_and_not1_saveexec_b32 s7, s7
	s_cbranch_execz .LBB188_113
; %bb.108:                              ;   in Loop: Header=BB188_104 Depth=2
	v_mov_b32_e32 v8, s33
	s_mov_b32 s9, -1
	s_mov_b32 s8, exec_lo
	ds_cmpstore_rtn_b32 v8, v7, v9, v8
	s_waitcnt lgkmcnt(0)
	v_cmpx_eq_u32_e64 s33, v8
	s_cbranch_execz .LBB188_112
; %bb.109:                              ;   in Loop: Header=BB188_104 Depth=2
	v_lshlrev_b32_e32 v8, 2, v10
	s_mov_b32 s9, 0
	s_delay_alu instid0(VALU_DEP_1)
	v_add_nc_u32_e32 v11, v7, v8
	ds_load_b64 v[7:8], v11 offset:8192
.LBB188_110:                            ;   Parent Loop BB188_102 Depth=1
                                        ;     Parent Loop BB188_104 Depth=2
                                        ; =>    This Inner Loop Header: Depth=3
	s_waitcnt lgkmcnt(0)
	v_add_f64 v[12:13], v[7:8], v[5:6]
	ds_cmpstore_rtn_b64 v[12:13], v11, v[12:13], v[7:8] offset:8192
	s_waitcnt lgkmcnt(0)
	v_cmp_eq_u64_e32 vcc_lo, v[12:13], v[7:8]
	v_dual_mov_b32 v7, v12 :: v_dual_mov_b32 v8, v13
	s_or_b32 s9, vcc_lo, s9
	s_delay_alu instid0(SALU_CYCLE_1)
	s_and_not1_b32 exec_lo, exec_lo, s9
	s_cbranch_execnz .LBB188_110
; %bb.111:                              ;   in Loop: Header=BB188_104 Depth=2
	s_or_b32 exec_lo, exec_lo, s9
	s_delay_alu instid0(SALU_CYCLE_1)
	s_xor_b32 s9, exec_lo, -1
.LBB188_112:                            ;   in Loop: Header=BB188_104 Depth=2
	s_or_b32 exec_lo, exec_lo, s8
	s_delay_alu instid0(SALU_CYCLE_1) | instskip(SKIP_1) | instid1(SALU_CYCLE_1)
	s_and_not1_b32 s6, s6, exec_lo
	s_and_b32 s8, s9, exec_lo
	s_or_b32 s6, s6, s8
.LBB188_113:                            ;   in Loop: Header=BB188_104 Depth=2
	s_or_b32 exec_lo, exec_lo, s7
	s_delay_alu instid0(SALU_CYCLE_1)
	s_and_b32 s6, s6, exec_lo
                                        ; implicit-def: $vgpr7
.LBB188_114:                            ;   in Loop: Header=BB188_104 Depth=2
	s_and_not1_saveexec_b32 s5, s5
	s_cbranch_execz .LBB188_103
; %bb.115:                              ;   in Loop: Header=BB188_104 Depth=2
	v_lshlrev_b32_e32 v8, 2, v10
	s_mov_b32 s7, 0
	s_delay_alu instid0(VALU_DEP_1)
	v_add_nc_u32_e32 v11, v7, v8
	ds_load_b64 v[7:8], v11 offset:8192
.LBB188_116:                            ;   Parent Loop BB188_102 Depth=1
                                        ;     Parent Loop BB188_104 Depth=2
                                        ; =>    This Inner Loop Header: Depth=3
	s_waitcnt lgkmcnt(0)
	v_add_f64 v[12:13], v[7:8], v[5:6]
	ds_cmpstore_rtn_b64 v[12:13], v11, v[12:13], v[7:8] offset:8192
	s_waitcnt lgkmcnt(0)
	v_cmp_eq_u64_e32 vcc_lo, v[12:13], v[7:8]
	v_dual_mov_b32 v7, v12 :: v_dual_mov_b32 v8, v13
	s_or_b32 s7, vcc_lo, s7
	s_delay_alu instid0(SALU_CYCLE_1)
	s_and_not1_b32 exec_lo, exec_lo, s7
	s_cbranch_execnz .LBB188_116
; %bb.117:                              ;   in Loop: Header=BB188_104 Depth=2
	s_or_b32 exec_lo, exec_lo, s7
	s_delay_alu instid0(SALU_CYCLE_1)
	s_and_not1_b32 s6, s6, exec_lo
	s_branch .LBB188_103
.LBB188_118:
	s_or_b32 exec_lo, exec_lo, s36
	s_ashr_i32 s49, s48, 31
	s_mov_b32 s4, exec_lo
	s_lshl_b64 s[0:1], s[48:49], 3
	s_delay_alu instid0(SALU_CYCLE_1) | instskip(SKIP_4) | instid1(SALU_CYCLE_1)
	s_add_u32 s0, s42, s0
	s_addc_u32 s1, s43, s1
	s_load_b128 s[0:3], s[0:1], 0x0
	s_waitcnt lgkmcnt(0)
	s_sub_i32 s3, s2, s0
	v_cmpx_gt_i32_e64 s3, v0
	s_cbranch_execz .LBB188_128
; %bb.119:
	s_sub_u32 s4, s0, s46
	s_subb_u32 s5, s1, 0
	s_sub_i32 s0, s0, s2
	s_and_b32 s1, s3, 7
	s_cmp_lt_u32 s0, -7
	s_mov_b32 s8, 0
	s_cselect_b32 s2, -1, 0
	s_and_b32 s6, s3, -8
	s_cmp_lg_u32 s1, 0
	s_cselect_b32 s7, -1, 0
	s_branch .LBB188_121
.LBB188_120:                            ;   in Loop: Header=BB188_121 Depth=1
	s_delay_alu instid0(VALU_DEP_1) | instskip(SKIP_1) | instid1(VALU_DEP_1)
	v_lshlrev_b64 v[3:4], 3, v[3:4]
	v_add_nc_u32_e32 v0, 0x400, v0
	v_cmp_le_i32_e32 vcc_lo, s3, v0
	s_delay_alu instid0(VALU_DEP_3) | instskip(NEXT) | instid1(VALU_DEP_1)
	v_add_co_u32 v3, s0, s34, v3
	v_add_co_ci_u32_e64 v4, s0, s35, v4, s0
	s_or_b32 s8, vcc_lo, s8
	s_waitcnt lgkmcnt(0)
	global_store_b64 v[3:4], v[1:2], off
	s_and_not1_b32 exec_lo, exec_lo, s8
	s_cbranch_execz .LBB188_128
.LBB188_121:                            ; =>This Loop Header: Depth=1
                                        ;     Child Loop BB188_123 Depth 2
                                        ;     Child Loop BB188_127 Depth 2
	v_lshlrev_b32_e32 v1, 2, v0
	v_dual_mov_b32 v3, s4 :: v_dual_mov_b32 v4, s5
	s_and_not1_b32 vcc_lo, exec_lo, s2
	s_mov_b32 s0, 0
	s_delay_alu instid0(VALU_DEP_2) | instskip(NEXT) | instid1(VALU_DEP_1)
	v_add_nc_u32_e32 v2, 0, v1
	v_add_nc_u32_e32 v1, v2, v1
	ds_load_b32 v5, v2
	ds_load_b64 v[1:2], v1 offset:8192
	s_cbranch_vccnz .LBB188_125
; %bb.122:                              ;   in Loop: Header=BB188_121 Depth=1
	v_dual_mov_b32 v3, s4 :: v_dual_mov_b32 v4, s5
	s_mov_b32 s9, 0
	s_mov_b32 s10, 0
.LBB188_123:                            ;   Parent Loop BB188_121 Depth=1
                                        ; =>  This Inner Loop Header: Depth=2
	s_delay_alu instid0(SALU_CYCLE_1)
	v_mov_b32_e32 v12, s10
	s_add_i32 s9, s9, 8
	s_add_i32 s10, s10, 32
	s_cmp_eq_u32 s6, s9
	ds_load_2addr_b32 v[6:7], v12 offset1:1
	ds_load_2addr_b32 v[8:9], v12 offset0:2 offset1:3
	ds_load_2addr_b32 v[10:11], v12 offset0:4 offset1:5
	ds_load_2addr_b32 v[12:13], v12 offset0:6 offset1:7
	s_waitcnt lgkmcnt(3)
	v_cmp_gt_i32_e32 vcc_lo, v5, v6
	v_cndmask_b32_e64 v6, 0, 1, vcc_lo
	v_cmp_gt_i32_e32 vcc_lo, v5, v7
	v_cndmask_b32_e64 v7, 0, 1, vcc_lo
	s_waitcnt lgkmcnt(2)
	v_cmp_gt_i32_e32 vcc_lo, v5, v8
	v_cndmask_b32_e64 v8, 0, 1, vcc_lo
	v_cmp_gt_i32_e32 vcc_lo, v5, v9
	v_cndmask_b32_e64 v9, 0, 1, vcc_lo
	s_waitcnt lgkmcnt(1)
	v_cmp_gt_i32_e32 vcc_lo, v5, v10
	v_cndmask_b32_e64 v10, 0, 1, vcc_lo
	v_add_co_u32 v3, vcc_lo, v3, v6
	v_add_co_ci_u32_e32 v4, vcc_lo, 0, v4, vcc_lo
	v_cmp_gt_i32_e32 vcc_lo, v5, v11
	s_delay_alu instid0(VALU_DEP_3) | instskip(NEXT) | instid1(VALU_DEP_1)
	v_add_co_u32 v3, s0, v3, v7
	v_add_co_ci_u32_e64 v4, s0, 0, v4, s0
	v_cndmask_b32_e64 v6, 0, 1, vcc_lo
	s_delay_alu instid0(VALU_DEP_3) | instskip(NEXT) | instid1(VALU_DEP_3)
	v_add_co_u32 v3, vcc_lo, v3, v8
	v_add_co_ci_u32_e32 v4, vcc_lo, 0, v4, vcc_lo
	s_waitcnt lgkmcnt(0)
	v_cmp_gt_i32_e32 vcc_lo, v5, v12
	s_delay_alu instid0(VALU_DEP_3) | instskip(NEXT) | instid1(VALU_DEP_1)
	v_add_co_u32 v3, s0, v3, v9
	v_add_co_ci_u32_e64 v4, s0, 0, v4, s0
	v_cndmask_b32_e64 v7, 0, 1, vcc_lo
	s_delay_alu instid0(VALU_DEP_3) | instskip(NEXT) | instid1(VALU_DEP_3)
	v_add_co_u32 v3, vcc_lo, v3, v10
	v_add_co_ci_u32_e32 v4, vcc_lo, 0, v4, vcc_lo
	v_cmp_gt_i32_e32 vcc_lo, v5, v13
	s_delay_alu instid0(VALU_DEP_3) | instskip(NEXT) | instid1(VALU_DEP_1)
	v_add_co_u32 v3, s0, v3, v6
	v_add_co_ci_u32_e64 v4, s0, 0, v4, s0
	v_cndmask_b32_e64 v6, 0, 1, vcc_lo
	s_delay_alu instid0(VALU_DEP_3) | instskip(NEXT) | instid1(VALU_DEP_3)
	v_add_co_u32 v3, vcc_lo, v3, v7
	v_add_co_ci_u32_e32 v4, vcc_lo, 0, v4, vcc_lo
	s_delay_alu instid0(VALU_DEP_2) | instskip(NEXT) | instid1(VALU_DEP_2)
	v_add_co_u32 v3, vcc_lo, v3, v6
	v_add_co_ci_u32_e32 v4, vcc_lo, 0, v4, vcc_lo
	s_cbranch_scc0 .LBB188_123
; %bb.124:                              ;   in Loop: Header=BB188_121 Depth=1
	s_mov_b32 s0, s6
.LBB188_125:                            ;   in Loop: Header=BB188_121 Depth=1
	s_and_not1_b32 vcc_lo, exec_lo, s7
	s_cbranch_vccnz .LBB188_120
; %bb.126:                              ;   in Loop: Header=BB188_121 Depth=1
	s_lshl_b32 s0, s0, 2
	s_mov_b32 s9, s1
	s_add_i32 s0, s0, 0
.LBB188_127:                            ;   Parent Loop BB188_121 Depth=1
                                        ; =>  This Inner Loop Header: Depth=2
	s_delay_alu instid0(SALU_CYCLE_1)
	v_mov_b32_e32 v6, s0
	s_add_i32 s9, s9, -1
	s_add_i32 s0, s0, 4
	s_cmp_lg_u32 s9, 0
	ds_load_b32 v6, v6
	s_waitcnt lgkmcnt(0)
	v_cmp_gt_i32_e32 vcc_lo, v5, v6
	v_cndmask_b32_e64 v6, 0, 1, vcc_lo
	s_delay_alu instid0(VALU_DEP_1)
	v_add_co_u32 v3, vcc_lo, v3, v6
	v_add_co_ci_u32_e32 v4, vcc_lo, 0, v4, vcc_lo
	s_cbranch_scc1 .LBB188_127
	s_branch .LBB188_120
.LBB188_128:
	s_nop 0
	s_sendmsg sendmsg(MSG_DEALLOC_VGPRS)
	s_endpgm
	.section	.rodata,"a",@progbits
	.p2align	6, 0x0
	.amdhsa_kernel _ZN9rocsparseL41csrgemm_numeric_fill_block_per_row_kernelILj1024ELj32ELj2048ELj137ELj32ElidEEvT5_PKS1_S3_NS_24const_host_device_scalarIT6_EEPKT4_S3_PKS5_S9_S3_SB_S6_S9_S3_SB_S9_S3_PS5_21rocsparse_index_base_SD_SD_SD_bbb
		.amdhsa_group_segment_fixed_size 0
		.amdhsa_private_segment_fixed_size 0
		.amdhsa_kernarg_size 156
		.amdhsa_user_sgpr_count 15
		.amdhsa_user_sgpr_dispatch_ptr 0
		.amdhsa_user_sgpr_queue_ptr 0
		.amdhsa_user_sgpr_kernarg_segment_ptr 1
		.amdhsa_user_sgpr_dispatch_id 0
		.amdhsa_user_sgpr_private_segment_size 0
		.amdhsa_wavefront_size32 1
		.amdhsa_uses_dynamic_stack 0
		.amdhsa_enable_private_segment 0
		.amdhsa_system_sgpr_workgroup_id_x 1
		.amdhsa_system_sgpr_workgroup_id_y 0
		.amdhsa_system_sgpr_workgroup_id_z 0
		.amdhsa_system_sgpr_workgroup_info 0
		.amdhsa_system_vgpr_workitem_id 0
		.amdhsa_next_free_vgpr 28
		.amdhsa_next_free_sgpr 50
		.amdhsa_reserve_vcc 1
		.amdhsa_float_round_mode_32 0
		.amdhsa_float_round_mode_16_64 0
		.amdhsa_float_denorm_mode_32 3
		.amdhsa_float_denorm_mode_16_64 3
		.amdhsa_dx10_clamp 1
		.amdhsa_ieee_mode 1
		.amdhsa_fp16_overflow 0
		.amdhsa_workgroup_processor_mode 1
		.amdhsa_memory_ordered 1
		.amdhsa_forward_progress 0
		.amdhsa_shared_vgpr_count 0
		.amdhsa_exception_fp_ieee_invalid_op 0
		.amdhsa_exception_fp_denorm_src 0
		.amdhsa_exception_fp_ieee_div_zero 0
		.amdhsa_exception_fp_ieee_overflow 0
		.amdhsa_exception_fp_ieee_underflow 0
		.amdhsa_exception_fp_ieee_inexact 0
		.amdhsa_exception_int_div_zero 0
	.end_amdhsa_kernel
	.section	.text._ZN9rocsparseL41csrgemm_numeric_fill_block_per_row_kernelILj1024ELj32ELj2048ELj137ELj32ElidEEvT5_PKS1_S3_NS_24const_host_device_scalarIT6_EEPKT4_S3_PKS5_S9_S3_SB_S6_S9_S3_SB_S9_S3_PS5_21rocsparse_index_base_SD_SD_SD_bbb,"axG",@progbits,_ZN9rocsparseL41csrgemm_numeric_fill_block_per_row_kernelILj1024ELj32ELj2048ELj137ELj32ElidEEvT5_PKS1_S3_NS_24const_host_device_scalarIT6_EEPKT4_S3_PKS5_S9_S3_SB_S6_S9_S3_SB_S9_S3_PS5_21rocsparse_index_base_SD_SD_SD_bbb,comdat
.Lfunc_end188:
	.size	_ZN9rocsparseL41csrgemm_numeric_fill_block_per_row_kernelILj1024ELj32ELj2048ELj137ELj32ElidEEvT5_PKS1_S3_NS_24const_host_device_scalarIT6_EEPKT4_S3_PKS5_S9_S3_SB_S6_S9_S3_SB_S9_S3_PS5_21rocsparse_index_base_SD_SD_SD_bbb, .Lfunc_end188-_ZN9rocsparseL41csrgemm_numeric_fill_block_per_row_kernelILj1024ELj32ELj2048ELj137ELj32ElidEEvT5_PKS1_S3_NS_24const_host_device_scalarIT6_EEPKT4_S3_PKS5_S9_S3_SB_S6_S9_S3_SB_S9_S3_PS5_21rocsparse_index_base_SD_SD_SD_bbb
                                        ; -- End function
	.section	.AMDGPU.csdata,"",@progbits
; Kernel info:
; codeLenInByte = 4564
; NumSgprs: 52
; NumVgprs: 28
; ScratchSize: 0
; MemoryBound: 0
; FloatMode: 240
; IeeeMode: 1
; LDSByteSize: 0 bytes/workgroup (compile time only)
; SGPRBlocks: 6
; VGPRBlocks: 3
; NumSGPRsForWavesPerEU: 52
; NumVGPRsForWavesPerEU: 28
; Occupancy: 16
; WaveLimiterHint : 1
; COMPUTE_PGM_RSRC2:SCRATCH_EN: 0
; COMPUTE_PGM_RSRC2:USER_SGPR: 15
; COMPUTE_PGM_RSRC2:TRAP_HANDLER: 0
; COMPUTE_PGM_RSRC2:TGID_X_EN: 1
; COMPUTE_PGM_RSRC2:TGID_Y_EN: 0
; COMPUTE_PGM_RSRC2:TGID_Z_EN: 0
; COMPUTE_PGM_RSRC2:TIDIG_COMP_CNT: 0
	.section	.text._ZN9rocsparseL41csrgemm_numeric_fill_block_per_row_kernelILj1024ELj32ELj2048ELj137ELj64ElidEEvT5_PKS1_S3_NS_24const_host_device_scalarIT6_EEPKT4_S3_PKS5_S9_S3_SB_S6_S9_S3_SB_S9_S3_PS5_21rocsparse_index_base_SD_SD_SD_bbb,"axG",@progbits,_ZN9rocsparseL41csrgemm_numeric_fill_block_per_row_kernelILj1024ELj32ELj2048ELj137ELj64ElidEEvT5_PKS1_S3_NS_24const_host_device_scalarIT6_EEPKT4_S3_PKS5_S9_S3_SB_S6_S9_S3_SB_S9_S3_PS5_21rocsparse_index_base_SD_SD_SD_bbb,comdat
	.globl	_ZN9rocsparseL41csrgemm_numeric_fill_block_per_row_kernelILj1024ELj32ELj2048ELj137ELj64ElidEEvT5_PKS1_S3_NS_24const_host_device_scalarIT6_EEPKT4_S3_PKS5_S9_S3_SB_S6_S9_S3_SB_S9_S3_PS5_21rocsparse_index_base_SD_SD_SD_bbb ; -- Begin function _ZN9rocsparseL41csrgemm_numeric_fill_block_per_row_kernelILj1024ELj32ELj2048ELj137ELj64ElidEEvT5_PKS1_S3_NS_24const_host_device_scalarIT6_EEPKT4_S3_PKS5_S9_S3_SB_S6_S9_S3_SB_S9_S3_PS5_21rocsparse_index_base_SD_SD_SD_bbb
	.p2align	8
	.type	_ZN9rocsparseL41csrgemm_numeric_fill_block_per_row_kernelILj1024ELj32ELj2048ELj137ELj64ElidEEvT5_PKS1_S3_NS_24const_host_device_scalarIT6_EEPKT4_S3_PKS5_S9_S3_SB_S6_S9_S3_SB_S9_S3_PS5_21rocsparse_index_base_SD_SD_SD_bbb,@function
_ZN9rocsparseL41csrgemm_numeric_fill_block_per_row_kernelILj1024ELj32ELj2048ELj137ELj64ElidEEvT5_PKS1_S3_NS_24const_host_device_scalarIT6_EEPKT4_S3_PKS5_S9_S3_SB_S6_S9_S3_SB_S9_S3_PS5_21rocsparse_index_base_SD_SD_SD_bbb: ; @_ZN9rocsparseL41csrgemm_numeric_fill_block_per_row_kernelILj1024ELj32ELj2048ELj137ELj64ElidEEvT5_PKS1_S3_NS_24const_host_device_scalarIT6_EEPKT4_S3_PKS5_S9_S3_SB_S6_S9_S3_SB_S9_S3_PS5_21rocsparse_index_base_SD_SD_SD_bbb
; %bb.0:
	s_clause 0x3
	s_load_b32 s12, s[0:1], 0x98
	s_load_b64 s[4:5], s[0:1], 0x18
	s_load_b128 s[24:27], s[0:1], 0x88
	s_load_b64 s[2:3], s[0:1], 0x50
	s_waitcnt lgkmcnt(0)
	s_and_b32 s6, 1, s12
	s_bitcmp1_b32 s12, 16
	s_cselect_b32 s14, -1, 0
	s_cmp_eq_u32 s6, 1
	s_cselect_b32 s13, -1, 0
	s_delay_alu instid0(SALU_CYCLE_1)
	s_and_b32 s6, s13, exec_lo
	s_cselect_b32 s7, s5, 0
	s_cselect_b32 s6, s4, 0
	s_xor_b32 s8, s13, -1
	v_dual_mov_b32 v3, s6 :: v_dual_mov_b32 v4, s7
	s_or_b32 s8, s8, s14
	s_delay_alu instid0(SALU_CYCLE_1)
	s_and_b32 vcc_lo, exec_lo, s8
	s_cbranch_vccnz .LBB189_2
; %bb.1:
	v_dual_mov_b32 v1, s4 :: v_dual_mov_b32 v2, s5
	flat_load_b64 v[3:4], v[1:2]
.LBB189_2:
	s_clause 0x4
	s_load_b64 s[34:35], s[0:1], 0x80
	s_load_b256 s[16:23], s[0:1], 0x58
	s_load_b128 s[28:31], s[0:1], 0x40
	s_load_b128 s[36:39], s[0:1], 0x8
	s_load_b256 s[4:11], s[0:1], 0x20
	s_bitcmp1_b32 s12, 8
	s_cselect_b32 s12, -1, 0
	s_delay_alu instid0(SALU_CYCLE_1)
	s_and_b32 s33, s12, exec_lo
	s_cselect_b32 s41, s3, 0
	s_cselect_b32 s40, s2, 0
	s_xor_b32 s33, s12, -1
	v_dual_mov_b32 v1, s40 :: v_dual_mov_b32 v2, s41
	s_or_b32 s14, s33, s14
	s_delay_alu instid0(SALU_CYCLE_1)
	s_and_b32 vcc_lo, exec_lo, s14
	s_cbranch_vccnz .LBB189_4
; %bb.3:
	v_dual_mov_b32 v1, s2 :: v_dual_mov_b32 v2, s3
	flat_load_b64 v[1:2], v[1:2]
.LBB189_4:
	s_load_b32 s33, s[0:1], 0x0
	v_dual_mov_b32 v5, 0 :: v_dual_lshlrev_b32 v6, 3, v0
	v_lshl_add_u32 v17, v0, 2, 0
	v_or_b32_e32 v18, 0xfffffc00, v0
	s_mov_b32 s0, 0
	s_delay_alu instid0(VALU_DEP_3) | instskip(SKIP_1) | instid1(VALU_DEP_3)
	v_add3_u32 v19, v6, 0, 0x2000
	v_mov_b32_e32 v6, v5
	v_dual_mov_b32 v7, v17 :: v_dual_mov_b32 v8, v18
	s_waitcnt lgkmcnt(0)
	s_delay_alu instid0(VALU_DEP_3)
	v_dual_mov_b32 v10, v19 :: v_dual_mov_b32 v9, s33
.LBB189_5:                              ; =>This Inner Loop Header: Depth=1
	s_delay_alu instid0(VALU_DEP_2) | instskip(NEXT) | instid1(VALU_DEP_1)
	v_add_co_u32 v8, s1, 0x400, v8
	s_xor_b32 s1, s1, -1
	ds_store_b32 v7, v9
	ds_store_b64 v10, v[5:6]
	v_add_nc_u32_e32 v10, 0x2000, v10
	v_add_nc_u32_e32 v7, 0x1000, v7
	s_and_b32 s1, exec_lo, s1
	s_delay_alu instid0(SALU_CYCLE_1) | instskip(NEXT) | instid1(SALU_CYCLE_1)
	s_or_b32 s0, s1, s0
	s_and_not1_b32 exec_lo, exec_lo, s0
	s_cbranch_execnz .LBB189_5
; %bb.6:
	s_or_b32 exec_lo, exec_lo, s0
	s_waitcnt vmcnt(0) lgkmcnt(0)
	s_barrier
	buffer_gl0_inv
	s_load_b32 s0, s[36:37], 0x0
	s_mov_b32 s1, 0
	s_waitcnt lgkmcnt(0)
	s_add_i32 s0, s0, s15
	s_delay_alu instid0(SALU_CYCLE_1) | instskip(NEXT) | instid1(SALU_CYCLE_1)
	s_lshl_b64 s[0:1], s[0:1], 2
	s_add_u32 s0, s38, s0
	s_addc_u32 s1, s39, s1
	s_and_b32 vcc_lo, exec_lo, s13
	s_load_b32 s36, s[0:1], 0x0
	s_cbranch_vccz .LBB189_30
; %bb.7:
	s_waitcnt lgkmcnt(0)
	s_ashr_i32 s37, s36, 31
	v_lshrrev_b32_e32 v5, 5, v0
	s_lshl_b64 s[0:1], s[36:37], 3
	s_delay_alu instid0(SALU_CYCLE_1) | instskip(SKIP_1) | instid1(VALU_DEP_1)
	s_add_u32 s0, s4, s0
	s_addc_u32 s1, s5, s1
	v_sub_co_u32 v5, s4, v5, s24
	s_load_b128 s[0:3], s[0:1], 0x0
	v_sub_co_ci_u32_e64 v6, null, 0, 0, s4
	s_waitcnt lgkmcnt(0)
	s_delay_alu instid0(VALU_DEP_2) | instskip(NEXT) | instid1(VALU_DEP_2)
	v_add_co_u32 v5, vcc_lo, s0, v5
	v_add_co_ci_u32_e32 v6, vcc_lo, s1, v6, vcc_lo
	s_sub_u32 s0, s2, s24
	s_subb_u32 s1, s3, 0
	s_mov_b32 s2, exec_lo
	s_delay_alu instid0(VALU_DEP_1)
	v_cmpx_gt_i64_e64 s[0:1], v[5:6]
	s_cbranch_execz .LBB189_29
; %bb.8:
	v_and_b32_e32 v7, 31, v0
	s_mov_b32 s4, s25
	s_delay_alu instid0(VALU_DEP_1) | instskip(NEXT) | instid1(VALU_DEP_1)
	v_sub_co_u32 v20, s3, v7, s25
	v_sub_co_ci_u32_e64 v21, null, 0, 0, s3
	s_mov_b32 s3, 0
	s_branch .LBB189_10
.LBB189_9:                              ;   in Loop: Header=BB189_10 Depth=1
	s_or_b32 exec_lo, exec_lo, s5
	v_add_co_u32 v5, vcc_lo, v5, 32
	v_add_co_ci_u32_e32 v6, vcc_lo, 0, v6, vcc_lo
	s_delay_alu instid0(VALU_DEP_1) | instskip(SKIP_1) | instid1(SALU_CYCLE_1)
	v_cmp_le_i64_e32 vcc_lo, s[0:1], v[5:6]
	s_or_b32 s3, vcc_lo, s3
	s_and_not1_b32 exec_lo, exec_lo, s3
	s_cbranch_execz .LBB189_29
.LBB189_10:                             ; =>This Loop Header: Depth=1
                                        ;     Child Loop BB189_13 Depth 2
                                        ;       Child Loop BB189_15 Depth 3
                                        ;         Child Loop BB189_21 Depth 4
                                        ;         Child Loop BB189_27 Depth 4
	v_lshlrev_b64 v[7:8], 2, v[5:6]
	s_mov_b32 s5, exec_lo
	s_delay_alu instid0(VALU_DEP_1) | instskip(NEXT) | instid1(VALU_DEP_2)
	v_add_co_u32 v7, vcc_lo, s6, v7
	v_add_co_ci_u32_e32 v8, vcc_lo, s7, v8, vcc_lo
	global_load_b32 v7, v[7:8], off
	s_waitcnt vmcnt(0)
	v_subrev_nc_u32_e32 v7, s24, v7
	s_delay_alu instid0(VALU_DEP_1) | instskip(NEXT) | instid1(VALU_DEP_1)
	v_ashrrev_i32_e32 v8, 31, v7
	v_lshlrev_b64 v[7:8], 3, v[7:8]
	s_delay_alu instid0(VALU_DEP_1) | instskip(NEXT) | instid1(VALU_DEP_2)
	v_add_co_u32 v7, vcc_lo, s10, v7
	v_add_co_ci_u32_e32 v8, vcc_lo, s11, v8, vcc_lo
	global_load_b128 v[9:12], v[7:8], off
	s_waitcnt vmcnt(0)
	v_sub_co_u32 v7, vcc_lo, v11, s4
	v_subrev_co_ci_u32_e32 v8, vcc_lo, 0, v12, vcc_lo
	v_add_co_u32 v9, vcc_lo, v9, v20
	v_add_co_ci_u32_e32 v10, vcc_lo, v10, v21, vcc_lo
	s_delay_alu instid0(VALU_DEP_1)
	v_cmpx_lt_i64_e64 v[9:10], v[7:8]
	s_cbranch_execz .LBB189_9
; %bb.11:                               ;   in Loop: Header=BB189_10 Depth=1
	v_lshlrev_b64 v[11:12], 3, v[5:6]
	s_mov_b32 s13, 0
	s_delay_alu instid0(VALU_DEP_1) | instskip(NEXT) | instid1(VALU_DEP_2)
	v_add_co_u32 v11, vcc_lo, s8, v11
	v_add_co_ci_u32_e32 v12, vcc_lo, s9, v12, vcc_lo
	global_load_b64 v[11:12], v[11:12], off
	s_waitcnt vmcnt(0)
	v_mul_f64 v[11:12], v[3:4], v[11:12]
	s_branch .LBB189_13
.LBB189_12:                             ;   in Loop: Header=BB189_13 Depth=2
	s_or_b32 exec_lo, exec_lo, s14
	v_add_co_u32 v9, vcc_lo, v9, 32
	v_add_co_ci_u32_e32 v10, vcc_lo, 0, v10, vcc_lo
	s_delay_alu instid0(VALU_DEP_1) | instskip(SKIP_1) | instid1(SALU_CYCLE_1)
	v_cmp_ge_i64_e32 vcc_lo, v[9:10], v[7:8]
	s_or_b32 s13, vcc_lo, s13
	s_and_not1_b32 exec_lo, exec_lo, s13
	s_cbranch_execz .LBB189_9
.LBB189_13:                             ;   Parent Loop BB189_10 Depth=1
                                        ; =>  This Loop Header: Depth=2
                                        ;       Child Loop BB189_15 Depth 3
                                        ;         Child Loop BB189_21 Depth 4
                                        ;         Child Loop BB189_27 Depth 4
	v_lshlrev_b64 v[13:14], 3, v[9:10]
	v_lshlrev_b64 v[15:16], 2, v[9:10]
	s_mov_b32 s14, 0
	s_delay_alu instid0(VALU_DEP_2) | instskip(NEXT) | instid1(VALU_DEP_3)
	v_add_co_u32 v13, vcc_lo, s30, v13
	v_add_co_ci_u32_e32 v14, vcc_lo, s31, v14, vcc_lo
	s_delay_alu instid0(VALU_DEP_3) | instskip(NEXT) | instid1(VALU_DEP_4)
	v_add_co_u32 v15, vcc_lo, s28, v15
	v_add_co_ci_u32_e32 v16, vcc_lo, s29, v16, vcc_lo
	global_load_b64 v[13:14], v[13:14], off
	global_load_b32 v15, v[15:16], off
	s_waitcnt vmcnt(1)
	v_mul_f64 v[13:14], v[11:12], v[13:14]
	s_waitcnt vmcnt(0)
	v_subrev_nc_u32_e32 v22, s25, v15
	s_delay_alu instid0(VALU_DEP_1) | instskip(NEXT) | instid1(VALU_DEP_1)
	v_mul_lo_u32 v15, 0x89, v22
	v_and_b32_e32 v23, 0x7ff, v15
	s_branch .LBB189_15
.LBB189_14:                             ;   in Loop: Header=BB189_15 Depth=3
	s_or_b32 exec_lo, exec_lo, s15
	s_xor_b32 s15, s37, -1
	s_delay_alu instid0(SALU_CYCLE_1) | instskip(NEXT) | instid1(SALU_CYCLE_1)
	s_and_b32 s15, exec_lo, s15
	s_or_b32 s14, s15, s14
	s_delay_alu instid0(SALU_CYCLE_1)
	s_and_not1_b32 exec_lo, exec_lo, s14
	s_cbranch_execz .LBB189_12
.LBB189_15:                             ;   Parent Loop BB189_10 Depth=1
                                        ;     Parent Loop BB189_13 Depth=2
                                        ; =>    This Loop Header: Depth=3
                                        ;         Child Loop BB189_21 Depth 4
                                        ;         Child Loop BB189_27 Depth 4
	s_delay_alu instid0(VALU_DEP_1)
	v_lshl_add_u32 v15, v23, 2, 0
	s_mov_b32 s15, exec_lo
                                        ; implicit-def: $sgpr37
	ds_load_b32 v16, v15
	s_waitcnt lgkmcnt(0)
	v_cmpx_ne_u32_e64 v16, v22
	s_xor_b32 s15, exec_lo, s15
	s_cbranch_execz .LBB189_25
; %bb.16:                               ;   in Loop: Header=BB189_15 Depth=3
	s_mov_b32 s38, exec_lo
                                        ; implicit-def: $sgpr37
	v_cmpx_ne_u32_e64 s33, v16
	s_xor_b32 s38, exec_lo, s38
; %bb.17:                               ;   in Loop: Header=BB189_15 Depth=3
	v_add_nc_u32_e32 v15, 1, v23
	s_mov_b32 s37, -1
	s_delay_alu instid0(VALU_DEP_1)
	v_and_b32_e32 v23, 0x7ff, v15
                                        ; implicit-def: $vgpr15
; %bb.18:                               ;   in Loop: Header=BB189_15 Depth=3
	s_and_not1_saveexec_b32 s38, s38
	s_cbranch_execz .LBB189_24
; %bb.19:                               ;   in Loop: Header=BB189_15 Depth=3
	v_mov_b32_e32 v16, s33
	s_mov_b32 s40, -1
	s_mov_b32 s39, exec_lo
	ds_cmpstore_rtn_b32 v16, v15, v22, v16
	s_waitcnt lgkmcnt(0)
	v_cmpx_eq_u32_e64 s33, v16
	s_cbranch_execz .LBB189_23
; %bb.20:                               ;   in Loop: Header=BB189_15 Depth=3
	v_lshlrev_b32_e32 v16, 2, v23
	s_mov_b32 s40, 0
	s_delay_alu instid0(VALU_DEP_1)
	v_add_nc_u32_e32 v24, v15, v16
	ds_load_b64 v[15:16], v24 offset:8192
.LBB189_21:                             ;   Parent Loop BB189_10 Depth=1
                                        ;     Parent Loop BB189_13 Depth=2
                                        ;       Parent Loop BB189_15 Depth=3
                                        ; =>      This Inner Loop Header: Depth=4
	s_waitcnt lgkmcnt(0)
	v_add_f64 v[25:26], v[15:16], v[13:14]
	ds_cmpstore_rtn_b64 v[25:26], v24, v[25:26], v[15:16] offset:8192
	s_waitcnt lgkmcnt(0)
	v_cmp_eq_u64_e32 vcc_lo, v[25:26], v[15:16]
	v_dual_mov_b32 v15, v25 :: v_dual_mov_b32 v16, v26
	s_or_b32 s40, vcc_lo, s40
	s_delay_alu instid0(SALU_CYCLE_1)
	s_and_not1_b32 exec_lo, exec_lo, s40
	s_cbranch_execnz .LBB189_21
; %bb.22:                               ;   in Loop: Header=BB189_15 Depth=3
	s_or_b32 exec_lo, exec_lo, s40
	s_delay_alu instid0(SALU_CYCLE_1)
	s_xor_b32 s40, exec_lo, -1
.LBB189_23:                             ;   in Loop: Header=BB189_15 Depth=3
	s_or_b32 exec_lo, exec_lo, s39
	s_delay_alu instid0(SALU_CYCLE_1) | instskip(SKIP_1) | instid1(SALU_CYCLE_1)
	s_and_not1_b32 s37, s37, exec_lo
	s_and_b32 s39, s40, exec_lo
	s_or_b32 s37, s37, s39
.LBB189_24:                             ;   in Loop: Header=BB189_15 Depth=3
	s_or_b32 exec_lo, exec_lo, s38
	s_delay_alu instid0(SALU_CYCLE_1)
	s_and_b32 s37, s37, exec_lo
                                        ; implicit-def: $vgpr15
.LBB189_25:                             ;   in Loop: Header=BB189_15 Depth=3
	s_and_not1_saveexec_b32 s15, s15
	s_cbranch_execz .LBB189_14
; %bb.26:                               ;   in Loop: Header=BB189_15 Depth=3
	v_lshlrev_b32_e32 v16, 2, v23
	s_mov_b32 s38, 0
	s_delay_alu instid0(VALU_DEP_1)
	v_add_nc_u32_e32 v24, v15, v16
	ds_load_b64 v[15:16], v24 offset:8192
.LBB189_27:                             ;   Parent Loop BB189_10 Depth=1
                                        ;     Parent Loop BB189_13 Depth=2
                                        ;       Parent Loop BB189_15 Depth=3
                                        ; =>      This Inner Loop Header: Depth=4
	s_waitcnt lgkmcnt(0)
	v_add_f64 v[25:26], v[15:16], v[13:14]
	ds_cmpstore_rtn_b64 v[25:26], v24, v[25:26], v[15:16] offset:8192
	s_waitcnt lgkmcnt(0)
	v_cmp_eq_u64_e32 vcc_lo, v[25:26], v[15:16]
	v_dual_mov_b32 v15, v25 :: v_dual_mov_b32 v16, v26
	s_or_b32 s38, vcc_lo, s38
	s_delay_alu instid0(SALU_CYCLE_1)
	s_and_not1_b32 exec_lo, exec_lo, s38
	s_cbranch_execnz .LBB189_27
; %bb.28:                               ;   in Loop: Header=BB189_15 Depth=3
	s_or_b32 exec_lo, exec_lo, s38
	s_delay_alu instid0(SALU_CYCLE_1)
	s_and_not1_b32 s37, s37, exec_lo
	s_branch .LBB189_14
.LBB189_29:
	s_or_b32 exec_lo, exec_lo, s2
.LBB189_30:
	s_delay_alu instid0(SALU_CYCLE_1)
	s_and_not1_b32 vcc_lo, exec_lo, s12
	s_cbranch_vccnz .LBB189_33
; %bb.31:
	s_waitcnt lgkmcnt(0)
	s_ashr_i32 s37, s36, 31
	v_sub_co_u32 v3, s4, v0, s27
	s_lshl_b64 s[0:1], s[36:37], 3
	v_sub_co_ci_u32_e64 v4, null, 0, 0, s4
	s_add_u32 s0, s16, s0
	s_addc_u32 s1, s17, s1
	s_load_b128 s[0:3], s[0:1], 0x0
	s_waitcnt lgkmcnt(0)
	v_add_co_u32 v3, vcc_lo, s0, v3
	v_add_co_ci_u32_e32 v4, vcc_lo, s1, v4, vcc_lo
	s_sub_u32 s0, s2, s27
	s_subb_u32 s1, s3, 0
	s_mov_b32 s3, 0
	s_mov_b32 s2, exec_lo
	v_cmpx_gt_i64_e64 s[0:1], v[3:4]
	s_cbranch_execnz .LBB189_70
.LBB189_32:
	s_or_b32 exec_lo, exec_lo, s2
.LBB189_33:
	v_mbcnt_lo_u32_b32 v1, -1, 0
	v_lshrrev_b32_e32 v2, 4, v0
	v_cmp_eq_u32_e32 vcc_lo, 0x3ff, v0
	v_cmp_lt_u32_e64 s0, 63, v0
	v_cmp_lt_u32_e64 s1, 0x7f, v0
	v_xor_b32_e32 v1, 63, v1
	v_dual_mov_b32 v6, 0 :: v_dual_and_b32 v3, 60, v2
	v_cmp_lt_u32_e64 s2, 0xbf, v0
	v_cmp_lt_u32_e64 s3, 0xff, v0
	s_delay_alu instid0(VALU_DEP_4) | instskip(NEXT) | instid1(VALU_DEP_4)
	v_lshrrev_b64 v[1:2], v1, -1
	v_dual_mov_b32 v5, 0 :: v_dual_add_nc_u32 v4, 0, v3
	v_cmp_lt_u32_e64 s4, 0x13f, v0
	v_cmp_lt_u32_e64 s5, 0x17f, v0
	;; [unrolled: 1-line block ×11, first 2 shown]
	s_mov_b32 s16, 0
	s_waitcnt lgkmcnt(0)
	s_barrier
	buffer_gl0_inv
	s_branch .LBB189_35
.LBB189_34:                             ;   in Loop: Header=BB189_35 Depth=1
	s_or_b32 exec_lo, exec_lo, s15
	s_waitcnt lgkmcnt(0)
	s_barrier
	buffer_gl0_inv
	ds_load_b32 v2, v5 offset:24636
	v_add_co_u32 v18, s15, 0x400, v18
	s_delay_alu instid0(VALU_DEP_1) | instskip(SKIP_3) | instid1(SALU_CYCLE_1)
	s_xor_b32 s15, s15, -1
	v_add_nc_u32_e32 v19, 0x2000, v19
	v_add_nc_u32_e32 v17, 0x1000, v17
	s_and_b32 s15, exec_lo, s15
	s_or_b32 s16, s15, s16
	s_waitcnt lgkmcnt(0)
	v_add_nc_u32_e32 v6, v2, v6
	s_and_not1_b32 exec_lo, exec_lo, s16
	s_cbranch_execz .LBB189_86
.LBB189_35:                             ; =>This Inner Loop Header: Depth=1
	ds_load_b32 v7, v17
	ds_load_b64 v[2:3], v19
	s_waitcnt lgkmcnt(0)
	s_barrier
	buffer_gl0_inv
	v_cmp_gt_i32_e64 s15, s33, v7
	s_delay_alu instid0(VALU_DEP_1) | instskip(NEXT) | instid1(SALU_CYCLE_1)
	s_bcnt1_i32_b32 s17, s15
	v_dual_mov_b32 v9, s17 :: v_dual_and_b32 v8, s15, v1
	s_delay_alu instid0(VALU_DEP_1)
	v_bcnt_u32_b32 v8, v8, 0
	ds_store_b32 v4, v9 offset:24576
	s_waitcnt lgkmcnt(0)
	s_barrier
	buffer_gl0_inv
	s_and_saveexec_b32 s17, s0
	s_cbranch_execnz .LBB189_52
; %bb.36:                               ;   in Loop: Header=BB189_35 Depth=1
	s_or_b32 exec_lo, exec_lo, s17
	s_and_saveexec_b32 s17, s1
	s_cbranch_execnz .LBB189_53
.LBB189_37:                             ;   in Loop: Header=BB189_35 Depth=1
	s_or_b32 exec_lo, exec_lo, s17
	s_and_saveexec_b32 s17, s2
	s_cbranch_execnz .LBB189_54
.LBB189_38:                             ;   in Loop: Header=BB189_35 Depth=1
	s_or_b32 exec_lo, exec_lo, s17
	s_and_saveexec_b32 s17, s3
	s_cbranch_execnz .LBB189_55
.LBB189_39:                             ;   in Loop: Header=BB189_35 Depth=1
	s_or_b32 exec_lo, exec_lo, s17
	s_and_saveexec_b32 s17, s4
	s_cbranch_execnz .LBB189_56
.LBB189_40:                             ;   in Loop: Header=BB189_35 Depth=1
	s_or_b32 exec_lo, exec_lo, s17
	s_and_saveexec_b32 s17, s5
	s_cbranch_execnz .LBB189_57
.LBB189_41:                             ;   in Loop: Header=BB189_35 Depth=1
	s_or_b32 exec_lo, exec_lo, s17
	s_and_saveexec_b32 s17, s6
	s_cbranch_execnz .LBB189_58
.LBB189_42:                             ;   in Loop: Header=BB189_35 Depth=1
	s_or_b32 exec_lo, exec_lo, s17
	s_and_saveexec_b32 s17, s7
	s_cbranch_execnz .LBB189_59
.LBB189_43:                             ;   in Loop: Header=BB189_35 Depth=1
	s_or_b32 exec_lo, exec_lo, s17
	s_and_saveexec_b32 s17, s8
	s_cbranch_execnz .LBB189_60
.LBB189_44:                             ;   in Loop: Header=BB189_35 Depth=1
	s_or_b32 exec_lo, exec_lo, s17
	s_and_saveexec_b32 s17, s9
	s_cbranch_execnz .LBB189_61
.LBB189_45:                             ;   in Loop: Header=BB189_35 Depth=1
	s_or_b32 exec_lo, exec_lo, s17
	s_and_saveexec_b32 s17, s10
	s_cbranch_execnz .LBB189_62
.LBB189_46:                             ;   in Loop: Header=BB189_35 Depth=1
	s_or_b32 exec_lo, exec_lo, s17
	s_and_saveexec_b32 s17, s11
	s_cbranch_execnz .LBB189_63
.LBB189_47:                             ;   in Loop: Header=BB189_35 Depth=1
	s_or_b32 exec_lo, exec_lo, s17
	s_and_saveexec_b32 s17, s12
	s_cbranch_execnz .LBB189_64
.LBB189_48:                             ;   in Loop: Header=BB189_35 Depth=1
	s_or_b32 exec_lo, exec_lo, s17
	s_and_saveexec_b32 s17, s13
	s_cbranch_execnz .LBB189_65
.LBB189_49:                             ;   in Loop: Header=BB189_35 Depth=1
	s_or_b32 exec_lo, exec_lo, s17
	s_and_saveexec_b32 s17, s14
	s_cbranch_execnz .LBB189_66
.LBB189_50:                             ;   in Loop: Header=BB189_35 Depth=1
	s_or_b32 exec_lo, exec_lo, s17
	s_and_saveexec_b32 s17, s15
	s_cbranch_execnz .LBB189_67
.LBB189_51:                             ;   in Loop: Header=BB189_35 Depth=1
	s_or_b32 exec_lo, exec_lo, s17
	s_and_saveexec_b32 s15, vcc_lo
	s_cbranch_execz .LBB189_34
	s_branch .LBB189_68
.LBB189_52:                             ;   in Loop: Header=BB189_35 Depth=1
	ds_load_b32 v9, v5 offset:24576
	s_waitcnt lgkmcnt(0)
	v_add_nc_u32_e32 v8, v9, v8
	s_or_b32 exec_lo, exec_lo, s17
	s_and_saveexec_b32 s17, s1
	s_cbranch_execz .LBB189_37
.LBB189_53:                             ;   in Loop: Header=BB189_35 Depth=1
	ds_load_b32 v9, v5 offset:24580
	s_waitcnt lgkmcnt(0)
	v_add_nc_u32_e32 v8, v9, v8
	s_or_b32 exec_lo, exec_lo, s17
	s_and_saveexec_b32 s17, s2
	s_cbranch_execz .LBB189_38
.LBB189_54:                             ;   in Loop: Header=BB189_35 Depth=1
	ds_load_b32 v9, v5 offset:24584
	s_waitcnt lgkmcnt(0)
	v_add_nc_u32_e32 v8, v9, v8
	s_or_b32 exec_lo, exec_lo, s17
	s_and_saveexec_b32 s17, s3
	s_cbranch_execz .LBB189_39
.LBB189_55:                             ;   in Loop: Header=BB189_35 Depth=1
	ds_load_b32 v9, v5 offset:24588
	s_waitcnt lgkmcnt(0)
	v_add_nc_u32_e32 v8, v9, v8
	s_or_b32 exec_lo, exec_lo, s17
	s_and_saveexec_b32 s17, s4
	s_cbranch_execz .LBB189_40
.LBB189_56:                             ;   in Loop: Header=BB189_35 Depth=1
	ds_load_b32 v9, v5 offset:24592
	s_waitcnt lgkmcnt(0)
	v_add_nc_u32_e32 v8, v9, v8
	s_or_b32 exec_lo, exec_lo, s17
	s_and_saveexec_b32 s17, s5
	s_cbranch_execz .LBB189_41
.LBB189_57:                             ;   in Loop: Header=BB189_35 Depth=1
	ds_load_b32 v9, v5 offset:24596
	s_waitcnt lgkmcnt(0)
	v_add_nc_u32_e32 v8, v9, v8
	s_or_b32 exec_lo, exec_lo, s17
	s_and_saveexec_b32 s17, s6
	s_cbranch_execz .LBB189_42
.LBB189_58:                             ;   in Loop: Header=BB189_35 Depth=1
	ds_load_b32 v9, v5 offset:24600
	s_waitcnt lgkmcnt(0)
	v_add_nc_u32_e32 v8, v9, v8
	s_or_b32 exec_lo, exec_lo, s17
	s_and_saveexec_b32 s17, s7
	s_cbranch_execz .LBB189_43
.LBB189_59:                             ;   in Loop: Header=BB189_35 Depth=1
	ds_load_b32 v9, v5 offset:24604
	s_waitcnt lgkmcnt(0)
	v_add_nc_u32_e32 v8, v9, v8
	s_or_b32 exec_lo, exec_lo, s17
	s_and_saveexec_b32 s17, s8
	s_cbranch_execz .LBB189_44
.LBB189_60:                             ;   in Loop: Header=BB189_35 Depth=1
	ds_load_b32 v9, v5 offset:24608
	s_waitcnt lgkmcnt(0)
	v_add_nc_u32_e32 v8, v9, v8
	s_or_b32 exec_lo, exec_lo, s17
	s_and_saveexec_b32 s17, s9
	s_cbranch_execz .LBB189_45
.LBB189_61:                             ;   in Loop: Header=BB189_35 Depth=1
	ds_load_b32 v9, v5 offset:24612
	s_waitcnt lgkmcnt(0)
	v_add_nc_u32_e32 v8, v9, v8
	s_or_b32 exec_lo, exec_lo, s17
	s_and_saveexec_b32 s17, s10
	s_cbranch_execz .LBB189_46
.LBB189_62:                             ;   in Loop: Header=BB189_35 Depth=1
	ds_load_b32 v9, v5 offset:24616
	s_waitcnt lgkmcnt(0)
	v_add_nc_u32_e32 v8, v9, v8
	s_or_b32 exec_lo, exec_lo, s17
	s_and_saveexec_b32 s17, s11
	s_cbranch_execz .LBB189_47
.LBB189_63:                             ;   in Loop: Header=BB189_35 Depth=1
	ds_load_b32 v9, v5 offset:24620
	s_waitcnt lgkmcnt(0)
	v_add_nc_u32_e32 v8, v9, v8
	s_or_b32 exec_lo, exec_lo, s17
	s_and_saveexec_b32 s17, s12
	s_cbranch_execz .LBB189_48
.LBB189_64:                             ;   in Loop: Header=BB189_35 Depth=1
	ds_load_b32 v9, v5 offset:24624
	s_waitcnt lgkmcnt(0)
	v_add_nc_u32_e32 v8, v9, v8
	s_or_b32 exec_lo, exec_lo, s17
	s_and_saveexec_b32 s17, s13
	s_cbranch_execz .LBB189_49
.LBB189_65:                             ;   in Loop: Header=BB189_35 Depth=1
	ds_load_b32 v9, v5 offset:24628
	s_waitcnt lgkmcnt(0)
	v_add_nc_u32_e32 v8, v9, v8
	s_or_b32 exec_lo, exec_lo, s17
	s_and_saveexec_b32 s17, s14
	s_cbranch_execz .LBB189_50
.LBB189_66:                             ;   in Loop: Header=BB189_35 Depth=1
	ds_load_b32 v9, v5 offset:24632
	s_waitcnt lgkmcnt(0)
	v_add_nc_u32_e32 v8, v9, v8
	s_or_b32 exec_lo, exec_lo, s17
	s_and_saveexec_b32 s17, s15
	s_cbranch_execz .LBB189_51
.LBB189_67:                             ;   in Loop: Header=BB189_35 Depth=1
	s_delay_alu instid0(VALU_DEP_1) | instskip(NEXT) | instid1(VALU_DEP_1)
	v_add3_u32 v9, v6, -1, v8
	v_lshl_add_u32 v10, v9, 2, 0
	v_lshl_add_u32 v9, v9, 3, 0
	ds_store_b32 v10, v7
	ds_store_b64 v9, v[2:3] offset:8192
	s_or_b32 exec_lo, exec_lo, s17
	s_and_saveexec_b32 s15, vcc_lo
	s_cbranch_execz .LBB189_34
.LBB189_68:                             ;   in Loop: Header=BB189_35 Depth=1
	ds_store_b32 v5, v8 offset:24636
	s_branch .LBB189_34
.LBB189_69:                             ;   in Loop: Header=BB189_70 Depth=1
	s_or_b32 exec_lo, exec_lo, s4
	v_add_co_u32 v3, vcc_lo, 0x400, v3
	v_add_co_ci_u32_e32 v4, vcc_lo, 0, v4, vcc_lo
	s_delay_alu instid0(VALU_DEP_1) | instskip(SKIP_1) | instid1(SALU_CYCLE_1)
	v_cmp_le_i64_e32 vcc_lo, s[0:1], v[3:4]
	s_or_b32 s3, vcc_lo, s3
	s_and_not1_b32 exec_lo, exec_lo, s3
	s_cbranch_execz .LBB189_32
.LBB189_70:                             ; =>This Loop Header: Depth=1
                                        ;     Child Loop BB189_72 Depth 2
                                        ;       Child Loop BB189_78 Depth 3
                                        ;       Child Loop BB189_84 Depth 3
	v_lshlrev_b64 v[5:6], 3, v[3:4]
	v_lshlrev_b64 v[7:8], 2, v[3:4]
	s_mov_b32 s4, 0
	s_delay_alu instid0(VALU_DEP_2) | instskip(NEXT) | instid1(VALU_DEP_3)
	v_add_co_u32 v5, vcc_lo, s20, v5
	v_add_co_ci_u32_e32 v6, vcc_lo, s21, v6, vcc_lo
	s_delay_alu instid0(VALU_DEP_3) | instskip(NEXT) | instid1(VALU_DEP_4)
	v_add_co_u32 v7, vcc_lo, s18, v7
	v_add_co_ci_u32_e32 v8, vcc_lo, s19, v8, vcc_lo
	global_load_b64 v[5:6], v[5:6], off
	global_load_b32 v7, v[7:8], off
	s_waitcnt vmcnt(1)
	v_mul_f64 v[5:6], v[1:2], v[5:6]
	s_waitcnt vmcnt(0)
	v_subrev_nc_u32_e32 v9, s27, v7
	s_delay_alu instid0(VALU_DEP_1) | instskip(NEXT) | instid1(VALU_DEP_1)
	v_mul_lo_u32 v7, 0x89, v9
	v_and_b32_e32 v10, 0x7ff, v7
	s_branch .LBB189_72
.LBB189_71:                             ;   in Loop: Header=BB189_72 Depth=2
	s_or_b32 exec_lo, exec_lo, s5
	s_xor_b32 s5, s6, -1
	s_delay_alu instid0(SALU_CYCLE_1) | instskip(NEXT) | instid1(SALU_CYCLE_1)
	s_and_b32 s5, exec_lo, s5
	s_or_b32 s4, s5, s4
	s_delay_alu instid0(SALU_CYCLE_1)
	s_and_not1_b32 exec_lo, exec_lo, s4
	s_cbranch_execz .LBB189_69
.LBB189_72:                             ;   Parent Loop BB189_70 Depth=1
                                        ; =>  This Loop Header: Depth=2
                                        ;       Child Loop BB189_78 Depth 3
                                        ;       Child Loop BB189_84 Depth 3
	s_delay_alu instid0(VALU_DEP_1)
	v_lshl_add_u32 v7, v10, 2, 0
	s_mov_b32 s5, exec_lo
                                        ; implicit-def: $sgpr6
	ds_load_b32 v8, v7
	s_waitcnt lgkmcnt(0)
	v_cmpx_ne_u32_e64 v8, v9
	s_xor_b32 s5, exec_lo, s5
	s_cbranch_execz .LBB189_82
; %bb.73:                               ;   in Loop: Header=BB189_72 Depth=2
	s_mov_b32 s7, exec_lo
                                        ; implicit-def: $sgpr6
	v_cmpx_ne_u32_e64 s33, v8
	s_xor_b32 s7, exec_lo, s7
; %bb.74:                               ;   in Loop: Header=BB189_72 Depth=2
	v_add_nc_u32_e32 v7, 1, v10
	s_mov_b32 s6, -1
	s_delay_alu instid0(VALU_DEP_1)
	v_and_b32_e32 v10, 0x7ff, v7
                                        ; implicit-def: $vgpr7
; %bb.75:                               ;   in Loop: Header=BB189_72 Depth=2
	s_and_not1_saveexec_b32 s7, s7
	s_cbranch_execz .LBB189_81
; %bb.76:                               ;   in Loop: Header=BB189_72 Depth=2
	v_mov_b32_e32 v8, s33
	s_mov_b32 s9, -1
	s_mov_b32 s8, exec_lo
	ds_cmpstore_rtn_b32 v8, v7, v9, v8
	s_waitcnt lgkmcnt(0)
	v_cmpx_eq_u32_e64 s33, v8
	s_cbranch_execz .LBB189_80
; %bb.77:                               ;   in Loop: Header=BB189_72 Depth=2
	v_lshlrev_b32_e32 v8, 2, v10
	s_mov_b32 s9, 0
	s_delay_alu instid0(VALU_DEP_1)
	v_add_nc_u32_e32 v11, v7, v8
	ds_load_b64 v[7:8], v11 offset:8192
.LBB189_78:                             ;   Parent Loop BB189_70 Depth=1
                                        ;     Parent Loop BB189_72 Depth=2
                                        ; =>    This Inner Loop Header: Depth=3
	s_waitcnt lgkmcnt(0)
	v_add_f64 v[12:13], v[7:8], v[5:6]
	ds_cmpstore_rtn_b64 v[12:13], v11, v[12:13], v[7:8] offset:8192
	s_waitcnt lgkmcnt(0)
	v_cmp_eq_u64_e32 vcc_lo, v[12:13], v[7:8]
	v_dual_mov_b32 v7, v12 :: v_dual_mov_b32 v8, v13
	s_or_b32 s9, vcc_lo, s9
	s_delay_alu instid0(SALU_CYCLE_1)
	s_and_not1_b32 exec_lo, exec_lo, s9
	s_cbranch_execnz .LBB189_78
; %bb.79:                               ;   in Loop: Header=BB189_72 Depth=2
	s_or_b32 exec_lo, exec_lo, s9
	s_delay_alu instid0(SALU_CYCLE_1)
	s_xor_b32 s9, exec_lo, -1
.LBB189_80:                             ;   in Loop: Header=BB189_72 Depth=2
	s_or_b32 exec_lo, exec_lo, s8
	s_delay_alu instid0(SALU_CYCLE_1) | instskip(SKIP_1) | instid1(SALU_CYCLE_1)
	s_and_not1_b32 s6, s6, exec_lo
	s_and_b32 s8, s9, exec_lo
	s_or_b32 s6, s6, s8
.LBB189_81:                             ;   in Loop: Header=BB189_72 Depth=2
	s_or_b32 exec_lo, exec_lo, s7
	s_delay_alu instid0(SALU_CYCLE_1)
	s_and_b32 s6, s6, exec_lo
                                        ; implicit-def: $vgpr7
.LBB189_82:                             ;   in Loop: Header=BB189_72 Depth=2
	s_and_not1_saveexec_b32 s5, s5
	s_cbranch_execz .LBB189_71
; %bb.83:                               ;   in Loop: Header=BB189_72 Depth=2
	v_lshlrev_b32_e32 v8, 2, v10
	s_mov_b32 s7, 0
	s_delay_alu instid0(VALU_DEP_1)
	v_add_nc_u32_e32 v11, v7, v8
	ds_load_b64 v[7:8], v11 offset:8192
.LBB189_84:                             ;   Parent Loop BB189_70 Depth=1
                                        ;     Parent Loop BB189_72 Depth=2
                                        ; =>    This Inner Loop Header: Depth=3
	s_waitcnt lgkmcnt(0)
	v_add_f64 v[12:13], v[7:8], v[5:6]
	ds_cmpstore_rtn_b64 v[12:13], v11, v[12:13], v[7:8] offset:8192
	s_waitcnt lgkmcnt(0)
	v_cmp_eq_u64_e32 vcc_lo, v[12:13], v[7:8]
	v_dual_mov_b32 v7, v12 :: v_dual_mov_b32 v8, v13
	s_or_b32 s7, vcc_lo, s7
	s_delay_alu instid0(SALU_CYCLE_1)
	s_and_not1_b32 exec_lo, exec_lo, s7
	s_cbranch_execnz .LBB189_84
; %bb.85:                               ;   in Loop: Header=BB189_72 Depth=2
	s_or_b32 exec_lo, exec_lo, s7
	s_delay_alu instid0(SALU_CYCLE_1)
	s_and_not1_b32 s6, s6, exec_lo
	s_branch .LBB189_71
.LBB189_86:
	s_or_b32 exec_lo, exec_lo, s16
	s_ashr_i32 s37, s36, 31
	s_mov_b32 s4, exec_lo
	s_lshl_b64 s[0:1], s[36:37], 3
	s_delay_alu instid0(SALU_CYCLE_1) | instskip(SKIP_4) | instid1(SALU_CYCLE_1)
	s_add_u32 s0, s22, s0
	s_addc_u32 s1, s23, s1
	s_load_b128 s[0:3], s[0:1], 0x0
	s_waitcnt lgkmcnt(0)
	s_sub_i32 s3, s2, s0
	v_cmpx_gt_i32_e64 s3, v0
	s_cbranch_execz .LBB189_96
; %bb.87:
	s_sub_u32 s4, s0, s26
	s_subb_u32 s5, s1, 0
	s_sub_i32 s0, s0, s2
	s_and_b32 s1, s3, 7
	s_cmp_lt_u32 s0, -7
	s_mov_b32 s8, 0
	s_cselect_b32 s2, -1, 0
	s_and_b32 s6, s3, -8
	s_cmp_lg_u32 s1, 0
	s_cselect_b32 s7, -1, 0
	s_branch .LBB189_89
.LBB189_88:                             ;   in Loop: Header=BB189_89 Depth=1
	s_delay_alu instid0(VALU_DEP_1) | instskip(SKIP_1) | instid1(VALU_DEP_1)
	v_lshlrev_b64 v[3:4], 3, v[3:4]
	v_add_nc_u32_e32 v0, 0x400, v0
	v_cmp_le_i32_e32 vcc_lo, s3, v0
	s_delay_alu instid0(VALU_DEP_3) | instskip(NEXT) | instid1(VALU_DEP_1)
	v_add_co_u32 v3, s0, s34, v3
	v_add_co_ci_u32_e64 v4, s0, s35, v4, s0
	s_or_b32 s8, vcc_lo, s8
	s_waitcnt lgkmcnt(0)
	global_store_b64 v[3:4], v[1:2], off
	s_and_not1_b32 exec_lo, exec_lo, s8
	s_cbranch_execz .LBB189_96
.LBB189_89:                             ; =>This Loop Header: Depth=1
                                        ;     Child Loop BB189_91 Depth 2
                                        ;     Child Loop BB189_95 Depth 2
	v_lshlrev_b32_e32 v1, 2, v0
	v_dual_mov_b32 v3, s4 :: v_dual_mov_b32 v4, s5
	s_and_not1_b32 vcc_lo, exec_lo, s2
	s_mov_b32 s0, 0
	s_delay_alu instid0(VALU_DEP_2) | instskip(NEXT) | instid1(VALU_DEP_1)
	v_add_nc_u32_e32 v2, 0, v1
	v_add_nc_u32_e32 v1, v2, v1
	ds_load_b32 v5, v2
	ds_load_b64 v[1:2], v1 offset:8192
	s_cbranch_vccnz .LBB189_93
; %bb.90:                               ;   in Loop: Header=BB189_89 Depth=1
	v_dual_mov_b32 v3, s4 :: v_dual_mov_b32 v4, s5
	s_mov_b32 s9, 0
	s_mov_b32 s10, 0
.LBB189_91:                             ;   Parent Loop BB189_89 Depth=1
                                        ; =>  This Inner Loop Header: Depth=2
	s_delay_alu instid0(SALU_CYCLE_1)
	v_mov_b32_e32 v12, s10
	s_add_i32 s9, s9, 8
	s_add_i32 s10, s10, 32
	s_cmp_eq_u32 s6, s9
	ds_load_2addr_b32 v[6:7], v12 offset1:1
	ds_load_2addr_b32 v[8:9], v12 offset0:2 offset1:3
	ds_load_2addr_b32 v[10:11], v12 offset0:4 offset1:5
	;; [unrolled: 1-line block ×3, first 2 shown]
	s_waitcnt lgkmcnt(3)
	v_cmp_gt_i32_e32 vcc_lo, v5, v6
	v_cndmask_b32_e64 v6, 0, 1, vcc_lo
	v_cmp_gt_i32_e32 vcc_lo, v5, v7
	v_cndmask_b32_e64 v7, 0, 1, vcc_lo
	s_waitcnt lgkmcnt(2)
	v_cmp_gt_i32_e32 vcc_lo, v5, v8
	v_cndmask_b32_e64 v8, 0, 1, vcc_lo
	v_cmp_gt_i32_e32 vcc_lo, v5, v9
	v_cndmask_b32_e64 v9, 0, 1, vcc_lo
	s_waitcnt lgkmcnt(1)
	v_cmp_gt_i32_e32 vcc_lo, v5, v10
	v_cndmask_b32_e64 v10, 0, 1, vcc_lo
	v_add_co_u32 v3, vcc_lo, v3, v6
	v_add_co_ci_u32_e32 v4, vcc_lo, 0, v4, vcc_lo
	v_cmp_gt_i32_e32 vcc_lo, v5, v11
	s_delay_alu instid0(VALU_DEP_3) | instskip(NEXT) | instid1(VALU_DEP_1)
	v_add_co_u32 v3, s0, v3, v7
	v_add_co_ci_u32_e64 v4, s0, 0, v4, s0
	v_cndmask_b32_e64 v6, 0, 1, vcc_lo
	s_delay_alu instid0(VALU_DEP_3) | instskip(NEXT) | instid1(VALU_DEP_3)
	v_add_co_u32 v3, vcc_lo, v3, v8
	v_add_co_ci_u32_e32 v4, vcc_lo, 0, v4, vcc_lo
	s_waitcnt lgkmcnt(0)
	v_cmp_gt_i32_e32 vcc_lo, v5, v12
	s_delay_alu instid0(VALU_DEP_3) | instskip(NEXT) | instid1(VALU_DEP_1)
	v_add_co_u32 v3, s0, v3, v9
	v_add_co_ci_u32_e64 v4, s0, 0, v4, s0
	v_cndmask_b32_e64 v7, 0, 1, vcc_lo
	s_delay_alu instid0(VALU_DEP_3) | instskip(NEXT) | instid1(VALU_DEP_3)
	v_add_co_u32 v3, vcc_lo, v3, v10
	v_add_co_ci_u32_e32 v4, vcc_lo, 0, v4, vcc_lo
	v_cmp_gt_i32_e32 vcc_lo, v5, v13
	s_delay_alu instid0(VALU_DEP_3) | instskip(NEXT) | instid1(VALU_DEP_1)
	v_add_co_u32 v3, s0, v3, v6
	v_add_co_ci_u32_e64 v4, s0, 0, v4, s0
	v_cndmask_b32_e64 v6, 0, 1, vcc_lo
	s_delay_alu instid0(VALU_DEP_3) | instskip(NEXT) | instid1(VALU_DEP_3)
	v_add_co_u32 v3, vcc_lo, v3, v7
	v_add_co_ci_u32_e32 v4, vcc_lo, 0, v4, vcc_lo
	s_delay_alu instid0(VALU_DEP_2) | instskip(NEXT) | instid1(VALU_DEP_2)
	v_add_co_u32 v3, vcc_lo, v3, v6
	v_add_co_ci_u32_e32 v4, vcc_lo, 0, v4, vcc_lo
	s_cbranch_scc0 .LBB189_91
; %bb.92:                               ;   in Loop: Header=BB189_89 Depth=1
	s_mov_b32 s0, s6
.LBB189_93:                             ;   in Loop: Header=BB189_89 Depth=1
	s_and_not1_b32 vcc_lo, exec_lo, s7
	s_cbranch_vccnz .LBB189_88
; %bb.94:                               ;   in Loop: Header=BB189_89 Depth=1
	s_lshl_b32 s0, s0, 2
	s_mov_b32 s9, s1
	s_add_i32 s0, s0, 0
.LBB189_95:                             ;   Parent Loop BB189_89 Depth=1
                                        ; =>  This Inner Loop Header: Depth=2
	s_delay_alu instid0(SALU_CYCLE_1)
	v_mov_b32_e32 v6, s0
	s_add_i32 s9, s9, -1
	s_add_i32 s0, s0, 4
	s_cmp_lg_u32 s9, 0
	ds_load_b32 v6, v6
	s_waitcnt lgkmcnt(0)
	v_cmp_gt_i32_e32 vcc_lo, v5, v6
	v_cndmask_b32_e64 v6, 0, 1, vcc_lo
	s_delay_alu instid0(VALU_DEP_1)
	v_add_co_u32 v3, vcc_lo, v3, v6
	v_add_co_ci_u32_e32 v4, vcc_lo, 0, v4, vcc_lo
	s_cbranch_scc1 .LBB189_95
	s_branch .LBB189_88
.LBB189_96:
	s_nop 0
	s_sendmsg sendmsg(MSG_DEALLOC_VGPRS)
	s_endpgm
	.section	.rodata,"a",@progbits
	.p2align	6, 0x0
	.amdhsa_kernel _ZN9rocsparseL41csrgemm_numeric_fill_block_per_row_kernelILj1024ELj32ELj2048ELj137ELj64ElidEEvT5_PKS1_S3_NS_24const_host_device_scalarIT6_EEPKT4_S3_PKS5_S9_S3_SB_S6_S9_S3_SB_S9_S3_PS5_21rocsparse_index_base_SD_SD_SD_bbb
		.amdhsa_group_segment_fixed_size 0
		.amdhsa_private_segment_fixed_size 0
		.amdhsa_kernarg_size 156
		.amdhsa_user_sgpr_count 15
		.amdhsa_user_sgpr_dispatch_ptr 0
		.amdhsa_user_sgpr_queue_ptr 0
		.amdhsa_user_sgpr_kernarg_segment_ptr 1
		.amdhsa_user_sgpr_dispatch_id 0
		.amdhsa_user_sgpr_private_segment_size 0
		.amdhsa_wavefront_size32 1
		.amdhsa_uses_dynamic_stack 0
		.amdhsa_enable_private_segment 0
		.amdhsa_system_sgpr_workgroup_id_x 1
		.amdhsa_system_sgpr_workgroup_id_y 0
		.amdhsa_system_sgpr_workgroup_id_z 0
		.amdhsa_system_sgpr_workgroup_info 0
		.amdhsa_system_vgpr_workitem_id 0
		.amdhsa_next_free_vgpr 27
		.amdhsa_next_free_sgpr 42
		.amdhsa_reserve_vcc 1
		.amdhsa_float_round_mode_32 0
		.amdhsa_float_round_mode_16_64 0
		.amdhsa_float_denorm_mode_32 3
		.amdhsa_float_denorm_mode_16_64 3
		.amdhsa_dx10_clamp 1
		.amdhsa_ieee_mode 1
		.amdhsa_fp16_overflow 0
		.amdhsa_workgroup_processor_mode 1
		.amdhsa_memory_ordered 1
		.amdhsa_forward_progress 0
		.amdhsa_shared_vgpr_count 0
		.amdhsa_exception_fp_ieee_invalid_op 0
		.amdhsa_exception_fp_denorm_src 0
		.amdhsa_exception_fp_ieee_div_zero 0
		.amdhsa_exception_fp_ieee_overflow 0
		.amdhsa_exception_fp_ieee_underflow 0
		.amdhsa_exception_fp_ieee_inexact 0
		.amdhsa_exception_int_div_zero 0
	.end_amdhsa_kernel
	.section	.text._ZN9rocsparseL41csrgemm_numeric_fill_block_per_row_kernelILj1024ELj32ELj2048ELj137ELj64ElidEEvT5_PKS1_S3_NS_24const_host_device_scalarIT6_EEPKT4_S3_PKS5_S9_S3_SB_S6_S9_S3_SB_S9_S3_PS5_21rocsparse_index_base_SD_SD_SD_bbb,"axG",@progbits,_ZN9rocsparseL41csrgemm_numeric_fill_block_per_row_kernelILj1024ELj32ELj2048ELj137ELj64ElidEEvT5_PKS1_S3_NS_24const_host_device_scalarIT6_EEPKT4_S3_PKS5_S9_S3_SB_S6_S9_S3_SB_S9_S3_PS5_21rocsparse_index_base_SD_SD_SD_bbb,comdat
.Lfunc_end189:
	.size	_ZN9rocsparseL41csrgemm_numeric_fill_block_per_row_kernelILj1024ELj32ELj2048ELj137ELj64ElidEEvT5_PKS1_S3_NS_24const_host_device_scalarIT6_EEPKT4_S3_PKS5_S9_S3_SB_S6_S9_S3_SB_S9_S3_PS5_21rocsparse_index_base_SD_SD_SD_bbb, .Lfunc_end189-_ZN9rocsparseL41csrgemm_numeric_fill_block_per_row_kernelILj1024ELj32ELj2048ELj137ELj64ElidEEvT5_PKS1_S3_NS_24const_host_device_scalarIT6_EEPKT4_S3_PKS5_S9_S3_SB_S6_S9_S3_SB_S9_S3_PS5_21rocsparse_index_base_SD_SD_SD_bbb
                                        ; -- End function
	.section	.AMDGPU.csdata,"",@progbits
; Kernel info:
; codeLenInByte = 3744
; NumSgprs: 44
; NumVgprs: 27
; ScratchSize: 0
; MemoryBound: 0
; FloatMode: 240
; IeeeMode: 1
; LDSByteSize: 0 bytes/workgroup (compile time only)
; SGPRBlocks: 5
; VGPRBlocks: 3
; NumSGPRsForWavesPerEU: 44
; NumVGPRsForWavesPerEU: 27
; Occupancy: 16
; WaveLimiterHint : 1
; COMPUTE_PGM_RSRC2:SCRATCH_EN: 0
; COMPUTE_PGM_RSRC2:USER_SGPR: 15
; COMPUTE_PGM_RSRC2:TRAP_HANDLER: 0
; COMPUTE_PGM_RSRC2:TGID_X_EN: 1
; COMPUTE_PGM_RSRC2:TGID_Y_EN: 0
; COMPUTE_PGM_RSRC2:TGID_Z_EN: 0
; COMPUTE_PGM_RSRC2:TIDIG_COMP_CNT: 0
	.section	.text._ZN9rocsparseL41csrgemm_numeric_fill_block_per_row_kernelILj1024ELj64ELj4096ELj137ELj32ElidEEvT5_PKS1_S3_NS_24const_host_device_scalarIT6_EEPKT4_S3_PKS5_S9_S3_SB_S6_S9_S3_SB_S9_S3_PS5_21rocsparse_index_base_SD_SD_SD_bbb,"axG",@progbits,_ZN9rocsparseL41csrgemm_numeric_fill_block_per_row_kernelILj1024ELj64ELj4096ELj137ELj32ElidEEvT5_PKS1_S3_NS_24const_host_device_scalarIT6_EEPKT4_S3_PKS5_S9_S3_SB_S6_S9_S3_SB_S9_S3_PS5_21rocsparse_index_base_SD_SD_SD_bbb,comdat
	.globl	_ZN9rocsparseL41csrgemm_numeric_fill_block_per_row_kernelILj1024ELj64ELj4096ELj137ELj32ElidEEvT5_PKS1_S3_NS_24const_host_device_scalarIT6_EEPKT4_S3_PKS5_S9_S3_SB_S6_S9_S3_SB_S9_S3_PS5_21rocsparse_index_base_SD_SD_SD_bbb ; -- Begin function _ZN9rocsparseL41csrgemm_numeric_fill_block_per_row_kernelILj1024ELj64ELj4096ELj137ELj32ElidEEvT5_PKS1_S3_NS_24const_host_device_scalarIT6_EEPKT4_S3_PKS5_S9_S3_SB_S6_S9_S3_SB_S9_S3_PS5_21rocsparse_index_base_SD_SD_SD_bbb
	.p2align	8
	.type	_ZN9rocsparseL41csrgemm_numeric_fill_block_per_row_kernelILj1024ELj64ELj4096ELj137ELj32ElidEEvT5_PKS1_S3_NS_24const_host_device_scalarIT6_EEPKT4_S3_PKS5_S9_S3_SB_S6_S9_S3_SB_S9_S3_PS5_21rocsparse_index_base_SD_SD_SD_bbb,@function
_ZN9rocsparseL41csrgemm_numeric_fill_block_per_row_kernelILj1024ELj64ELj4096ELj137ELj32ElidEEvT5_PKS1_S3_NS_24const_host_device_scalarIT6_EEPKT4_S3_PKS5_S9_S3_SB_S6_S9_S3_SB_S9_S3_PS5_21rocsparse_index_base_SD_SD_SD_bbb: ; @_ZN9rocsparseL41csrgemm_numeric_fill_block_per_row_kernelILj1024ELj64ELj4096ELj137ELj32ElidEEvT5_PKS1_S3_NS_24const_host_device_scalarIT6_EEPKT4_S3_PKS5_S9_S3_SB_S6_S9_S3_SB_S9_S3_PS5_21rocsparse_index_base_SD_SD_SD_bbb
; %bb.0:
	s_clause 0x3
	s_load_b32 s12, s[0:1], 0x98
	s_load_b64 s[4:5], s[0:1], 0x18
	s_load_b128 s[44:47], s[0:1], 0x88
	s_load_b64 s[2:3], s[0:1], 0x50
	s_waitcnt lgkmcnt(0)
	s_and_b32 s6, 1, s12
	s_bitcmp1_b32 s12, 16
	s_cselect_b32 s14, -1, 0
	s_cmp_eq_u32 s6, 1
	s_cselect_b32 s13, -1, 0
	s_delay_alu instid0(SALU_CYCLE_1)
	s_and_b32 s6, s13, exec_lo
	s_cselect_b32 s7, s5, 0
	s_cselect_b32 s6, s4, 0
	s_xor_b32 s8, s13, -1
	v_dual_mov_b32 v3, s6 :: v_dual_mov_b32 v4, s7
	s_or_b32 s8, s8, s14
	s_delay_alu instid0(SALU_CYCLE_1)
	s_and_b32 vcc_lo, exec_lo, s8
	s_cbranch_vccnz .LBB190_2
; %bb.1:
	v_dual_mov_b32 v1, s4 :: v_dual_mov_b32 v2, s5
	flat_load_b64 v[3:4], v[1:2]
.LBB190_2:
	s_clause 0x4
	s_load_b64 s[34:35], s[0:1], 0x80
	s_load_b256 s[36:43], s[0:1], 0x58
	s_load_b128 s[16:19], s[0:1], 0x40
	s_load_b128 s[20:23], s[0:1], 0x8
	s_load_b256 s[4:11], s[0:1], 0x20
	s_bitcmp1_b32 s12, 8
	s_cselect_b32 s12, -1, 0
	s_delay_alu instid0(SALU_CYCLE_1)
	s_and_b32 s24, s12, exec_lo
	s_cselect_b32 s25, s3, 0
	s_cselect_b32 s24, s2, 0
	s_xor_b32 s26, s12, -1
	v_dual_mov_b32 v1, s24 :: v_dual_mov_b32 v2, s25
	s_or_b32 s14, s26, s14
	s_delay_alu instid0(SALU_CYCLE_1)
	s_and_b32 vcc_lo, exec_lo, s14
	s_cbranch_vccnz .LBB190_4
; %bb.3:
	v_dual_mov_b32 v1, s2 :: v_dual_mov_b32 v2, s3
	flat_load_b64 v[1:2], v[1:2]
.LBB190_4:
	s_load_b32 s33, s[0:1], 0x0
	v_dual_mov_b32 v5, 0 :: v_dual_lshlrev_b32 v6, 3, v0
	v_lshl_add_u32 v17, v0, 2, 0
	v_or_b32_e32 v18, 0xfffffc00, v0
	s_mov_b32 s0, 0
	s_delay_alu instid0(VALU_DEP_3) | instskip(SKIP_1) | instid1(VALU_DEP_3)
	v_add3_u32 v19, v6, 0, 0x4000
	v_mov_b32_e32 v6, v5
	v_dual_mov_b32 v7, v17 :: v_dual_mov_b32 v8, v18
	s_waitcnt lgkmcnt(0)
	s_delay_alu instid0(VALU_DEP_3)
	v_dual_mov_b32 v10, v19 :: v_dual_mov_b32 v9, s33
.LBB190_5:                              ; =>This Inner Loop Header: Depth=1
	s_delay_alu instid0(VALU_DEP_2)
	v_add_nc_u32_e32 v8, 0x400, v8
	ds_store_b32 v7, v9
	ds_store_b64 v10, v[5:6]
	v_add_nc_u32_e32 v10, 0x2000, v10
	v_add_nc_u32_e32 v7, 0x1000, v7
	v_cmp_lt_u32_e32 vcc_lo, 0xbff, v8
	s_or_b32 s0, vcc_lo, s0
	s_delay_alu instid0(SALU_CYCLE_1)
	s_and_not1_b32 exec_lo, exec_lo, s0
	s_cbranch_execnz .LBB190_5
; %bb.6:
	s_or_b32 exec_lo, exec_lo, s0
	s_waitcnt vmcnt(0) lgkmcnt(0)
	s_barrier
	buffer_gl0_inv
	s_load_b32 s0, s[20:21], 0x0
	s_mov_b32 s1, 0
	s_waitcnt lgkmcnt(0)
	s_add_i32 s0, s0, s15
	s_delay_alu instid0(SALU_CYCLE_1) | instskip(NEXT) | instid1(SALU_CYCLE_1)
	s_lshl_b64 s[0:1], s[0:1], 2
	s_add_u32 s0, s22, s0
	s_addc_u32 s1, s23, s1
	s_and_b32 vcc_lo, exec_lo, s13
	s_load_b32 s48, s[0:1], 0x0
	s_cbranch_vccz .LBB190_30
; %bb.7:
	s_waitcnt lgkmcnt(0)
	s_ashr_i32 s49, s48, 31
	v_lshrrev_b32_e32 v5, 6, v0
	s_lshl_b64 s[0:1], s[48:49], 3
	s_delay_alu instid0(SALU_CYCLE_1) | instskip(SKIP_1) | instid1(VALU_DEP_1)
	s_add_u32 s0, s4, s0
	s_addc_u32 s1, s5, s1
	v_sub_co_u32 v5, s4, v5, s44
	s_load_b128 s[0:3], s[0:1], 0x0
	v_sub_co_ci_u32_e64 v6, null, 0, 0, s4
	s_waitcnt lgkmcnt(0)
	s_delay_alu instid0(VALU_DEP_2) | instskip(NEXT) | instid1(VALU_DEP_2)
	v_add_co_u32 v5, vcc_lo, s0, v5
	v_add_co_ci_u32_e32 v6, vcc_lo, s1, v6, vcc_lo
	s_sub_u32 s0, s2, s44
	s_subb_u32 s1, s3, 0
	s_mov_b32 s2, exec_lo
	s_delay_alu instid0(VALU_DEP_1)
	v_cmpx_gt_i64_e64 s[0:1], v[5:6]
	s_cbranch_execz .LBB190_29
; %bb.8:
	v_and_b32_e32 v7, 63, v0
	s_mov_b32 s4, s45
	s_delay_alu instid0(VALU_DEP_1) | instskip(NEXT) | instid1(VALU_DEP_1)
	v_sub_co_u32 v20, s3, v7, s45
	v_sub_co_ci_u32_e64 v21, null, 0, 0, s3
	s_mov_b32 s3, 0
	s_branch .LBB190_10
.LBB190_9:                              ;   in Loop: Header=BB190_10 Depth=1
	s_or_b32 exec_lo, exec_lo, s5
	v_add_co_u32 v5, vcc_lo, v5, 16
	v_add_co_ci_u32_e32 v6, vcc_lo, 0, v6, vcc_lo
	s_delay_alu instid0(VALU_DEP_1) | instskip(SKIP_1) | instid1(SALU_CYCLE_1)
	v_cmp_le_i64_e32 vcc_lo, s[0:1], v[5:6]
	s_or_b32 s3, vcc_lo, s3
	s_and_not1_b32 exec_lo, exec_lo, s3
	s_cbranch_execz .LBB190_29
.LBB190_10:                             ; =>This Loop Header: Depth=1
                                        ;     Child Loop BB190_13 Depth 2
                                        ;       Child Loop BB190_15 Depth 3
                                        ;         Child Loop BB190_21 Depth 4
                                        ;         Child Loop BB190_27 Depth 4
	v_lshlrev_b64 v[7:8], 2, v[5:6]
	s_mov_b32 s5, exec_lo
	s_delay_alu instid0(VALU_DEP_1) | instskip(NEXT) | instid1(VALU_DEP_2)
	v_add_co_u32 v7, vcc_lo, s6, v7
	v_add_co_ci_u32_e32 v8, vcc_lo, s7, v8, vcc_lo
	global_load_b32 v7, v[7:8], off
	s_waitcnt vmcnt(0)
	v_subrev_nc_u32_e32 v7, s44, v7
	s_delay_alu instid0(VALU_DEP_1) | instskip(NEXT) | instid1(VALU_DEP_1)
	v_ashrrev_i32_e32 v8, 31, v7
	v_lshlrev_b64 v[7:8], 3, v[7:8]
	s_delay_alu instid0(VALU_DEP_1) | instskip(NEXT) | instid1(VALU_DEP_2)
	v_add_co_u32 v7, vcc_lo, s10, v7
	v_add_co_ci_u32_e32 v8, vcc_lo, s11, v8, vcc_lo
	global_load_b128 v[9:12], v[7:8], off
	s_waitcnt vmcnt(0)
	v_sub_co_u32 v7, vcc_lo, v11, s4
	v_subrev_co_ci_u32_e32 v8, vcc_lo, 0, v12, vcc_lo
	v_add_co_u32 v9, vcc_lo, v9, v20
	v_add_co_ci_u32_e32 v10, vcc_lo, v10, v21, vcc_lo
	s_delay_alu instid0(VALU_DEP_1)
	v_cmpx_lt_i64_e64 v[9:10], v[7:8]
	s_cbranch_execz .LBB190_9
; %bb.11:                               ;   in Loop: Header=BB190_10 Depth=1
	v_lshlrev_b64 v[11:12], 3, v[5:6]
	s_mov_b32 s13, 0
	s_delay_alu instid0(VALU_DEP_1) | instskip(NEXT) | instid1(VALU_DEP_2)
	v_add_co_u32 v11, vcc_lo, s8, v11
	v_add_co_ci_u32_e32 v12, vcc_lo, s9, v12, vcc_lo
	global_load_b64 v[11:12], v[11:12], off
	s_waitcnt vmcnt(0)
	v_mul_f64 v[11:12], v[3:4], v[11:12]
	s_branch .LBB190_13
.LBB190_12:                             ;   in Loop: Header=BB190_13 Depth=2
	s_or_b32 exec_lo, exec_lo, s14
	v_add_co_u32 v9, vcc_lo, v9, 64
	v_add_co_ci_u32_e32 v10, vcc_lo, 0, v10, vcc_lo
	s_delay_alu instid0(VALU_DEP_1) | instskip(SKIP_1) | instid1(SALU_CYCLE_1)
	v_cmp_ge_i64_e32 vcc_lo, v[9:10], v[7:8]
	s_or_b32 s13, vcc_lo, s13
	s_and_not1_b32 exec_lo, exec_lo, s13
	s_cbranch_execz .LBB190_9
.LBB190_13:                             ;   Parent Loop BB190_10 Depth=1
                                        ; =>  This Loop Header: Depth=2
                                        ;       Child Loop BB190_15 Depth 3
                                        ;         Child Loop BB190_21 Depth 4
                                        ;         Child Loop BB190_27 Depth 4
	v_lshlrev_b64 v[13:14], 3, v[9:10]
	v_lshlrev_b64 v[15:16], 2, v[9:10]
	s_mov_b32 s14, 0
	s_delay_alu instid0(VALU_DEP_2) | instskip(NEXT) | instid1(VALU_DEP_3)
	v_add_co_u32 v13, vcc_lo, s18, v13
	v_add_co_ci_u32_e32 v14, vcc_lo, s19, v14, vcc_lo
	s_delay_alu instid0(VALU_DEP_3) | instskip(NEXT) | instid1(VALU_DEP_4)
	v_add_co_u32 v15, vcc_lo, s16, v15
	v_add_co_ci_u32_e32 v16, vcc_lo, s17, v16, vcc_lo
	global_load_b64 v[13:14], v[13:14], off
	global_load_b32 v15, v[15:16], off
	s_waitcnt vmcnt(1)
	v_mul_f64 v[13:14], v[11:12], v[13:14]
	s_waitcnt vmcnt(0)
	v_subrev_nc_u32_e32 v22, s45, v15
	s_delay_alu instid0(VALU_DEP_1) | instskip(NEXT) | instid1(VALU_DEP_1)
	v_mul_lo_u32 v15, 0x89, v22
	v_and_b32_e32 v23, 0xfff, v15
	s_branch .LBB190_15
.LBB190_14:                             ;   in Loop: Header=BB190_15 Depth=3
	s_or_b32 exec_lo, exec_lo, s15
	s_xor_b32 s15, s20, -1
	s_delay_alu instid0(SALU_CYCLE_1) | instskip(NEXT) | instid1(SALU_CYCLE_1)
	s_and_b32 s15, exec_lo, s15
	s_or_b32 s14, s15, s14
	s_delay_alu instid0(SALU_CYCLE_1)
	s_and_not1_b32 exec_lo, exec_lo, s14
	s_cbranch_execz .LBB190_12
.LBB190_15:                             ;   Parent Loop BB190_10 Depth=1
                                        ;     Parent Loop BB190_13 Depth=2
                                        ; =>    This Loop Header: Depth=3
                                        ;         Child Loop BB190_21 Depth 4
                                        ;         Child Loop BB190_27 Depth 4
	s_delay_alu instid0(VALU_DEP_1)
	v_lshl_add_u32 v15, v23, 2, 0
	s_mov_b32 s15, exec_lo
                                        ; implicit-def: $sgpr20
	ds_load_b32 v16, v15
	s_waitcnt lgkmcnt(0)
	v_cmpx_ne_u32_e64 v16, v22
	s_xor_b32 s15, exec_lo, s15
	s_cbranch_execz .LBB190_25
; %bb.16:                               ;   in Loop: Header=BB190_15 Depth=3
	s_mov_b32 s21, exec_lo
                                        ; implicit-def: $sgpr20
	v_cmpx_ne_u32_e64 s33, v16
	s_xor_b32 s21, exec_lo, s21
; %bb.17:                               ;   in Loop: Header=BB190_15 Depth=3
	v_add_nc_u32_e32 v15, 1, v23
	s_mov_b32 s20, -1
	s_delay_alu instid0(VALU_DEP_1)
	v_and_b32_e32 v23, 0xfff, v15
                                        ; implicit-def: $vgpr15
; %bb.18:                               ;   in Loop: Header=BB190_15 Depth=3
	s_and_not1_saveexec_b32 s21, s21
	s_cbranch_execz .LBB190_24
; %bb.19:                               ;   in Loop: Header=BB190_15 Depth=3
	v_mov_b32_e32 v16, s33
	s_mov_b32 s23, -1
	s_mov_b32 s22, exec_lo
	ds_cmpstore_rtn_b32 v16, v15, v22, v16
	s_waitcnt lgkmcnt(0)
	v_cmpx_eq_u32_e64 s33, v16
	s_cbranch_execz .LBB190_23
; %bb.20:                               ;   in Loop: Header=BB190_15 Depth=3
	v_lshlrev_b32_e32 v16, 2, v23
	s_mov_b32 s23, 0
	s_delay_alu instid0(VALU_DEP_1)
	v_add_nc_u32_e32 v24, v15, v16
	ds_load_b64 v[15:16], v24 offset:16384
.LBB190_21:                             ;   Parent Loop BB190_10 Depth=1
                                        ;     Parent Loop BB190_13 Depth=2
                                        ;       Parent Loop BB190_15 Depth=3
                                        ; =>      This Inner Loop Header: Depth=4
	s_waitcnt lgkmcnt(0)
	v_add_f64 v[25:26], v[15:16], v[13:14]
	ds_cmpstore_rtn_b64 v[25:26], v24, v[25:26], v[15:16] offset:16384
	s_waitcnt lgkmcnt(0)
	v_cmp_eq_u64_e32 vcc_lo, v[25:26], v[15:16]
	v_dual_mov_b32 v15, v25 :: v_dual_mov_b32 v16, v26
	s_or_b32 s23, vcc_lo, s23
	s_delay_alu instid0(SALU_CYCLE_1)
	s_and_not1_b32 exec_lo, exec_lo, s23
	s_cbranch_execnz .LBB190_21
; %bb.22:                               ;   in Loop: Header=BB190_15 Depth=3
	s_or_b32 exec_lo, exec_lo, s23
	s_delay_alu instid0(SALU_CYCLE_1)
	s_xor_b32 s23, exec_lo, -1
.LBB190_23:                             ;   in Loop: Header=BB190_15 Depth=3
	s_or_b32 exec_lo, exec_lo, s22
	s_delay_alu instid0(SALU_CYCLE_1) | instskip(SKIP_1) | instid1(SALU_CYCLE_1)
	s_and_not1_b32 s20, s20, exec_lo
	s_and_b32 s22, s23, exec_lo
	s_or_b32 s20, s20, s22
.LBB190_24:                             ;   in Loop: Header=BB190_15 Depth=3
	s_or_b32 exec_lo, exec_lo, s21
	s_delay_alu instid0(SALU_CYCLE_1)
	s_and_b32 s20, s20, exec_lo
                                        ; implicit-def: $vgpr15
.LBB190_25:                             ;   in Loop: Header=BB190_15 Depth=3
	s_and_not1_saveexec_b32 s15, s15
	s_cbranch_execz .LBB190_14
; %bb.26:                               ;   in Loop: Header=BB190_15 Depth=3
	v_lshlrev_b32_e32 v16, 2, v23
	s_mov_b32 s21, 0
	s_delay_alu instid0(VALU_DEP_1)
	v_add_nc_u32_e32 v24, v15, v16
	ds_load_b64 v[15:16], v24 offset:16384
.LBB190_27:                             ;   Parent Loop BB190_10 Depth=1
                                        ;     Parent Loop BB190_13 Depth=2
                                        ;       Parent Loop BB190_15 Depth=3
                                        ; =>      This Inner Loop Header: Depth=4
	s_waitcnt lgkmcnt(0)
	v_add_f64 v[25:26], v[15:16], v[13:14]
	ds_cmpstore_rtn_b64 v[25:26], v24, v[25:26], v[15:16] offset:16384
	s_waitcnt lgkmcnt(0)
	v_cmp_eq_u64_e32 vcc_lo, v[25:26], v[15:16]
	v_dual_mov_b32 v15, v25 :: v_dual_mov_b32 v16, v26
	s_or_b32 s21, vcc_lo, s21
	s_delay_alu instid0(SALU_CYCLE_1)
	s_and_not1_b32 exec_lo, exec_lo, s21
	s_cbranch_execnz .LBB190_27
; %bb.28:                               ;   in Loop: Header=BB190_15 Depth=3
	s_or_b32 exec_lo, exec_lo, s21
	s_delay_alu instid0(SALU_CYCLE_1)
	s_and_not1_b32 s20, s20, exec_lo
	s_branch .LBB190_14
.LBB190_29:
	s_or_b32 exec_lo, exec_lo, s2
.LBB190_30:
	s_delay_alu instid0(SALU_CYCLE_1)
	s_and_not1_b32 vcc_lo, exec_lo, s12
	s_cbranch_vccnz .LBB190_33
; %bb.31:
	s_waitcnt lgkmcnt(0)
	s_ashr_i32 s49, s48, 31
	v_sub_co_u32 v3, s4, v0, s47
	s_lshl_b64 s[0:1], s[48:49], 3
	v_sub_co_ci_u32_e64 v4, null, 0, 0, s4
	s_add_u32 s0, s36, s0
	s_addc_u32 s1, s37, s1
	s_load_b128 s[0:3], s[0:1], 0x0
	s_waitcnt lgkmcnt(0)
	v_add_co_u32 v3, vcc_lo, s0, v3
	v_add_co_ci_u32_e32 v4, vcc_lo, s1, v4, vcc_lo
	s_sub_u32 s0, s2, s47
	s_subb_u32 s1, s3, 0
	s_mov_b32 s3, 0
	s_mov_b32 s2, exec_lo
	v_cmpx_gt_i64_e64 s[0:1], v[3:4]
	s_cbranch_execnz .LBB190_102
.LBB190_32:
	s_or_b32 exec_lo, exec_lo, s2
.LBB190_33:
	v_mbcnt_lo_u32_b32 v1, -1, 0
	v_lshrrev_b32_e32 v2, 3, v0
	v_cmp_eq_u32_e32 vcc_lo, 0x3ff, v0
	v_cmp_lt_u32_e64 s0, 31, v0
	v_cmp_lt_u32_e64 s1, 63, v0
	v_xor_b32_e32 v1, 63, v1
	v_dual_mov_b32 v6, 0 :: v_dual_and_b32 v3, 0x7c, v2
	v_cmp_lt_u32_e64 s2, 0x5f, v0
	v_cmp_lt_u32_e64 s3, 0x7f, v0
	s_delay_alu instid0(VALU_DEP_4) | instskip(NEXT) | instid1(VALU_DEP_4)
	v_lshrrev_b64 v[1:2], v1, -1
	v_dual_mov_b32 v5, 0 :: v_dual_add_nc_u32 v4, 0, v3
	v_cmp_lt_u32_e64 s4, 0x9f, v0
	v_cmp_lt_u32_e64 s5, 0xbf, v0
	;; [unrolled: 1-line block ×27, first 2 shown]
	s_mov_b32 s36, 0
	s_waitcnt lgkmcnt(0)
	s_barrier
	buffer_gl0_inv
	s_branch .LBB190_35
.LBB190_34:                             ;   in Loop: Header=BB190_35 Depth=1
	s_or_b32 exec_lo, exec_lo, s31
	s_waitcnt lgkmcnt(0)
	s_barrier
	buffer_gl0_inv
	ds_load_b32 v2, v5 offset:49276
	v_add_nc_u32_e32 v18, 0x400, v18
	v_add_nc_u32_e32 v19, 0x2000, v19
	;; [unrolled: 1-line block ×3, first 2 shown]
	s_delay_alu instid0(VALU_DEP_3) | instskip(NEXT) | instid1(VALU_DEP_1)
	v_cmp_lt_u32_e64 s31, 0xbff, v18
	s_or_b32 s36, s31, s36
	s_waitcnt lgkmcnt(0)
	v_add_nc_u32_e32 v6, v2, v6
	s_and_not1_b32 exec_lo, exec_lo, s36
	s_cbranch_execz .LBB190_118
.LBB190_35:                             ; =>This Inner Loop Header: Depth=1
	ds_load_b32 v7, v17
	ds_load_b64 v[2:3], v19
	s_waitcnt lgkmcnt(0)
	s_barrier
	buffer_gl0_inv
	v_cmp_gt_i32_e64 s31, s33, v7
	s_delay_alu instid0(VALU_DEP_1) | instskip(NEXT) | instid1(SALU_CYCLE_1)
	s_bcnt1_i32_b32 s37, s31
	v_dual_mov_b32 v9, s37 :: v_dual_and_b32 v8, s31, v1
	s_delay_alu instid0(VALU_DEP_1)
	v_bcnt_u32_b32 v8, v8, 0
	ds_store_b32 v4, v9 offset:49152
	s_waitcnt lgkmcnt(0)
	s_barrier
	buffer_gl0_inv
	s_and_saveexec_b32 s37, s0
	s_cbranch_execnz .LBB190_68
; %bb.36:                               ;   in Loop: Header=BB190_35 Depth=1
	s_or_b32 exec_lo, exec_lo, s37
	s_and_saveexec_b32 s37, s1
	s_cbranch_execnz .LBB190_69
.LBB190_37:                             ;   in Loop: Header=BB190_35 Depth=1
	s_or_b32 exec_lo, exec_lo, s37
	s_and_saveexec_b32 s37, s2
	s_cbranch_execnz .LBB190_70
.LBB190_38:                             ;   in Loop: Header=BB190_35 Depth=1
	s_or_b32 exec_lo, exec_lo, s37
	s_and_saveexec_b32 s37, s3
	s_cbranch_execnz .LBB190_71
.LBB190_39:                             ;   in Loop: Header=BB190_35 Depth=1
	s_or_b32 exec_lo, exec_lo, s37
	s_and_saveexec_b32 s37, s4
	s_cbranch_execnz .LBB190_72
.LBB190_40:                             ;   in Loop: Header=BB190_35 Depth=1
	s_or_b32 exec_lo, exec_lo, s37
	s_and_saveexec_b32 s37, s5
	s_cbranch_execnz .LBB190_73
.LBB190_41:                             ;   in Loop: Header=BB190_35 Depth=1
	s_or_b32 exec_lo, exec_lo, s37
	s_and_saveexec_b32 s37, s6
	s_cbranch_execnz .LBB190_74
.LBB190_42:                             ;   in Loop: Header=BB190_35 Depth=1
	s_or_b32 exec_lo, exec_lo, s37
	s_and_saveexec_b32 s37, s7
	s_cbranch_execnz .LBB190_75
.LBB190_43:                             ;   in Loop: Header=BB190_35 Depth=1
	s_or_b32 exec_lo, exec_lo, s37
	s_and_saveexec_b32 s37, s8
	s_cbranch_execnz .LBB190_76
.LBB190_44:                             ;   in Loop: Header=BB190_35 Depth=1
	s_or_b32 exec_lo, exec_lo, s37
	s_and_saveexec_b32 s37, s9
	s_cbranch_execnz .LBB190_77
.LBB190_45:                             ;   in Loop: Header=BB190_35 Depth=1
	s_or_b32 exec_lo, exec_lo, s37
	s_and_saveexec_b32 s37, s10
	s_cbranch_execnz .LBB190_78
.LBB190_46:                             ;   in Loop: Header=BB190_35 Depth=1
	s_or_b32 exec_lo, exec_lo, s37
	s_and_saveexec_b32 s37, s11
	s_cbranch_execnz .LBB190_79
.LBB190_47:                             ;   in Loop: Header=BB190_35 Depth=1
	s_or_b32 exec_lo, exec_lo, s37
	s_and_saveexec_b32 s37, s12
	s_cbranch_execnz .LBB190_80
.LBB190_48:                             ;   in Loop: Header=BB190_35 Depth=1
	s_or_b32 exec_lo, exec_lo, s37
	s_and_saveexec_b32 s37, s13
	s_cbranch_execnz .LBB190_81
.LBB190_49:                             ;   in Loop: Header=BB190_35 Depth=1
	s_or_b32 exec_lo, exec_lo, s37
	s_and_saveexec_b32 s37, s14
	s_cbranch_execnz .LBB190_82
.LBB190_50:                             ;   in Loop: Header=BB190_35 Depth=1
	s_or_b32 exec_lo, exec_lo, s37
	s_and_saveexec_b32 s37, s15
	s_cbranch_execnz .LBB190_83
.LBB190_51:                             ;   in Loop: Header=BB190_35 Depth=1
	s_or_b32 exec_lo, exec_lo, s37
	s_and_saveexec_b32 s37, s16
	s_cbranch_execnz .LBB190_84
.LBB190_52:                             ;   in Loop: Header=BB190_35 Depth=1
	s_or_b32 exec_lo, exec_lo, s37
	s_and_saveexec_b32 s37, s17
	s_cbranch_execnz .LBB190_85
.LBB190_53:                             ;   in Loop: Header=BB190_35 Depth=1
	s_or_b32 exec_lo, exec_lo, s37
	s_and_saveexec_b32 s37, s18
	s_cbranch_execnz .LBB190_86
.LBB190_54:                             ;   in Loop: Header=BB190_35 Depth=1
	s_or_b32 exec_lo, exec_lo, s37
	s_and_saveexec_b32 s37, s19
	s_cbranch_execnz .LBB190_87
.LBB190_55:                             ;   in Loop: Header=BB190_35 Depth=1
	s_or_b32 exec_lo, exec_lo, s37
	s_and_saveexec_b32 s37, s20
	s_cbranch_execnz .LBB190_88
.LBB190_56:                             ;   in Loop: Header=BB190_35 Depth=1
	s_or_b32 exec_lo, exec_lo, s37
	s_and_saveexec_b32 s37, s21
	s_cbranch_execnz .LBB190_89
.LBB190_57:                             ;   in Loop: Header=BB190_35 Depth=1
	s_or_b32 exec_lo, exec_lo, s37
	s_and_saveexec_b32 s37, s22
	s_cbranch_execnz .LBB190_90
.LBB190_58:                             ;   in Loop: Header=BB190_35 Depth=1
	s_or_b32 exec_lo, exec_lo, s37
	s_and_saveexec_b32 s37, s23
	s_cbranch_execnz .LBB190_91
.LBB190_59:                             ;   in Loop: Header=BB190_35 Depth=1
	s_or_b32 exec_lo, exec_lo, s37
	s_and_saveexec_b32 s37, s24
	s_cbranch_execnz .LBB190_92
.LBB190_60:                             ;   in Loop: Header=BB190_35 Depth=1
	s_or_b32 exec_lo, exec_lo, s37
	s_and_saveexec_b32 s37, s25
	s_cbranch_execnz .LBB190_93
.LBB190_61:                             ;   in Loop: Header=BB190_35 Depth=1
	s_or_b32 exec_lo, exec_lo, s37
	s_and_saveexec_b32 s37, s26
	s_cbranch_execnz .LBB190_94
.LBB190_62:                             ;   in Loop: Header=BB190_35 Depth=1
	s_or_b32 exec_lo, exec_lo, s37
	s_and_saveexec_b32 s37, s27
	s_cbranch_execnz .LBB190_95
.LBB190_63:                             ;   in Loop: Header=BB190_35 Depth=1
	s_or_b32 exec_lo, exec_lo, s37
	s_and_saveexec_b32 s37, s28
	s_cbranch_execnz .LBB190_96
.LBB190_64:                             ;   in Loop: Header=BB190_35 Depth=1
	s_or_b32 exec_lo, exec_lo, s37
	s_and_saveexec_b32 s37, s29
	s_cbranch_execnz .LBB190_97
.LBB190_65:                             ;   in Loop: Header=BB190_35 Depth=1
	s_or_b32 exec_lo, exec_lo, s37
	s_and_saveexec_b32 s37, s30
	s_cbranch_execnz .LBB190_98
.LBB190_66:                             ;   in Loop: Header=BB190_35 Depth=1
	s_or_b32 exec_lo, exec_lo, s37
	s_and_saveexec_b32 s37, s31
	s_cbranch_execnz .LBB190_99
.LBB190_67:                             ;   in Loop: Header=BB190_35 Depth=1
	s_or_b32 exec_lo, exec_lo, s37
	s_and_saveexec_b32 s31, vcc_lo
	s_cbranch_execz .LBB190_34
	s_branch .LBB190_100
.LBB190_68:                             ;   in Loop: Header=BB190_35 Depth=1
	ds_load_b32 v9, v5 offset:49152
	s_waitcnt lgkmcnt(0)
	v_add_nc_u32_e32 v8, v9, v8
	s_or_b32 exec_lo, exec_lo, s37
	s_and_saveexec_b32 s37, s1
	s_cbranch_execz .LBB190_37
.LBB190_69:                             ;   in Loop: Header=BB190_35 Depth=1
	ds_load_b32 v9, v5 offset:49156
	s_waitcnt lgkmcnt(0)
	v_add_nc_u32_e32 v8, v9, v8
	s_or_b32 exec_lo, exec_lo, s37
	s_and_saveexec_b32 s37, s2
	s_cbranch_execz .LBB190_38
.LBB190_70:                             ;   in Loop: Header=BB190_35 Depth=1
	ds_load_b32 v9, v5 offset:49160
	s_waitcnt lgkmcnt(0)
	v_add_nc_u32_e32 v8, v9, v8
	s_or_b32 exec_lo, exec_lo, s37
	s_and_saveexec_b32 s37, s3
	s_cbranch_execz .LBB190_39
.LBB190_71:                             ;   in Loop: Header=BB190_35 Depth=1
	ds_load_b32 v9, v5 offset:49164
	s_waitcnt lgkmcnt(0)
	v_add_nc_u32_e32 v8, v9, v8
	s_or_b32 exec_lo, exec_lo, s37
	s_and_saveexec_b32 s37, s4
	s_cbranch_execz .LBB190_40
.LBB190_72:                             ;   in Loop: Header=BB190_35 Depth=1
	ds_load_b32 v9, v5 offset:49168
	s_waitcnt lgkmcnt(0)
	v_add_nc_u32_e32 v8, v9, v8
	s_or_b32 exec_lo, exec_lo, s37
	s_and_saveexec_b32 s37, s5
	s_cbranch_execz .LBB190_41
.LBB190_73:                             ;   in Loop: Header=BB190_35 Depth=1
	ds_load_b32 v9, v5 offset:49172
	s_waitcnt lgkmcnt(0)
	v_add_nc_u32_e32 v8, v9, v8
	s_or_b32 exec_lo, exec_lo, s37
	s_and_saveexec_b32 s37, s6
	s_cbranch_execz .LBB190_42
.LBB190_74:                             ;   in Loop: Header=BB190_35 Depth=1
	ds_load_b32 v9, v5 offset:49176
	s_waitcnt lgkmcnt(0)
	v_add_nc_u32_e32 v8, v9, v8
	s_or_b32 exec_lo, exec_lo, s37
	s_and_saveexec_b32 s37, s7
	s_cbranch_execz .LBB190_43
.LBB190_75:                             ;   in Loop: Header=BB190_35 Depth=1
	ds_load_b32 v9, v5 offset:49180
	s_waitcnt lgkmcnt(0)
	v_add_nc_u32_e32 v8, v9, v8
	s_or_b32 exec_lo, exec_lo, s37
	s_and_saveexec_b32 s37, s8
	s_cbranch_execz .LBB190_44
.LBB190_76:                             ;   in Loop: Header=BB190_35 Depth=1
	ds_load_b32 v9, v5 offset:49184
	s_waitcnt lgkmcnt(0)
	v_add_nc_u32_e32 v8, v9, v8
	s_or_b32 exec_lo, exec_lo, s37
	s_and_saveexec_b32 s37, s9
	s_cbranch_execz .LBB190_45
.LBB190_77:                             ;   in Loop: Header=BB190_35 Depth=1
	ds_load_b32 v9, v5 offset:49188
	s_waitcnt lgkmcnt(0)
	v_add_nc_u32_e32 v8, v9, v8
	s_or_b32 exec_lo, exec_lo, s37
	s_and_saveexec_b32 s37, s10
	s_cbranch_execz .LBB190_46
.LBB190_78:                             ;   in Loop: Header=BB190_35 Depth=1
	ds_load_b32 v9, v5 offset:49192
	s_waitcnt lgkmcnt(0)
	v_add_nc_u32_e32 v8, v9, v8
	s_or_b32 exec_lo, exec_lo, s37
	s_and_saveexec_b32 s37, s11
	s_cbranch_execz .LBB190_47
.LBB190_79:                             ;   in Loop: Header=BB190_35 Depth=1
	ds_load_b32 v9, v5 offset:49196
	s_waitcnt lgkmcnt(0)
	v_add_nc_u32_e32 v8, v9, v8
	s_or_b32 exec_lo, exec_lo, s37
	s_and_saveexec_b32 s37, s12
	s_cbranch_execz .LBB190_48
.LBB190_80:                             ;   in Loop: Header=BB190_35 Depth=1
	ds_load_b32 v9, v5 offset:49200
	s_waitcnt lgkmcnt(0)
	v_add_nc_u32_e32 v8, v9, v8
	s_or_b32 exec_lo, exec_lo, s37
	s_and_saveexec_b32 s37, s13
	s_cbranch_execz .LBB190_49
.LBB190_81:                             ;   in Loop: Header=BB190_35 Depth=1
	ds_load_b32 v9, v5 offset:49204
	s_waitcnt lgkmcnt(0)
	v_add_nc_u32_e32 v8, v9, v8
	s_or_b32 exec_lo, exec_lo, s37
	s_and_saveexec_b32 s37, s14
	s_cbranch_execz .LBB190_50
.LBB190_82:                             ;   in Loop: Header=BB190_35 Depth=1
	ds_load_b32 v9, v5 offset:49208
	s_waitcnt lgkmcnt(0)
	v_add_nc_u32_e32 v8, v9, v8
	s_or_b32 exec_lo, exec_lo, s37
	s_and_saveexec_b32 s37, s15
	s_cbranch_execz .LBB190_51
.LBB190_83:                             ;   in Loop: Header=BB190_35 Depth=1
	ds_load_b32 v9, v5 offset:49212
	s_waitcnt lgkmcnt(0)
	v_add_nc_u32_e32 v8, v9, v8
	s_or_b32 exec_lo, exec_lo, s37
	s_and_saveexec_b32 s37, s16
	s_cbranch_execz .LBB190_52
.LBB190_84:                             ;   in Loop: Header=BB190_35 Depth=1
	ds_load_b32 v9, v5 offset:49216
	s_waitcnt lgkmcnt(0)
	v_add_nc_u32_e32 v8, v9, v8
	s_or_b32 exec_lo, exec_lo, s37
	s_and_saveexec_b32 s37, s17
	s_cbranch_execz .LBB190_53
.LBB190_85:                             ;   in Loop: Header=BB190_35 Depth=1
	ds_load_b32 v9, v5 offset:49220
	s_waitcnt lgkmcnt(0)
	v_add_nc_u32_e32 v8, v9, v8
	s_or_b32 exec_lo, exec_lo, s37
	s_and_saveexec_b32 s37, s18
	s_cbranch_execz .LBB190_54
.LBB190_86:                             ;   in Loop: Header=BB190_35 Depth=1
	ds_load_b32 v9, v5 offset:49224
	s_waitcnt lgkmcnt(0)
	v_add_nc_u32_e32 v8, v9, v8
	s_or_b32 exec_lo, exec_lo, s37
	s_and_saveexec_b32 s37, s19
	s_cbranch_execz .LBB190_55
.LBB190_87:                             ;   in Loop: Header=BB190_35 Depth=1
	ds_load_b32 v9, v5 offset:49228
	s_waitcnt lgkmcnt(0)
	v_add_nc_u32_e32 v8, v9, v8
	s_or_b32 exec_lo, exec_lo, s37
	s_and_saveexec_b32 s37, s20
	s_cbranch_execz .LBB190_56
.LBB190_88:                             ;   in Loop: Header=BB190_35 Depth=1
	ds_load_b32 v9, v5 offset:49232
	s_waitcnt lgkmcnt(0)
	v_add_nc_u32_e32 v8, v9, v8
	s_or_b32 exec_lo, exec_lo, s37
	s_and_saveexec_b32 s37, s21
	s_cbranch_execz .LBB190_57
.LBB190_89:                             ;   in Loop: Header=BB190_35 Depth=1
	ds_load_b32 v9, v5 offset:49236
	s_waitcnt lgkmcnt(0)
	v_add_nc_u32_e32 v8, v9, v8
	s_or_b32 exec_lo, exec_lo, s37
	s_and_saveexec_b32 s37, s22
	s_cbranch_execz .LBB190_58
.LBB190_90:                             ;   in Loop: Header=BB190_35 Depth=1
	ds_load_b32 v9, v5 offset:49240
	s_waitcnt lgkmcnt(0)
	v_add_nc_u32_e32 v8, v9, v8
	s_or_b32 exec_lo, exec_lo, s37
	s_and_saveexec_b32 s37, s23
	s_cbranch_execz .LBB190_59
.LBB190_91:                             ;   in Loop: Header=BB190_35 Depth=1
	ds_load_b32 v9, v5 offset:49244
	s_waitcnt lgkmcnt(0)
	v_add_nc_u32_e32 v8, v9, v8
	s_or_b32 exec_lo, exec_lo, s37
	s_and_saveexec_b32 s37, s24
	s_cbranch_execz .LBB190_60
.LBB190_92:                             ;   in Loop: Header=BB190_35 Depth=1
	ds_load_b32 v9, v5 offset:49248
	s_waitcnt lgkmcnt(0)
	v_add_nc_u32_e32 v8, v9, v8
	s_or_b32 exec_lo, exec_lo, s37
	s_and_saveexec_b32 s37, s25
	s_cbranch_execz .LBB190_61
.LBB190_93:                             ;   in Loop: Header=BB190_35 Depth=1
	ds_load_b32 v9, v5 offset:49252
	s_waitcnt lgkmcnt(0)
	v_add_nc_u32_e32 v8, v9, v8
	s_or_b32 exec_lo, exec_lo, s37
	s_and_saveexec_b32 s37, s26
	s_cbranch_execz .LBB190_62
.LBB190_94:                             ;   in Loop: Header=BB190_35 Depth=1
	ds_load_b32 v9, v5 offset:49256
	s_waitcnt lgkmcnt(0)
	v_add_nc_u32_e32 v8, v9, v8
	s_or_b32 exec_lo, exec_lo, s37
	s_and_saveexec_b32 s37, s27
	s_cbranch_execz .LBB190_63
.LBB190_95:                             ;   in Loop: Header=BB190_35 Depth=1
	ds_load_b32 v9, v5 offset:49260
	s_waitcnt lgkmcnt(0)
	v_add_nc_u32_e32 v8, v9, v8
	s_or_b32 exec_lo, exec_lo, s37
	s_and_saveexec_b32 s37, s28
	s_cbranch_execz .LBB190_64
.LBB190_96:                             ;   in Loop: Header=BB190_35 Depth=1
	ds_load_b32 v9, v5 offset:49264
	s_waitcnt lgkmcnt(0)
	v_add_nc_u32_e32 v8, v9, v8
	s_or_b32 exec_lo, exec_lo, s37
	s_and_saveexec_b32 s37, s29
	s_cbranch_execz .LBB190_65
.LBB190_97:                             ;   in Loop: Header=BB190_35 Depth=1
	ds_load_b32 v9, v5 offset:49268
	s_waitcnt lgkmcnt(0)
	v_add_nc_u32_e32 v8, v9, v8
	s_or_b32 exec_lo, exec_lo, s37
	s_and_saveexec_b32 s37, s30
	s_cbranch_execz .LBB190_66
.LBB190_98:                             ;   in Loop: Header=BB190_35 Depth=1
	ds_load_b32 v9, v5 offset:49272
	s_waitcnt lgkmcnt(0)
	v_add_nc_u32_e32 v8, v9, v8
	s_or_b32 exec_lo, exec_lo, s37
	s_and_saveexec_b32 s37, s31
	s_cbranch_execz .LBB190_67
.LBB190_99:                             ;   in Loop: Header=BB190_35 Depth=1
	s_delay_alu instid0(VALU_DEP_1) | instskip(NEXT) | instid1(VALU_DEP_1)
	v_add3_u32 v9, v6, -1, v8
	v_lshl_add_u32 v10, v9, 2, 0
	v_lshl_add_u32 v9, v9, 3, 0
	ds_store_b32 v10, v7
	ds_store_b64 v9, v[2:3] offset:16384
	s_or_b32 exec_lo, exec_lo, s37
	s_and_saveexec_b32 s31, vcc_lo
	s_cbranch_execz .LBB190_34
.LBB190_100:                            ;   in Loop: Header=BB190_35 Depth=1
	ds_store_b32 v5, v8 offset:49276
	s_branch .LBB190_34
.LBB190_101:                            ;   in Loop: Header=BB190_102 Depth=1
	s_or_b32 exec_lo, exec_lo, s4
	v_add_co_u32 v3, vcc_lo, 0x400, v3
	v_add_co_ci_u32_e32 v4, vcc_lo, 0, v4, vcc_lo
	s_delay_alu instid0(VALU_DEP_1) | instskip(SKIP_1) | instid1(SALU_CYCLE_1)
	v_cmp_le_i64_e32 vcc_lo, s[0:1], v[3:4]
	s_or_b32 s3, vcc_lo, s3
	s_and_not1_b32 exec_lo, exec_lo, s3
	s_cbranch_execz .LBB190_32
.LBB190_102:                            ; =>This Loop Header: Depth=1
                                        ;     Child Loop BB190_104 Depth 2
                                        ;       Child Loop BB190_110 Depth 3
                                        ;       Child Loop BB190_116 Depth 3
	v_lshlrev_b64 v[5:6], 3, v[3:4]
	v_lshlrev_b64 v[7:8], 2, v[3:4]
	s_mov_b32 s4, 0
	s_delay_alu instid0(VALU_DEP_2) | instskip(NEXT) | instid1(VALU_DEP_3)
	v_add_co_u32 v5, vcc_lo, s40, v5
	v_add_co_ci_u32_e32 v6, vcc_lo, s41, v6, vcc_lo
	s_delay_alu instid0(VALU_DEP_3) | instskip(NEXT) | instid1(VALU_DEP_4)
	v_add_co_u32 v7, vcc_lo, s38, v7
	v_add_co_ci_u32_e32 v8, vcc_lo, s39, v8, vcc_lo
	global_load_b64 v[5:6], v[5:6], off
	global_load_b32 v7, v[7:8], off
	s_waitcnt vmcnt(1)
	v_mul_f64 v[5:6], v[1:2], v[5:6]
	s_waitcnt vmcnt(0)
	v_subrev_nc_u32_e32 v9, s47, v7
	s_delay_alu instid0(VALU_DEP_1) | instskip(NEXT) | instid1(VALU_DEP_1)
	v_mul_lo_u32 v7, 0x89, v9
	v_and_b32_e32 v10, 0xfff, v7
	s_branch .LBB190_104
.LBB190_103:                            ;   in Loop: Header=BB190_104 Depth=2
	s_or_b32 exec_lo, exec_lo, s5
	s_xor_b32 s5, s6, -1
	s_delay_alu instid0(SALU_CYCLE_1) | instskip(NEXT) | instid1(SALU_CYCLE_1)
	s_and_b32 s5, exec_lo, s5
	s_or_b32 s4, s5, s4
	s_delay_alu instid0(SALU_CYCLE_1)
	s_and_not1_b32 exec_lo, exec_lo, s4
	s_cbranch_execz .LBB190_101
.LBB190_104:                            ;   Parent Loop BB190_102 Depth=1
                                        ; =>  This Loop Header: Depth=2
                                        ;       Child Loop BB190_110 Depth 3
                                        ;       Child Loop BB190_116 Depth 3
	s_delay_alu instid0(VALU_DEP_1)
	v_lshl_add_u32 v7, v10, 2, 0
	s_mov_b32 s5, exec_lo
                                        ; implicit-def: $sgpr6
	ds_load_b32 v8, v7
	s_waitcnt lgkmcnt(0)
	v_cmpx_ne_u32_e64 v8, v9
	s_xor_b32 s5, exec_lo, s5
	s_cbranch_execz .LBB190_114
; %bb.105:                              ;   in Loop: Header=BB190_104 Depth=2
	s_mov_b32 s7, exec_lo
                                        ; implicit-def: $sgpr6
	v_cmpx_ne_u32_e64 s33, v8
	s_xor_b32 s7, exec_lo, s7
; %bb.106:                              ;   in Loop: Header=BB190_104 Depth=2
	v_add_nc_u32_e32 v7, 1, v10
	s_mov_b32 s6, -1
	s_delay_alu instid0(VALU_DEP_1)
	v_and_b32_e32 v10, 0xfff, v7
                                        ; implicit-def: $vgpr7
; %bb.107:                              ;   in Loop: Header=BB190_104 Depth=2
	s_and_not1_saveexec_b32 s7, s7
	s_cbranch_execz .LBB190_113
; %bb.108:                              ;   in Loop: Header=BB190_104 Depth=2
	v_mov_b32_e32 v8, s33
	s_mov_b32 s9, -1
	s_mov_b32 s8, exec_lo
	ds_cmpstore_rtn_b32 v8, v7, v9, v8
	s_waitcnt lgkmcnt(0)
	v_cmpx_eq_u32_e64 s33, v8
	s_cbranch_execz .LBB190_112
; %bb.109:                              ;   in Loop: Header=BB190_104 Depth=2
	v_lshlrev_b32_e32 v8, 2, v10
	s_mov_b32 s9, 0
	s_delay_alu instid0(VALU_DEP_1)
	v_add_nc_u32_e32 v11, v7, v8
	ds_load_b64 v[7:8], v11 offset:16384
.LBB190_110:                            ;   Parent Loop BB190_102 Depth=1
                                        ;     Parent Loop BB190_104 Depth=2
                                        ; =>    This Inner Loop Header: Depth=3
	s_waitcnt lgkmcnt(0)
	v_add_f64 v[12:13], v[7:8], v[5:6]
	ds_cmpstore_rtn_b64 v[12:13], v11, v[12:13], v[7:8] offset:16384
	s_waitcnt lgkmcnt(0)
	v_cmp_eq_u64_e32 vcc_lo, v[12:13], v[7:8]
	v_dual_mov_b32 v7, v12 :: v_dual_mov_b32 v8, v13
	s_or_b32 s9, vcc_lo, s9
	s_delay_alu instid0(SALU_CYCLE_1)
	s_and_not1_b32 exec_lo, exec_lo, s9
	s_cbranch_execnz .LBB190_110
; %bb.111:                              ;   in Loop: Header=BB190_104 Depth=2
	s_or_b32 exec_lo, exec_lo, s9
	s_delay_alu instid0(SALU_CYCLE_1)
	s_xor_b32 s9, exec_lo, -1
.LBB190_112:                            ;   in Loop: Header=BB190_104 Depth=2
	s_or_b32 exec_lo, exec_lo, s8
	s_delay_alu instid0(SALU_CYCLE_1) | instskip(SKIP_1) | instid1(SALU_CYCLE_1)
	s_and_not1_b32 s6, s6, exec_lo
	s_and_b32 s8, s9, exec_lo
	s_or_b32 s6, s6, s8
.LBB190_113:                            ;   in Loop: Header=BB190_104 Depth=2
	s_or_b32 exec_lo, exec_lo, s7
	s_delay_alu instid0(SALU_CYCLE_1)
	s_and_b32 s6, s6, exec_lo
                                        ; implicit-def: $vgpr7
.LBB190_114:                            ;   in Loop: Header=BB190_104 Depth=2
	s_and_not1_saveexec_b32 s5, s5
	s_cbranch_execz .LBB190_103
; %bb.115:                              ;   in Loop: Header=BB190_104 Depth=2
	v_lshlrev_b32_e32 v8, 2, v10
	s_mov_b32 s7, 0
	s_delay_alu instid0(VALU_DEP_1)
	v_add_nc_u32_e32 v11, v7, v8
	ds_load_b64 v[7:8], v11 offset:16384
.LBB190_116:                            ;   Parent Loop BB190_102 Depth=1
                                        ;     Parent Loop BB190_104 Depth=2
                                        ; =>    This Inner Loop Header: Depth=3
	s_waitcnt lgkmcnt(0)
	v_add_f64 v[12:13], v[7:8], v[5:6]
	ds_cmpstore_rtn_b64 v[12:13], v11, v[12:13], v[7:8] offset:16384
	s_waitcnt lgkmcnt(0)
	v_cmp_eq_u64_e32 vcc_lo, v[12:13], v[7:8]
	v_dual_mov_b32 v7, v12 :: v_dual_mov_b32 v8, v13
	s_or_b32 s7, vcc_lo, s7
	s_delay_alu instid0(SALU_CYCLE_1)
	s_and_not1_b32 exec_lo, exec_lo, s7
	s_cbranch_execnz .LBB190_116
; %bb.117:                              ;   in Loop: Header=BB190_104 Depth=2
	s_or_b32 exec_lo, exec_lo, s7
	s_delay_alu instid0(SALU_CYCLE_1)
	s_and_not1_b32 s6, s6, exec_lo
	s_branch .LBB190_103
.LBB190_118:
	s_or_b32 exec_lo, exec_lo, s36
	s_ashr_i32 s49, s48, 31
	s_mov_b32 s4, exec_lo
	s_lshl_b64 s[0:1], s[48:49], 3
	s_delay_alu instid0(SALU_CYCLE_1) | instskip(SKIP_4) | instid1(SALU_CYCLE_1)
	s_add_u32 s0, s42, s0
	s_addc_u32 s1, s43, s1
	s_load_b128 s[0:3], s[0:1], 0x0
	s_waitcnt lgkmcnt(0)
	s_sub_i32 s3, s2, s0
	v_cmpx_gt_i32_e64 s3, v0
	s_cbranch_execz .LBB190_128
; %bb.119:
	s_sub_u32 s4, s0, s46
	s_subb_u32 s5, s1, 0
	s_sub_i32 s0, s0, s2
	s_and_b32 s1, s3, 7
	s_cmp_lt_u32 s0, -7
	s_mov_b32 s8, 0
	s_cselect_b32 s2, -1, 0
	s_and_b32 s6, s3, -8
	s_cmp_lg_u32 s1, 0
	s_cselect_b32 s7, -1, 0
	s_branch .LBB190_121
.LBB190_120:                            ;   in Loop: Header=BB190_121 Depth=1
	s_delay_alu instid0(VALU_DEP_1) | instskip(SKIP_1) | instid1(VALU_DEP_1)
	v_lshlrev_b64 v[3:4], 3, v[3:4]
	v_add_nc_u32_e32 v0, 0x400, v0
	v_cmp_le_i32_e32 vcc_lo, s3, v0
	s_delay_alu instid0(VALU_DEP_3) | instskip(NEXT) | instid1(VALU_DEP_1)
	v_add_co_u32 v3, s0, s34, v3
	v_add_co_ci_u32_e64 v4, s0, s35, v4, s0
	s_or_b32 s8, vcc_lo, s8
	s_waitcnt lgkmcnt(0)
	global_store_b64 v[3:4], v[1:2], off
	s_and_not1_b32 exec_lo, exec_lo, s8
	s_cbranch_execz .LBB190_128
.LBB190_121:                            ; =>This Loop Header: Depth=1
                                        ;     Child Loop BB190_123 Depth 2
                                        ;     Child Loop BB190_127 Depth 2
	v_lshlrev_b32_e32 v1, 2, v0
	v_dual_mov_b32 v3, s4 :: v_dual_mov_b32 v4, s5
	s_and_not1_b32 vcc_lo, exec_lo, s2
	s_mov_b32 s0, 0
	s_delay_alu instid0(VALU_DEP_2) | instskip(NEXT) | instid1(VALU_DEP_1)
	v_add_nc_u32_e32 v2, 0, v1
	v_add_nc_u32_e32 v1, v2, v1
	ds_load_b32 v5, v2
	ds_load_b64 v[1:2], v1 offset:16384
	s_cbranch_vccnz .LBB190_125
; %bb.122:                              ;   in Loop: Header=BB190_121 Depth=1
	v_dual_mov_b32 v3, s4 :: v_dual_mov_b32 v4, s5
	s_mov_b32 s9, 0
	s_mov_b32 s10, 0
.LBB190_123:                            ;   Parent Loop BB190_121 Depth=1
                                        ; =>  This Inner Loop Header: Depth=2
	s_delay_alu instid0(SALU_CYCLE_1)
	v_mov_b32_e32 v12, s10
	s_add_i32 s9, s9, 8
	s_add_i32 s10, s10, 32
	s_cmp_eq_u32 s6, s9
	ds_load_2addr_b32 v[6:7], v12 offset1:1
	ds_load_2addr_b32 v[8:9], v12 offset0:2 offset1:3
	ds_load_2addr_b32 v[10:11], v12 offset0:4 offset1:5
	;; [unrolled: 1-line block ×3, first 2 shown]
	s_waitcnt lgkmcnt(3)
	v_cmp_gt_i32_e32 vcc_lo, v5, v6
	v_cndmask_b32_e64 v6, 0, 1, vcc_lo
	v_cmp_gt_i32_e32 vcc_lo, v5, v7
	v_cndmask_b32_e64 v7, 0, 1, vcc_lo
	s_waitcnt lgkmcnt(2)
	v_cmp_gt_i32_e32 vcc_lo, v5, v8
	v_cndmask_b32_e64 v8, 0, 1, vcc_lo
	v_cmp_gt_i32_e32 vcc_lo, v5, v9
	v_cndmask_b32_e64 v9, 0, 1, vcc_lo
	s_waitcnt lgkmcnt(1)
	v_cmp_gt_i32_e32 vcc_lo, v5, v10
	v_cndmask_b32_e64 v10, 0, 1, vcc_lo
	v_add_co_u32 v3, vcc_lo, v3, v6
	v_add_co_ci_u32_e32 v4, vcc_lo, 0, v4, vcc_lo
	v_cmp_gt_i32_e32 vcc_lo, v5, v11
	s_delay_alu instid0(VALU_DEP_3) | instskip(NEXT) | instid1(VALU_DEP_1)
	v_add_co_u32 v3, s0, v3, v7
	v_add_co_ci_u32_e64 v4, s0, 0, v4, s0
	v_cndmask_b32_e64 v6, 0, 1, vcc_lo
	s_delay_alu instid0(VALU_DEP_3) | instskip(NEXT) | instid1(VALU_DEP_3)
	v_add_co_u32 v3, vcc_lo, v3, v8
	v_add_co_ci_u32_e32 v4, vcc_lo, 0, v4, vcc_lo
	s_waitcnt lgkmcnt(0)
	v_cmp_gt_i32_e32 vcc_lo, v5, v12
	s_delay_alu instid0(VALU_DEP_3) | instskip(NEXT) | instid1(VALU_DEP_1)
	v_add_co_u32 v3, s0, v3, v9
	v_add_co_ci_u32_e64 v4, s0, 0, v4, s0
	v_cndmask_b32_e64 v7, 0, 1, vcc_lo
	s_delay_alu instid0(VALU_DEP_3) | instskip(NEXT) | instid1(VALU_DEP_3)
	v_add_co_u32 v3, vcc_lo, v3, v10
	v_add_co_ci_u32_e32 v4, vcc_lo, 0, v4, vcc_lo
	v_cmp_gt_i32_e32 vcc_lo, v5, v13
	s_delay_alu instid0(VALU_DEP_3) | instskip(NEXT) | instid1(VALU_DEP_1)
	v_add_co_u32 v3, s0, v3, v6
	v_add_co_ci_u32_e64 v4, s0, 0, v4, s0
	v_cndmask_b32_e64 v6, 0, 1, vcc_lo
	s_delay_alu instid0(VALU_DEP_3) | instskip(NEXT) | instid1(VALU_DEP_3)
	v_add_co_u32 v3, vcc_lo, v3, v7
	v_add_co_ci_u32_e32 v4, vcc_lo, 0, v4, vcc_lo
	s_delay_alu instid0(VALU_DEP_2) | instskip(NEXT) | instid1(VALU_DEP_2)
	v_add_co_u32 v3, vcc_lo, v3, v6
	v_add_co_ci_u32_e32 v4, vcc_lo, 0, v4, vcc_lo
	s_cbranch_scc0 .LBB190_123
; %bb.124:                              ;   in Loop: Header=BB190_121 Depth=1
	s_mov_b32 s0, s6
.LBB190_125:                            ;   in Loop: Header=BB190_121 Depth=1
	s_and_not1_b32 vcc_lo, exec_lo, s7
	s_cbranch_vccnz .LBB190_120
; %bb.126:                              ;   in Loop: Header=BB190_121 Depth=1
	s_lshl_b32 s0, s0, 2
	s_mov_b32 s9, s1
	s_add_i32 s0, s0, 0
.LBB190_127:                            ;   Parent Loop BB190_121 Depth=1
                                        ; =>  This Inner Loop Header: Depth=2
	s_delay_alu instid0(SALU_CYCLE_1)
	v_mov_b32_e32 v6, s0
	s_add_i32 s9, s9, -1
	s_add_i32 s0, s0, 4
	s_cmp_lg_u32 s9, 0
	ds_load_b32 v6, v6
	s_waitcnt lgkmcnt(0)
	v_cmp_gt_i32_e32 vcc_lo, v5, v6
	v_cndmask_b32_e64 v6, 0, 1, vcc_lo
	s_delay_alu instid0(VALU_DEP_1)
	v_add_co_u32 v3, vcc_lo, v3, v6
	v_add_co_ci_u32_e32 v4, vcc_lo, 0, v4, vcc_lo
	s_cbranch_scc1 .LBB190_127
	s_branch .LBB190_120
.LBB190_128:
	s_nop 0
	s_sendmsg sendmsg(MSG_DEALLOC_VGPRS)
	s_endpgm
	.section	.rodata,"a",@progbits
	.p2align	6, 0x0
	.amdhsa_kernel _ZN9rocsparseL41csrgemm_numeric_fill_block_per_row_kernelILj1024ELj64ELj4096ELj137ELj32ElidEEvT5_PKS1_S3_NS_24const_host_device_scalarIT6_EEPKT4_S3_PKS5_S9_S3_SB_S6_S9_S3_SB_S9_S3_PS5_21rocsparse_index_base_SD_SD_SD_bbb
		.amdhsa_group_segment_fixed_size 0
		.amdhsa_private_segment_fixed_size 0
		.amdhsa_kernarg_size 156
		.amdhsa_user_sgpr_count 15
		.amdhsa_user_sgpr_dispatch_ptr 0
		.amdhsa_user_sgpr_queue_ptr 0
		.amdhsa_user_sgpr_kernarg_segment_ptr 1
		.amdhsa_user_sgpr_dispatch_id 0
		.amdhsa_user_sgpr_private_segment_size 0
		.amdhsa_wavefront_size32 1
		.amdhsa_uses_dynamic_stack 0
		.amdhsa_enable_private_segment 0
		.amdhsa_system_sgpr_workgroup_id_x 1
		.amdhsa_system_sgpr_workgroup_id_y 0
		.amdhsa_system_sgpr_workgroup_id_z 0
		.amdhsa_system_sgpr_workgroup_info 0
		.amdhsa_system_vgpr_workitem_id 0
		.amdhsa_next_free_vgpr 27
		.amdhsa_next_free_sgpr 50
		.amdhsa_reserve_vcc 1
		.amdhsa_float_round_mode_32 0
		.amdhsa_float_round_mode_16_64 0
		.amdhsa_float_denorm_mode_32 3
		.amdhsa_float_denorm_mode_16_64 3
		.amdhsa_dx10_clamp 1
		.amdhsa_ieee_mode 1
		.amdhsa_fp16_overflow 0
		.amdhsa_workgroup_processor_mode 1
		.amdhsa_memory_ordered 1
		.amdhsa_forward_progress 0
		.amdhsa_shared_vgpr_count 0
		.amdhsa_exception_fp_ieee_invalid_op 0
		.amdhsa_exception_fp_denorm_src 0
		.amdhsa_exception_fp_ieee_div_zero 0
		.amdhsa_exception_fp_ieee_overflow 0
		.amdhsa_exception_fp_ieee_underflow 0
		.amdhsa_exception_fp_ieee_inexact 0
		.amdhsa_exception_int_div_zero 0
	.end_amdhsa_kernel
	.section	.text._ZN9rocsparseL41csrgemm_numeric_fill_block_per_row_kernelILj1024ELj64ELj4096ELj137ELj32ElidEEvT5_PKS1_S3_NS_24const_host_device_scalarIT6_EEPKT4_S3_PKS5_S9_S3_SB_S6_S9_S3_SB_S9_S3_PS5_21rocsparse_index_base_SD_SD_SD_bbb,"axG",@progbits,_ZN9rocsparseL41csrgemm_numeric_fill_block_per_row_kernelILj1024ELj64ELj4096ELj137ELj32ElidEEvT5_PKS1_S3_NS_24const_host_device_scalarIT6_EEPKT4_S3_PKS5_S9_S3_SB_S6_S9_S3_SB_S9_S3_PS5_21rocsparse_index_base_SD_SD_SD_bbb,comdat
.Lfunc_end190:
	.size	_ZN9rocsparseL41csrgemm_numeric_fill_block_per_row_kernelILj1024ELj64ELj4096ELj137ELj32ElidEEvT5_PKS1_S3_NS_24const_host_device_scalarIT6_EEPKT4_S3_PKS5_S9_S3_SB_S6_S9_S3_SB_S9_S3_PS5_21rocsparse_index_base_SD_SD_SD_bbb, .Lfunc_end190-_ZN9rocsparseL41csrgemm_numeric_fill_block_per_row_kernelILj1024ELj64ELj4096ELj137ELj32ElidEEvT5_PKS1_S3_NS_24const_host_device_scalarIT6_EEPKT4_S3_PKS5_S9_S3_SB_S6_S9_S3_SB_S9_S3_PS5_21rocsparse_index_base_SD_SD_SD_bbb
                                        ; -- End function
	.section	.AMDGPU.csdata,"",@progbits
; Kernel info:
; codeLenInByte = 4572
; NumSgprs: 52
; NumVgprs: 27
; ScratchSize: 0
; MemoryBound: 0
; FloatMode: 240
; IeeeMode: 1
; LDSByteSize: 0 bytes/workgroup (compile time only)
; SGPRBlocks: 6
; VGPRBlocks: 3
; NumSGPRsForWavesPerEU: 52
; NumVGPRsForWavesPerEU: 27
; Occupancy: 16
; WaveLimiterHint : 1
; COMPUTE_PGM_RSRC2:SCRATCH_EN: 0
; COMPUTE_PGM_RSRC2:USER_SGPR: 15
; COMPUTE_PGM_RSRC2:TRAP_HANDLER: 0
; COMPUTE_PGM_RSRC2:TGID_X_EN: 1
; COMPUTE_PGM_RSRC2:TGID_Y_EN: 0
; COMPUTE_PGM_RSRC2:TGID_Z_EN: 0
; COMPUTE_PGM_RSRC2:TIDIG_COMP_CNT: 0
	.section	.text._ZN9rocsparseL41csrgemm_numeric_fill_block_per_row_kernelILj1024ELj64ELj4096ELj137ELj64ElidEEvT5_PKS1_S3_NS_24const_host_device_scalarIT6_EEPKT4_S3_PKS5_S9_S3_SB_S6_S9_S3_SB_S9_S3_PS5_21rocsparse_index_base_SD_SD_SD_bbb,"axG",@progbits,_ZN9rocsparseL41csrgemm_numeric_fill_block_per_row_kernelILj1024ELj64ELj4096ELj137ELj64ElidEEvT5_PKS1_S3_NS_24const_host_device_scalarIT6_EEPKT4_S3_PKS5_S9_S3_SB_S6_S9_S3_SB_S9_S3_PS5_21rocsparse_index_base_SD_SD_SD_bbb,comdat
	.globl	_ZN9rocsparseL41csrgemm_numeric_fill_block_per_row_kernelILj1024ELj64ELj4096ELj137ELj64ElidEEvT5_PKS1_S3_NS_24const_host_device_scalarIT6_EEPKT4_S3_PKS5_S9_S3_SB_S6_S9_S3_SB_S9_S3_PS5_21rocsparse_index_base_SD_SD_SD_bbb ; -- Begin function _ZN9rocsparseL41csrgemm_numeric_fill_block_per_row_kernelILj1024ELj64ELj4096ELj137ELj64ElidEEvT5_PKS1_S3_NS_24const_host_device_scalarIT6_EEPKT4_S3_PKS5_S9_S3_SB_S6_S9_S3_SB_S9_S3_PS5_21rocsparse_index_base_SD_SD_SD_bbb
	.p2align	8
	.type	_ZN9rocsparseL41csrgemm_numeric_fill_block_per_row_kernelILj1024ELj64ELj4096ELj137ELj64ElidEEvT5_PKS1_S3_NS_24const_host_device_scalarIT6_EEPKT4_S3_PKS5_S9_S3_SB_S6_S9_S3_SB_S9_S3_PS5_21rocsparse_index_base_SD_SD_SD_bbb,@function
_ZN9rocsparseL41csrgemm_numeric_fill_block_per_row_kernelILj1024ELj64ELj4096ELj137ELj64ElidEEvT5_PKS1_S3_NS_24const_host_device_scalarIT6_EEPKT4_S3_PKS5_S9_S3_SB_S6_S9_S3_SB_S9_S3_PS5_21rocsparse_index_base_SD_SD_SD_bbb: ; @_ZN9rocsparseL41csrgemm_numeric_fill_block_per_row_kernelILj1024ELj64ELj4096ELj137ELj64ElidEEvT5_PKS1_S3_NS_24const_host_device_scalarIT6_EEPKT4_S3_PKS5_S9_S3_SB_S6_S9_S3_SB_S9_S3_PS5_21rocsparse_index_base_SD_SD_SD_bbb
; %bb.0:
	s_clause 0x3
	s_load_b32 s12, s[0:1], 0x98
	s_load_b64 s[4:5], s[0:1], 0x18
	s_load_b128 s[24:27], s[0:1], 0x88
	s_load_b64 s[2:3], s[0:1], 0x50
	s_waitcnt lgkmcnt(0)
	s_and_b32 s6, 1, s12
	s_bitcmp1_b32 s12, 16
	s_cselect_b32 s14, -1, 0
	s_cmp_eq_u32 s6, 1
	s_cselect_b32 s13, -1, 0
	s_delay_alu instid0(SALU_CYCLE_1)
	s_and_b32 s6, s13, exec_lo
	s_cselect_b32 s7, s5, 0
	s_cselect_b32 s6, s4, 0
	s_xor_b32 s8, s13, -1
	v_dual_mov_b32 v3, s6 :: v_dual_mov_b32 v4, s7
	s_or_b32 s8, s8, s14
	s_delay_alu instid0(SALU_CYCLE_1)
	s_and_b32 vcc_lo, exec_lo, s8
	s_cbranch_vccnz .LBB191_2
; %bb.1:
	v_dual_mov_b32 v1, s4 :: v_dual_mov_b32 v2, s5
	flat_load_b64 v[3:4], v[1:2]
.LBB191_2:
	s_clause 0x4
	s_load_b64 s[34:35], s[0:1], 0x80
	s_load_b256 s[16:23], s[0:1], 0x58
	s_load_b128 s[28:31], s[0:1], 0x40
	s_load_b128 s[36:39], s[0:1], 0x8
	s_load_b256 s[4:11], s[0:1], 0x20
	s_bitcmp1_b32 s12, 8
	s_cselect_b32 s12, -1, 0
	s_delay_alu instid0(SALU_CYCLE_1)
	s_and_b32 s33, s12, exec_lo
	s_cselect_b32 s41, s3, 0
	s_cselect_b32 s40, s2, 0
	s_xor_b32 s33, s12, -1
	v_dual_mov_b32 v1, s40 :: v_dual_mov_b32 v2, s41
	s_or_b32 s14, s33, s14
	s_delay_alu instid0(SALU_CYCLE_1)
	s_and_b32 vcc_lo, exec_lo, s14
	s_cbranch_vccnz .LBB191_4
; %bb.3:
	v_dual_mov_b32 v1, s2 :: v_dual_mov_b32 v2, s3
	flat_load_b64 v[1:2], v[1:2]
.LBB191_4:
	s_load_b32 s33, s[0:1], 0x0
	v_dual_mov_b32 v5, 0 :: v_dual_lshlrev_b32 v6, 3, v0
	v_lshl_add_u32 v17, v0, 2, 0
	v_or_b32_e32 v18, 0xfffffc00, v0
	s_mov_b32 s0, 0
	s_delay_alu instid0(VALU_DEP_3) | instskip(SKIP_1) | instid1(VALU_DEP_3)
	v_add3_u32 v19, v6, 0, 0x4000
	v_mov_b32_e32 v6, v5
	v_dual_mov_b32 v7, v17 :: v_dual_mov_b32 v8, v18
	s_waitcnt lgkmcnt(0)
	s_delay_alu instid0(VALU_DEP_3)
	v_dual_mov_b32 v10, v19 :: v_dual_mov_b32 v9, s33
.LBB191_5:                              ; =>This Inner Loop Header: Depth=1
	s_delay_alu instid0(VALU_DEP_2)
	v_add_nc_u32_e32 v8, 0x400, v8
	ds_store_b32 v7, v9
	ds_store_b64 v10, v[5:6]
	v_add_nc_u32_e32 v10, 0x2000, v10
	v_add_nc_u32_e32 v7, 0x1000, v7
	v_cmp_lt_u32_e32 vcc_lo, 0xbff, v8
	s_or_b32 s0, vcc_lo, s0
	s_delay_alu instid0(SALU_CYCLE_1)
	s_and_not1_b32 exec_lo, exec_lo, s0
	s_cbranch_execnz .LBB191_5
; %bb.6:
	s_or_b32 exec_lo, exec_lo, s0
	s_waitcnt vmcnt(0) lgkmcnt(0)
	s_barrier
	buffer_gl0_inv
	s_load_b32 s0, s[36:37], 0x0
	s_mov_b32 s1, 0
	v_lshrrev_b32_e32 v20, 6, v0
	s_waitcnt lgkmcnt(0)
	s_add_i32 s0, s0, s15
	s_delay_alu instid0(SALU_CYCLE_1) | instskip(NEXT) | instid1(SALU_CYCLE_1)
	s_lshl_b64 s[0:1], s[0:1], 2
	s_add_u32 s0, s38, s0
	s_addc_u32 s1, s39, s1
	s_and_b32 vcc_lo, exec_lo, s13
	s_load_b32 s36, s[0:1], 0x0
	s_cbranch_vccz .LBB191_30
; %bb.7:
	s_waitcnt lgkmcnt(0)
	s_ashr_i32 s37, s36, 31
	s_delay_alu instid0(SALU_CYCLE_1) | instskip(NEXT) | instid1(SALU_CYCLE_1)
	s_lshl_b64 s[0:1], s[36:37], 3
	s_add_u32 s0, s4, s0
	s_addc_u32 s1, s5, s1
	v_sub_co_u32 v5, s4, v20, s24
	s_load_b128 s[0:3], s[0:1], 0x0
	v_sub_co_ci_u32_e64 v6, null, 0, 0, s4
	s_waitcnt lgkmcnt(0)
	s_delay_alu instid0(VALU_DEP_2) | instskip(NEXT) | instid1(VALU_DEP_2)
	v_add_co_u32 v5, vcc_lo, s0, v5
	v_add_co_ci_u32_e32 v6, vcc_lo, s1, v6, vcc_lo
	s_sub_u32 s0, s2, s24
	s_subb_u32 s1, s3, 0
	s_mov_b32 s2, exec_lo
	s_delay_alu instid0(VALU_DEP_1)
	v_cmpx_gt_i64_e64 s[0:1], v[5:6]
	s_cbranch_execz .LBB191_29
; %bb.8:
	v_and_b32_e32 v7, 63, v0
	s_mov_b32 s4, s25
	s_delay_alu instid0(VALU_DEP_1) | instskip(NEXT) | instid1(VALU_DEP_1)
	v_sub_co_u32 v21, s3, v7, s25
	v_sub_co_ci_u32_e64 v22, null, 0, 0, s3
	s_mov_b32 s3, 0
	s_branch .LBB191_10
.LBB191_9:                              ;   in Loop: Header=BB191_10 Depth=1
	s_or_b32 exec_lo, exec_lo, s5
	v_add_co_u32 v5, vcc_lo, v5, 16
	v_add_co_ci_u32_e32 v6, vcc_lo, 0, v6, vcc_lo
	s_delay_alu instid0(VALU_DEP_1) | instskip(SKIP_1) | instid1(SALU_CYCLE_1)
	v_cmp_le_i64_e32 vcc_lo, s[0:1], v[5:6]
	s_or_b32 s3, vcc_lo, s3
	s_and_not1_b32 exec_lo, exec_lo, s3
	s_cbranch_execz .LBB191_29
.LBB191_10:                             ; =>This Loop Header: Depth=1
                                        ;     Child Loop BB191_13 Depth 2
                                        ;       Child Loop BB191_15 Depth 3
                                        ;         Child Loop BB191_21 Depth 4
                                        ;         Child Loop BB191_27 Depth 4
	v_lshlrev_b64 v[7:8], 2, v[5:6]
	s_mov_b32 s5, exec_lo
	s_delay_alu instid0(VALU_DEP_1) | instskip(NEXT) | instid1(VALU_DEP_2)
	v_add_co_u32 v7, vcc_lo, s6, v7
	v_add_co_ci_u32_e32 v8, vcc_lo, s7, v8, vcc_lo
	global_load_b32 v7, v[7:8], off
	s_waitcnt vmcnt(0)
	v_subrev_nc_u32_e32 v7, s24, v7
	s_delay_alu instid0(VALU_DEP_1) | instskip(NEXT) | instid1(VALU_DEP_1)
	v_ashrrev_i32_e32 v8, 31, v7
	v_lshlrev_b64 v[7:8], 3, v[7:8]
	s_delay_alu instid0(VALU_DEP_1) | instskip(NEXT) | instid1(VALU_DEP_2)
	v_add_co_u32 v7, vcc_lo, s10, v7
	v_add_co_ci_u32_e32 v8, vcc_lo, s11, v8, vcc_lo
	global_load_b128 v[9:12], v[7:8], off
	s_waitcnt vmcnt(0)
	v_sub_co_u32 v7, vcc_lo, v11, s4
	v_subrev_co_ci_u32_e32 v8, vcc_lo, 0, v12, vcc_lo
	v_add_co_u32 v9, vcc_lo, v9, v21
	v_add_co_ci_u32_e32 v10, vcc_lo, v10, v22, vcc_lo
	s_delay_alu instid0(VALU_DEP_1)
	v_cmpx_lt_i64_e64 v[9:10], v[7:8]
	s_cbranch_execz .LBB191_9
; %bb.11:                               ;   in Loop: Header=BB191_10 Depth=1
	v_lshlrev_b64 v[11:12], 3, v[5:6]
	s_mov_b32 s13, 0
	s_delay_alu instid0(VALU_DEP_1) | instskip(NEXT) | instid1(VALU_DEP_2)
	v_add_co_u32 v11, vcc_lo, s8, v11
	v_add_co_ci_u32_e32 v12, vcc_lo, s9, v12, vcc_lo
	global_load_b64 v[11:12], v[11:12], off
	s_waitcnt vmcnt(0)
	v_mul_f64 v[11:12], v[3:4], v[11:12]
	s_branch .LBB191_13
.LBB191_12:                             ;   in Loop: Header=BB191_13 Depth=2
	s_or_b32 exec_lo, exec_lo, s14
	v_add_co_u32 v9, vcc_lo, v9, 64
	v_add_co_ci_u32_e32 v10, vcc_lo, 0, v10, vcc_lo
	s_delay_alu instid0(VALU_DEP_1) | instskip(SKIP_1) | instid1(SALU_CYCLE_1)
	v_cmp_ge_i64_e32 vcc_lo, v[9:10], v[7:8]
	s_or_b32 s13, vcc_lo, s13
	s_and_not1_b32 exec_lo, exec_lo, s13
	s_cbranch_execz .LBB191_9
.LBB191_13:                             ;   Parent Loop BB191_10 Depth=1
                                        ; =>  This Loop Header: Depth=2
                                        ;       Child Loop BB191_15 Depth 3
                                        ;         Child Loop BB191_21 Depth 4
                                        ;         Child Loop BB191_27 Depth 4
	v_lshlrev_b64 v[13:14], 3, v[9:10]
	v_lshlrev_b64 v[15:16], 2, v[9:10]
	s_mov_b32 s14, 0
	s_delay_alu instid0(VALU_DEP_2) | instskip(NEXT) | instid1(VALU_DEP_3)
	v_add_co_u32 v13, vcc_lo, s30, v13
	v_add_co_ci_u32_e32 v14, vcc_lo, s31, v14, vcc_lo
	s_delay_alu instid0(VALU_DEP_3) | instskip(NEXT) | instid1(VALU_DEP_4)
	v_add_co_u32 v15, vcc_lo, s28, v15
	v_add_co_ci_u32_e32 v16, vcc_lo, s29, v16, vcc_lo
	global_load_b64 v[13:14], v[13:14], off
	global_load_b32 v15, v[15:16], off
	s_waitcnt vmcnt(1)
	v_mul_f64 v[13:14], v[11:12], v[13:14]
	s_waitcnt vmcnt(0)
	v_subrev_nc_u32_e32 v23, s25, v15
	s_delay_alu instid0(VALU_DEP_1) | instskip(NEXT) | instid1(VALU_DEP_1)
	v_mul_lo_u32 v15, 0x89, v23
	v_and_b32_e32 v24, 0xfff, v15
	s_branch .LBB191_15
.LBB191_14:                             ;   in Loop: Header=BB191_15 Depth=3
	s_or_b32 exec_lo, exec_lo, s15
	s_xor_b32 s15, s37, -1
	s_delay_alu instid0(SALU_CYCLE_1) | instskip(NEXT) | instid1(SALU_CYCLE_1)
	s_and_b32 s15, exec_lo, s15
	s_or_b32 s14, s15, s14
	s_delay_alu instid0(SALU_CYCLE_1)
	s_and_not1_b32 exec_lo, exec_lo, s14
	s_cbranch_execz .LBB191_12
.LBB191_15:                             ;   Parent Loop BB191_10 Depth=1
                                        ;     Parent Loop BB191_13 Depth=2
                                        ; =>    This Loop Header: Depth=3
                                        ;         Child Loop BB191_21 Depth 4
                                        ;         Child Loop BB191_27 Depth 4
	s_delay_alu instid0(VALU_DEP_1)
	v_lshl_add_u32 v15, v24, 2, 0
	s_mov_b32 s15, exec_lo
                                        ; implicit-def: $sgpr37
	ds_load_b32 v16, v15
	s_waitcnt lgkmcnt(0)
	v_cmpx_ne_u32_e64 v16, v23
	s_xor_b32 s15, exec_lo, s15
	s_cbranch_execz .LBB191_25
; %bb.16:                               ;   in Loop: Header=BB191_15 Depth=3
	s_mov_b32 s38, exec_lo
                                        ; implicit-def: $sgpr37
	v_cmpx_ne_u32_e64 s33, v16
	s_xor_b32 s38, exec_lo, s38
; %bb.17:                               ;   in Loop: Header=BB191_15 Depth=3
	v_add_nc_u32_e32 v15, 1, v24
	s_mov_b32 s37, -1
	s_delay_alu instid0(VALU_DEP_1)
	v_and_b32_e32 v24, 0xfff, v15
                                        ; implicit-def: $vgpr15
; %bb.18:                               ;   in Loop: Header=BB191_15 Depth=3
	s_and_not1_saveexec_b32 s38, s38
	s_cbranch_execz .LBB191_24
; %bb.19:                               ;   in Loop: Header=BB191_15 Depth=3
	v_mov_b32_e32 v16, s33
	s_mov_b32 s40, -1
	s_mov_b32 s39, exec_lo
	ds_cmpstore_rtn_b32 v16, v15, v23, v16
	s_waitcnt lgkmcnt(0)
	v_cmpx_eq_u32_e64 s33, v16
	s_cbranch_execz .LBB191_23
; %bb.20:                               ;   in Loop: Header=BB191_15 Depth=3
	v_lshlrev_b32_e32 v16, 2, v24
	s_mov_b32 s40, 0
	s_delay_alu instid0(VALU_DEP_1)
	v_add_nc_u32_e32 v25, v15, v16
	ds_load_b64 v[15:16], v25 offset:16384
.LBB191_21:                             ;   Parent Loop BB191_10 Depth=1
                                        ;     Parent Loop BB191_13 Depth=2
                                        ;       Parent Loop BB191_15 Depth=3
                                        ; =>      This Inner Loop Header: Depth=4
	s_waitcnt lgkmcnt(0)
	v_add_f64 v[26:27], v[15:16], v[13:14]
	ds_cmpstore_rtn_b64 v[26:27], v25, v[26:27], v[15:16] offset:16384
	s_waitcnt lgkmcnt(0)
	v_cmp_eq_u64_e32 vcc_lo, v[26:27], v[15:16]
	v_dual_mov_b32 v15, v26 :: v_dual_mov_b32 v16, v27
	s_or_b32 s40, vcc_lo, s40
	s_delay_alu instid0(SALU_CYCLE_1)
	s_and_not1_b32 exec_lo, exec_lo, s40
	s_cbranch_execnz .LBB191_21
; %bb.22:                               ;   in Loop: Header=BB191_15 Depth=3
	s_or_b32 exec_lo, exec_lo, s40
	s_delay_alu instid0(SALU_CYCLE_1)
	s_xor_b32 s40, exec_lo, -1
.LBB191_23:                             ;   in Loop: Header=BB191_15 Depth=3
	s_or_b32 exec_lo, exec_lo, s39
	s_delay_alu instid0(SALU_CYCLE_1) | instskip(SKIP_1) | instid1(SALU_CYCLE_1)
	s_and_not1_b32 s37, s37, exec_lo
	s_and_b32 s39, s40, exec_lo
	s_or_b32 s37, s37, s39
.LBB191_24:                             ;   in Loop: Header=BB191_15 Depth=3
	s_or_b32 exec_lo, exec_lo, s38
	s_delay_alu instid0(SALU_CYCLE_1)
	s_and_b32 s37, s37, exec_lo
                                        ; implicit-def: $vgpr15
.LBB191_25:                             ;   in Loop: Header=BB191_15 Depth=3
	s_and_not1_saveexec_b32 s15, s15
	s_cbranch_execz .LBB191_14
; %bb.26:                               ;   in Loop: Header=BB191_15 Depth=3
	v_lshlrev_b32_e32 v16, 2, v24
	s_mov_b32 s38, 0
	s_delay_alu instid0(VALU_DEP_1)
	v_add_nc_u32_e32 v25, v15, v16
	ds_load_b64 v[15:16], v25 offset:16384
.LBB191_27:                             ;   Parent Loop BB191_10 Depth=1
                                        ;     Parent Loop BB191_13 Depth=2
                                        ;       Parent Loop BB191_15 Depth=3
                                        ; =>      This Inner Loop Header: Depth=4
	s_waitcnt lgkmcnt(0)
	v_add_f64 v[26:27], v[15:16], v[13:14]
	ds_cmpstore_rtn_b64 v[26:27], v25, v[26:27], v[15:16] offset:16384
	s_waitcnt lgkmcnt(0)
	v_cmp_eq_u64_e32 vcc_lo, v[26:27], v[15:16]
	v_dual_mov_b32 v15, v26 :: v_dual_mov_b32 v16, v27
	s_or_b32 s38, vcc_lo, s38
	s_delay_alu instid0(SALU_CYCLE_1)
	s_and_not1_b32 exec_lo, exec_lo, s38
	s_cbranch_execnz .LBB191_27
; %bb.28:                               ;   in Loop: Header=BB191_15 Depth=3
	s_or_b32 exec_lo, exec_lo, s38
	s_delay_alu instid0(SALU_CYCLE_1)
	s_and_not1_b32 s37, s37, exec_lo
	s_branch .LBB191_14
.LBB191_29:
	s_or_b32 exec_lo, exec_lo, s2
.LBB191_30:
	s_delay_alu instid0(SALU_CYCLE_1)
	s_and_not1_b32 vcc_lo, exec_lo, s12
	s_cbranch_vccnz .LBB191_33
; %bb.31:
	s_waitcnt lgkmcnt(0)
	s_ashr_i32 s37, s36, 31
	v_sub_co_u32 v3, s4, v0, s27
	s_lshl_b64 s[0:1], s[36:37], 3
	v_sub_co_ci_u32_e64 v4, null, 0, 0, s4
	s_add_u32 s0, s16, s0
	s_addc_u32 s1, s17, s1
	s_load_b128 s[0:3], s[0:1], 0x0
	s_waitcnt lgkmcnt(0)
	v_add_co_u32 v3, vcc_lo, s0, v3
	v_add_co_ci_u32_e32 v4, vcc_lo, s1, v4, vcc_lo
	s_sub_u32 s0, s2, s27
	s_subb_u32 s1, s3, 0
	s_mov_b32 s3, 0
	s_mov_b32 s2, exec_lo
	v_cmpx_gt_i64_e64 s[0:1], v[3:4]
	s_cbranch_execnz .LBB191_70
.LBB191_32:
	s_or_b32 exec_lo, exec_lo, s2
.LBB191_33:
	v_mbcnt_lo_u32_b32 v1, -1, 0
	v_lshl_add_u32 v4, v20, 2, 0
	v_cmp_eq_u32_e32 vcc_lo, 0x3ff, v0
	v_cmp_lt_u32_e64 s0, 63, v0
	v_cmp_lt_u32_e64 s1, 0x7f, v0
	v_xor_b32_e32 v1, 63, v1
	v_cmp_lt_u32_e64 s2, 0xbf, v0
	v_cmp_lt_u32_e64 s3, 0xff, v0
	;; [unrolled: 1-line block ×4, first 2 shown]
	v_lshrrev_b64 v[1:2], v1, -1
	v_cmp_lt_u32_e64 s6, 0x1bf, v0
	v_cmp_lt_u32_e64 s7, 0x1ff, v0
	;; [unrolled: 1-line block ×9, first 2 shown]
	v_dual_mov_b32 v5, 0 :: v_dual_mov_b32 v6, 0
	s_mov_b32 s16, 0
	s_waitcnt lgkmcnt(0)
	s_barrier
	buffer_gl0_inv
	s_branch .LBB191_35
.LBB191_34:                             ;   in Loop: Header=BB191_35 Depth=1
	s_or_b32 exec_lo, exec_lo, s15
	s_waitcnt lgkmcnt(0)
	s_barrier
	buffer_gl0_inv
	ds_load_b32 v2, v5 offset:49212
	v_add_nc_u32_e32 v18, 0x400, v18
	v_add_nc_u32_e32 v19, 0x2000, v19
	;; [unrolled: 1-line block ×3, first 2 shown]
	s_delay_alu instid0(VALU_DEP_3) | instskip(NEXT) | instid1(VALU_DEP_1)
	v_cmp_lt_u32_e64 s15, 0xbff, v18
	s_or_b32 s16, s15, s16
	s_waitcnt lgkmcnt(0)
	v_add_nc_u32_e32 v6, v2, v6
	s_and_not1_b32 exec_lo, exec_lo, s16
	s_cbranch_execz .LBB191_86
.LBB191_35:                             ; =>This Inner Loop Header: Depth=1
	ds_load_b32 v7, v17
	ds_load_b64 v[2:3], v19
	s_waitcnt lgkmcnt(0)
	s_barrier
	buffer_gl0_inv
	v_cmp_gt_i32_e64 s15, s33, v7
	s_delay_alu instid0(VALU_DEP_1) | instskip(NEXT) | instid1(SALU_CYCLE_1)
	s_bcnt1_i32_b32 s17, s15
	v_dual_mov_b32 v9, s17 :: v_dual_and_b32 v8, s15, v1
	s_delay_alu instid0(VALU_DEP_1)
	v_bcnt_u32_b32 v8, v8, 0
	ds_store_b32 v4, v9 offset:49152
	s_waitcnt lgkmcnt(0)
	s_barrier
	buffer_gl0_inv
	s_and_saveexec_b32 s17, s0
	s_cbranch_execnz .LBB191_52
; %bb.36:                               ;   in Loop: Header=BB191_35 Depth=1
	s_or_b32 exec_lo, exec_lo, s17
	s_and_saveexec_b32 s17, s1
	s_cbranch_execnz .LBB191_53
.LBB191_37:                             ;   in Loop: Header=BB191_35 Depth=1
	s_or_b32 exec_lo, exec_lo, s17
	s_and_saveexec_b32 s17, s2
	s_cbranch_execnz .LBB191_54
.LBB191_38:                             ;   in Loop: Header=BB191_35 Depth=1
	s_or_b32 exec_lo, exec_lo, s17
	s_and_saveexec_b32 s17, s3
	s_cbranch_execnz .LBB191_55
.LBB191_39:                             ;   in Loop: Header=BB191_35 Depth=1
	s_or_b32 exec_lo, exec_lo, s17
	s_and_saveexec_b32 s17, s4
	s_cbranch_execnz .LBB191_56
.LBB191_40:                             ;   in Loop: Header=BB191_35 Depth=1
	s_or_b32 exec_lo, exec_lo, s17
	s_and_saveexec_b32 s17, s5
	s_cbranch_execnz .LBB191_57
.LBB191_41:                             ;   in Loop: Header=BB191_35 Depth=1
	s_or_b32 exec_lo, exec_lo, s17
	s_and_saveexec_b32 s17, s6
	s_cbranch_execnz .LBB191_58
.LBB191_42:                             ;   in Loop: Header=BB191_35 Depth=1
	s_or_b32 exec_lo, exec_lo, s17
	s_and_saveexec_b32 s17, s7
	s_cbranch_execnz .LBB191_59
.LBB191_43:                             ;   in Loop: Header=BB191_35 Depth=1
	s_or_b32 exec_lo, exec_lo, s17
	s_and_saveexec_b32 s17, s8
	s_cbranch_execnz .LBB191_60
.LBB191_44:                             ;   in Loop: Header=BB191_35 Depth=1
	s_or_b32 exec_lo, exec_lo, s17
	s_and_saveexec_b32 s17, s9
	s_cbranch_execnz .LBB191_61
.LBB191_45:                             ;   in Loop: Header=BB191_35 Depth=1
	s_or_b32 exec_lo, exec_lo, s17
	s_and_saveexec_b32 s17, s10
	s_cbranch_execnz .LBB191_62
.LBB191_46:                             ;   in Loop: Header=BB191_35 Depth=1
	s_or_b32 exec_lo, exec_lo, s17
	s_and_saveexec_b32 s17, s11
	s_cbranch_execnz .LBB191_63
.LBB191_47:                             ;   in Loop: Header=BB191_35 Depth=1
	s_or_b32 exec_lo, exec_lo, s17
	s_and_saveexec_b32 s17, s12
	s_cbranch_execnz .LBB191_64
.LBB191_48:                             ;   in Loop: Header=BB191_35 Depth=1
	s_or_b32 exec_lo, exec_lo, s17
	s_and_saveexec_b32 s17, s13
	s_cbranch_execnz .LBB191_65
.LBB191_49:                             ;   in Loop: Header=BB191_35 Depth=1
	s_or_b32 exec_lo, exec_lo, s17
	s_and_saveexec_b32 s17, s14
	s_cbranch_execnz .LBB191_66
.LBB191_50:                             ;   in Loop: Header=BB191_35 Depth=1
	s_or_b32 exec_lo, exec_lo, s17
	s_and_saveexec_b32 s17, s15
	s_cbranch_execnz .LBB191_67
.LBB191_51:                             ;   in Loop: Header=BB191_35 Depth=1
	s_or_b32 exec_lo, exec_lo, s17
	s_and_saveexec_b32 s15, vcc_lo
	s_cbranch_execz .LBB191_34
	s_branch .LBB191_68
.LBB191_52:                             ;   in Loop: Header=BB191_35 Depth=1
	ds_load_b32 v9, v5 offset:49152
	s_waitcnt lgkmcnt(0)
	v_add_nc_u32_e32 v8, v9, v8
	s_or_b32 exec_lo, exec_lo, s17
	s_and_saveexec_b32 s17, s1
	s_cbranch_execz .LBB191_37
.LBB191_53:                             ;   in Loop: Header=BB191_35 Depth=1
	ds_load_b32 v9, v5 offset:49156
	s_waitcnt lgkmcnt(0)
	v_add_nc_u32_e32 v8, v9, v8
	s_or_b32 exec_lo, exec_lo, s17
	s_and_saveexec_b32 s17, s2
	s_cbranch_execz .LBB191_38
.LBB191_54:                             ;   in Loop: Header=BB191_35 Depth=1
	ds_load_b32 v9, v5 offset:49160
	s_waitcnt lgkmcnt(0)
	v_add_nc_u32_e32 v8, v9, v8
	s_or_b32 exec_lo, exec_lo, s17
	s_and_saveexec_b32 s17, s3
	s_cbranch_execz .LBB191_39
.LBB191_55:                             ;   in Loop: Header=BB191_35 Depth=1
	ds_load_b32 v9, v5 offset:49164
	s_waitcnt lgkmcnt(0)
	v_add_nc_u32_e32 v8, v9, v8
	s_or_b32 exec_lo, exec_lo, s17
	s_and_saveexec_b32 s17, s4
	s_cbranch_execz .LBB191_40
.LBB191_56:                             ;   in Loop: Header=BB191_35 Depth=1
	ds_load_b32 v9, v5 offset:49168
	s_waitcnt lgkmcnt(0)
	v_add_nc_u32_e32 v8, v9, v8
	s_or_b32 exec_lo, exec_lo, s17
	s_and_saveexec_b32 s17, s5
	s_cbranch_execz .LBB191_41
.LBB191_57:                             ;   in Loop: Header=BB191_35 Depth=1
	ds_load_b32 v9, v5 offset:49172
	s_waitcnt lgkmcnt(0)
	v_add_nc_u32_e32 v8, v9, v8
	s_or_b32 exec_lo, exec_lo, s17
	s_and_saveexec_b32 s17, s6
	s_cbranch_execz .LBB191_42
.LBB191_58:                             ;   in Loop: Header=BB191_35 Depth=1
	ds_load_b32 v9, v5 offset:49176
	s_waitcnt lgkmcnt(0)
	v_add_nc_u32_e32 v8, v9, v8
	s_or_b32 exec_lo, exec_lo, s17
	s_and_saveexec_b32 s17, s7
	s_cbranch_execz .LBB191_43
.LBB191_59:                             ;   in Loop: Header=BB191_35 Depth=1
	ds_load_b32 v9, v5 offset:49180
	s_waitcnt lgkmcnt(0)
	v_add_nc_u32_e32 v8, v9, v8
	s_or_b32 exec_lo, exec_lo, s17
	s_and_saveexec_b32 s17, s8
	s_cbranch_execz .LBB191_44
.LBB191_60:                             ;   in Loop: Header=BB191_35 Depth=1
	ds_load_b32 v9, v5 offset:49184
	s_waitcnt lgkmcnt(0)
	v_add_nc_u32_e32 v8, v9, v8
	s_or_b32 exec_lo, exec_lo, s17
	s_and_saveexec_b32 s17, s9
	s_cbranch_execz .LBB191_45
.LBB191_61:                             ;   in Loop: Header=BB191_35 Depth=1
	ds_load_b32 v9, v5 offset:49188
	s_waitcnt lgkmcnt(0)
	v_add_nc_u32_e32 v8, v9, v8
	s_or_b32 exec_lo, exec_lo, s17
	s_and_saveexec_b32 s17, s10
	s_cbranch_execz .LBB191_46
.LBB191_62:                             ;   in Loop: Header=BB191_35 Depth=1
	ds_load_b32 v9, v5 offset:49192
	s_waitcnt lgkmcnt(0)
	v_add_nc_u32_e32 v8, v9, v8
	s_or_b32 exec_lo, exec_lo, s17
	s_and_saveexec_b32 s17, s11
	s_cbranch_execz .LBB191_47
.LBB191_63:                             ;   in Loop: Header=BB191_35 Depth=1
	ds_load_b32 v9, v5 offset:49196
	s_waitcnt lgkmcnt(0)
	v_add_nc_u32_e32 v8, v9, v8
	s_or_b32 exec_lo, exec_lo, s17
	s_and_saveexec_b32 s17, s12
	s_cbranch_execz .LBB191_48
.LBB191_64:                             ;   in Loop: Header=BB191_35 Depth=1
	ds_load_b32 v9, v5 offset:49200
	s_waitcnt lgkmcnt(0)
	v_add_nc_u32_e32 v8, v9, v8
	s_or_b32 exec_lo, exec_lo, s17
	s_and_saveexec_b32 s17, s13
	s_cbranch_execz .LBB191_49
.LBB191_65:                             ;   in Loop: Header=BB191_35 Depth=1
	ds_load_b32 v9, v5 offset:49204
	s_waitcnt lgkmcnt(0)
	v_add_nc_u32_e32 v8, v9, v8
	s_or_b32 exec_lo, exec_lo, s17
	s_and_saveexec_b32 s17, s14
	s_cbranch_execz .LBB191_50
.LBB191_66:                             ;   in Loop: Header=BB191_35 Depth=1
	ds_load_b32 v9, v5 offset:49208
	s_waitcnt lgkmcnt(0)
	v_add_nc_u32_e32 v8, v9, v8
	s_or_b32 exec_lo, exec_lo, s17
	s_and_saveexec_b32 s17, s15
	s_cbranch_execz .LBB191_51
.LBB191_67:                             ;   in Loop: Header=BB191_35 Depth=1
	s_delay_alu instid0(VALU_DEP_1) | instskip(NEXT) | instid1(VALU_DEP_1)
	v_add3_u32 v9, v6, -1, v8
	v_lshl_add_u32 v10, v9, 2, 0
	v_lshl_add_u32 v9, v9, 3, 0
	ds_store_b32 v10, v7
	ds_store_b64 v9, v[2:3] offset:16384
	s_or_b32 exec_lo, exec_lo, s17
	s_and_saveexec_b32 s15, vcc_lo
	s_cbranch_execz .LBB191_34
.LBB191_68:                             ;   in Loop: Header=BB191_35 Depth=1
	ds_store_b32 v5, v8 offset:49212
	s_branch .LBB191_34
.LBB191_69:                             ;   in Loop: Header=BB191_70 Depth=1
	s_or_b32 exec_lo, exec_lo, s4
	v_add_co_u32 v3, vcc_lo, 0x400, v3
	v_add_co_ci_u32_e32 v4, vcc_lo, 0, v4, vcc_lo
	s_delay_alu instid0(VALU_DEP_1) | instskip(SKIP_1) | instid1(SALU_CYCLE_1)
	v_cmp_le_i64_e32 vcc_lo, s[0:1], v[3:4]
	s_or_b32 s3, vcc_lo, s3
	s_and_not1_b32 exec_lo, exec_lo, s3
	s_cbranch_execz .LBB191_32
.LBB191_70:                             ; =>This Loop Header: Depth=1
                                        ;     Child Loop BB191_72 Depth 2
                                        ;       Child Loop BB191_78 Depth 3
                                        ;       Child Loop BB191_84 Depth 3
	v_lshlrev_b64 v[5:6], 3, v[3:4]
	v_lshlrev_b64 v[7:8], 2, v[3:4]
	s_mov_b32 s4, 0
	s_delay_alu instid0(VALU_DEP_2) | instskip(NEXT) | instid1(VALU_DEP_3)
	v_add_co_u32 v5, vcc_lo, s20, v5
	v_add_co_ci_u32_e32 v6, vcc_lo, s21, v6, vcc_lo
	s_delay_alu instid0(VALU_DEP_3) | instskip(NEXT) | instid1(VALU_DEP_4)
	v_add_co_u32 v7, vcc_lo, s18, v7
	v_add_co_ci_u32_e32 v8, vcc_lo, s19, v8, vcc_lo
	global_load_b64 v[5:6], v[5:6], off
	global_load_b32 v7, v[7:8], off
	s_waitcnt vmcnt(1)
	v_mul_f64 v[5:6], v[1:2], v[5:6]
	s_waitcnt vmcnt(0)
	v_subrev_nc_u32_e32 v9, s27, v7
	s_delay_alu instid0(VALU_DEP_1) | instskip(NEXT) | instid1(VALU_DEP_1)
	v_mul_lo_u32 v7, 0x89, v9
	v_and_b32_e32 v10, 0xfff, v7
	s_branch .LBB191_72
.LBB191_71:                             ;   in Loop: Header=BB191_72 Depth=2
	s_or_b32 exec_lo, exec_lo, s5
	s_xor_b32 s5, s6, -1
	s_delay_alu instid0(SALU_CYCLE_1) | instskip(NEXT) | instid1(SALU_CYCLE_1)
	s_and_b32 s5, exec_lo, s5
	s_or_b32 s4, s5, s4
	s_delay_alu instid0(SALU_CYCLE_1)
	s_and_not1_b32 exec_lo, exec_lo, s4
	s_cbranch_execz .LBB191_69
.LBB191_72:                             ;   Parent Loop BB191_70 Depth=1
                                        ; =>  This Loop Header: Depth=2
                                        ;       Child Loop BB191_78 Depth 3
                                        ;       Child Loop BB191_84 Depth 3
	s_delay_alu instid0(VALU_DEP_1)
	v_lshl_add_u32 v7, v10, 2, 0
	s_mov_b32 s5, exec_lo
                                        ; implicit-def: $sgpr6
	ds_load_b32 v8, v7
	s_waitcnt lgkmcnt(0)
	v_cmpx_ne_u32_e64 v8, v9
	s_xor_b32 s5, exec_lo, s5
	s_cbranch_execz .LBB191_82
; %bb.73:                               ;   in Loop: Header=BB191_72 Depth=2
	s_mov_b32 s7, exec_lo
                                        ; implicit-def: $sgpr6
	v_cmpx_ne_u32_e64 s33, v8
	s_xor_b32 s7, exec_lo, s7
; %bb.74:                               ;   in Loop: Header=BB191_72 Depth=2
	v_add_nc_u32_e32 v7, 1, v10
	s_mov_b32 s6, -1
	s_delay_alu instid0(VALU_DEP_1)
	v_and_b32_e32 v10, 0xfff, v7
                                        ; implicit-def: $vgpr7
; %bb.75:                               ;   in Loop: Header=BB191_72 Depth=2
	s_and_not1_saveexec_b32 s7, s7
	s_cbranch_execz .LBB191_81
; %bb.76:                               ;   in Loop: Header=BB191_72 Depth=2
	v_mov_b32_e32 v8, s33
	s_mov_b32 s9, -1
	s_mov_b32 s8, exec_lo
	ds_cmpstore_rtn_b32 v8, v7, v9, v8
	s_waitcnt lgkmcnt(0)
	v_cmpx_eq_u32_e64 s33, v8
	s_cbranch_execz .LBB191_80
; %bb.77:                               ;   in Loop: Header=BB191_72 Depth=2
	v_lshlrev_b32_e32 v8, 2, v10
	s_mov_b32 s9, 0
	s_delay_alu instid0(VALU_DEP_1)
	v_add_nc_u32_e32 v11, v7, v8
	ds_load_b64 v[7:8], v11 offset:16384
.LBB191_78:                             ;   Parent Loop BB191_70 Depth=1
                                        ;     Parent Loop BB191_72 Depth=2
                                        ; =>    This Inner Loop Header: Depth=3
	s_waitcnt lgkmcnt(0)
	v_add_f64 v[12:13], v[7:8], v[5:6]
	ds_cmpstore_rtn_b64 v[12:13], v11, v[12:13], v[7:8] offset:16384
	s_waitcnt lgkmcnt(0)
	v_cmp_eq_u64_e32 vcc_lo, v[12:13], v[7:8]
	v_dual_mov_b32 v7, v12 :: v_dual_mov_b32 v8, v13
	s_or_b32 s9, vcc_lo, s9
	s_delay_alu instid0(SALU_CYCLE_1)
	s_and_not1_b32 exec_lo, exec_lo, s9
	s_cbranch_execnz .LBB191_78
; %bb.79:                               ;   in Loop: Header=BB191_72 Depth=2
	s_or_b32 exec_lo, exec_lo, s9
	s_delay_alu instid0(SALU_CYCLE_1)
	s_xor_b32 s9, exec_lo, -1
.LBB191_80:                             ;   in Loop: Header=BB191_72 Depth=2
	s_or_b32 exec_lo, exec_lo, s8
	s_delay_alu instid0(SALU_CYCLE_1) | instskip(SKIP_1) | instid1(SALU_CYCLE_1)
	s_and_not1_b32 s6, s6, exec_lo
	s_and_b32 s8, s9, exec_lo
	s_or_b32 s6, s6, s8
.LBB191_81:                             ;   in Loop: Header=BB191_72 Depth=2
	s_or_b32 exec_lo, exec_lo, s7
	s_delay_alu instid0(SALU_CYCLE_1)
	s_and_b32 s6, s6, exec_lo
                                        ; implicit-def: $vgpr7
.LBB191_82:                             ;   in Loop: Header=BB191_72 Depth=2
	s_and_not1_saveexec_b32 s5, s5
	s_cbranch_execz .LBB191_71
; %bb.83:                               ;   in Loop: Header=BB191_72 Depth=2
	v_lshlrev_b32_e32 v8, 2, v10
	s_mov_b32 s7, 0
	s_delay_alu instid0(VALU_DEP_1)
	v_add_nc_u32_e32 v11, v7, v8
	ds_load_b64 v[7:8], v11 offset:16384
.LBB191_84:                             ;   Parent Loop BB191_70 Depth=1
                                        ;     Parent Loop BB191_72 Depth=2
                                        ; =>    This Inner Loop Header: Depth=3
	s_waitcnt lgkmcnt(0)
	v_add_f64 v[12:13], v[7:8], v[5:6]
	ds_cmpstore_rtn_b64 v[12:13], v11, v[12:13], v[7:8] offset:16384
	s_waitcnt lgkmcnt(0)
	v_cmp_eq_u64_e32 vcc_lo, v[12:13], v[7:8]
	v_dual_mov_b32 v7, v12 :: v_dual_mov_b32 v8, v13
	s_or_b32 s7, vcc_lo, s7
	s_delay_alu instid0(SALU_CYCLE_1)
	s_and_not1_b32 exec_lo, exec_lo, s7
	s_cbranch_execnz .LBB191_84
; %bb.85:                               ;   in Loop: Header=BB191_72 Depth=2
	s_or_b32 exec_lo, exec_lo, s7
	s_delay_alu instid0(SALU_CYCLE_1)
	s_and_not1_b32 s6, s6, exec_lo
	s_branch .LBB191_71
.LBB191_86:
	s_or_b32 exec_lo, exec_lo, s16
	s_ashr_i32 s37, s36, 31
	s_mov_b32 s4, exec_lo
	s_lshl_b64 s[0:1], s[36:37], 3
	s_delay_alu instid0(SALU_CYCLE_1) | instskip(SKIP_4) | instid1(SALU_CYCLE_1)
	s_add_u32 s0, s22, s0
	s_addc_u32 s1, s23, s1
	s_load_b128 s[0:3], s[0:1], 0x0
	s_waitcnt lgkmcnt(0)
	s_sub_i32 s3, s2, s0
	v_cmpx_gt_i32_e64 s3, v0
	s_cbranch_execz .LBB191_96
; %bb.87:
	s_sub_u32 s4, s0, s26
	s_subb_u32 s5, s1, 0
	s_sub_i32 s0, s0, s2
	s_and_b32 s1, s3, 7
	s_cmp_lt_u32 s0, -7
	s_mov_b32 s8, 0
	s_cselect_b32 s2, -1, 0
	s_and_b32 s6, s3, -8
	s_cmp_lg_u32 s1, 0
	s_cselect_b32 s7, -1, 0
	s_branch .LBB191_89
.LBB191_88:                             ;   in Loop: Header=BB191_89 Depth=1
	s_delay_alu instid0(VALU_DEP_1) | instskip(SKIP_1) | instid1(VALU_DEP_1)
	v_lshlrev_b64 v[3:4], 3, v[3:4]
	v_add_nc_u32_e32 v0, 0x400, v0
	v_cmp_le_i32_e32 vcc_lo, s3, v0
	s_delay_alu instid0(VALU_DEP_3) | instskip(NEXT) | instid1(VALU_DEP_1)
	v_add_co_u32 v3, s0, s34, v3
	v_add_co_ci_u32_e64 v4, s0, s35, v4, s0
	s_or_b32 s8, vcc_lo, s8
	s_waitcnt lgkmcnt(0)
	global_store_b64 v[3:4], v[1:2], off
	s_and_not1_b32 exec_lo, exec_lo, s8
	s_cbranch_execz .LBB191_96
.LBB191_89:                             ; =>This Loop Header: Depth=1
                                        ;     Child Loop BB191_91 Depth 2
                                        ;     Child Loop BB191_95 Depth 2
	v_lshlrev_b32_e32 v1, 2, v0
	v_dual_mov_b32 v3, s4 :: v_dual_mov_b32 v4, s5
	s_and_not1_b32 vcc_lo, exec_lo, s2
	s_mov_b32 s0, 0
	s_delay_alu instid0(VALU_DEP_2) | instskip(NEXT) | instid1(VALU_DEP_1)
	v_add_nc_u32_e32 v2, 0, v1
	v_add_nc_u32_e32 v1, v2, v1
	ds_load_b32 v5, v2
	ds_load_b64 v[1:2], v1 offset:16384
	s_cbranch_vccnz .LBB191_93
; %bb.90:                               ;   in Loop: Header=BB191_89 Depth=1
	v_dual_mov_b32 v3, s4 :: v_dual_mov_b32 v4, s5
	s_mov_b32 s9, 0
	s_mov_b32 s10, 0
.LBB191_91:                             ;   Parent Loop BB191_89 Depth=1
                                        ; =>  This Inner Loop Header: Depth=2
	s_delay_alu instid0(SALU_CYCLE_1)
	v_mov_b32_e32 v12, s10
	s_add_i32 s9, s9, 8
	s_add_i32 s10, s10, 32
	s_cmp_eq_u32 s6, s9
	ds_load_2addr_b32 v[6:7], v12 offset1:1
	ds_load_2addr_b32 v[8:9], v12 offset0:2 offset1:3
	ds_load_2addr_b32 v[10:11], v12 offset0:4 offset1:5
	;; [unrolled: 1-line block ×3, first 2 shown]
	s_waitcnt lgkmcnt(3)
	v_cmp_gt_i32_e32 vcc_lo, v5, v6
	v_cndmask_b32_e64 v6, 0, 1, vcc_lo
	v_cmp_gt_i32_e32 vcc_lo, v5, v7
	v_cndmask_b32_e64 v7, 0, 1, vcc_lo
	s_waitcnt lgkmcnt(2)
	v_cmp_gt_i32_e32 vcc_lo, v5, v8
	v_cndmask_b32_e64 v8, 0, 1, vcc_lo
	v_cmp_gt_i32_e32 vcc_lo, v5, v9
	v_cndmask_b32_e64 v9, 0, 1, vcc_lo
	s_waitcnt lgkmcnt(1)
	v_cmp_gt_i32_e32 vcc_lo, v5, v10
	v_cndmask_b32_e64 v10, 0, 1, vcc_lo
	v_add_co_u32 v3, vcc_lo, v3, v6
	v_add_co_ci_u32_e32 v4, vcc_lo, 0, v4, vcc_lo
	v_cmp_gt_i32_e32 vcc_lo, v5, v11
	s_delay_alu instid0(VALU_DEP_3) | instskip(NEXT) | instid1(VALU_DEP_1)
	v_add_co_u32 v3, s0, v3, v7
	v_add_co_ci_u32_e64 v4, s0, 0, v4, s0
	v_cndmask_b32_e64 v6, 0, 1, vcc_lo
	s_delay_alu instid0(VALU_DEP_3) | instskip(NEXT) | instid1(VALU_DEP_3)
	v_add_co_u32 v3, vcc_lo, v3, v8
	v_add_co_ci_u32_e32 v4, vcc_lo, 0, v4, vcc_lo
	s_waitcnt lgkmcnt(0)
	v_cmp_gt_i32_e32 vcc_lo, v5, v12
	s_delay_alu instid0(VALU_DEP_3) | instskip(NEXT) | instid1(VALU_DEP_1)
	v_add_co_u32 v3, s0, v3, v9
	v_add_co_ci_u32_e64 v4, s0, 0, v4, s0
	v_cndmask_b32_e64 v7, 0, 1, vcc_lo
	s_delay_alu instid0(VALU_DEP_3) | instskip(NEXT) | instid1(VALU_DEP_3)
	v_add_co_u32 v3, vcc_lo, v3, v10
	v_add_co_ci_u32_e32 v4, vcc_lo, 0, v4, vcc_lo
	v_cmp_gt_i32_e32 vcc_lo, v5, v13
	s_delay_alu instid0(VALU_DEP_3) | instskip(NEXT) | instid1(VALU_DEP_1)
	v_add_co_u32 v3, s0, v3, v6
	v_add_co_ci_u32_e64 v4, s0, 0, v4, s0
	v_cndmask_b32_e64 v6, 0, 1, vcc_lo
	s_delay_alu instid0(VALU_DEP_3) | instskip(NEXT) | instid1(VALU_DEP_3)
	v_add_co_u32 v3, vcc_lo, v3, v7
	v_add_co_ci_u32_e32 v4, vcc_lo, 0, v4, vcc_lo
	s_delay_alu instid0(VALU_DEP_2) | instskip(NEXT) | instid1(VALU_DEP_2)
	v_add_co_u32 v3, vcc_lo, v3, v6
	v_add_co_ci_u32_e32 v4, vcc_lo, 0, v4, vcc_lo
	s_cbranch_scc0 .LBB191_91
; %bb.92:                               ;   in Loop: Header=BB191_89 Depth=1
	s_mov_b32 s0, s6
.LBB191_93:                             ;   in Loop: Header=BB191_89 Depth=1
	s_and_not1_b32 vcc_lo, exec_lo, s7
	s_cbranch_vccnz .LBB191_88
; %bb.94:                               ;   in Loop: Header=BB191_89 Depth=1
	s_lshl_b32 s0, s0, 2
	s_mov_b32 s9, s1
	s_add_i32 s0, s0, 0
.LBB191_95:                             ;   Parent Loop BB191_89 Depth=1
                                        ; =>  This Inner Loop Header: Depth=2
	s_delay_alu instid0(SALU_CYCLE_1)
	v_mov_b32_e32 v6, s0
	s_add_i32 s9, s9, -1
	s_add_i32 s0, s0, 4
	s_cmp_lg_u32 s9, 0
	ds_load_b32 v6, v6
	s_waitcnt lgkmcnt(0)
	v_cmp_gt_i32_e32 vcc_lo, v5, v6
	v_cndmask_b32_e64 v6, 0, 1, vcc_lo
	s_delay_alu instid0(VALU_DEP_1)
	v_add_co_u32 v3, vcc_lo, v3, v6
	v_add_co_ci_u32_e32 v4, vcc_lo, 0, v4, vcc_lo
	s_cbranch_scc1 .LBB191_95
	s_branch .LBB191_88
.LBB191_96:
	s_nop 0
	s_sendmsg sendmsg(MSG_DEALLOC_VGPRS)
	s_endpgm
	.section	.rodata,"a",@progbits
	.p2align	6, 0x0
	.amdhsa_kernel _ZN9rocsparseL41csrgemm_numeric_fill_block_per_row_kernelILj1024ELj64ELj4096ELj137ELj64ElidEEvT5_PKS1_S3_NS_24const_host_device_scalarIT6_EEPKT4_S3_PKS5_S9_S3_SB_S6_S9_S3_SB_S9_S3_PS5_21rocsparse_index_base_SD_SD_SD_bbb
		.amdhsa_group_segment_fixed_size 0
		.amdhsa_private_segment_fixed_size 0
		.amdhsa_kernarg_size 156
		.amdhsa_user_sgpr_count 15
		.amdhsa_user_sgpr_dispatch_ptr 0
		.amdhsa_user_sgpr_queue_ptr 0
		.amdhsa_user_sgpr_kernarg_segment_ptr 1
		.amdhsa_user_sgpr_dispatch_id 0
		.amdhsa_user_sgpr_private_segment_size 0
		.amdhsa_wavefront_size32 1
		.amdhsa_uses_dynamic_stack 0
		.amdhsa_enable_private_segment 0
		.amdhsa_system_sgpr_workgroup_id_x 1
		.amdhsa_system_sgpr_workgroup_id_y 0
		.amdhsa_system_sgpr_workgroup_id_z 0
		.amdhsa_system_sgpr_workgroup_info 0
		.amdhsa_system_vgpr_workitem_id 0
		.amdhsa_next_free_vgpr 28
		.amdhsa_next_free_sgpr 42
		.amdhsa_reserve_vcc 1
		.amdhsa_float_round_mode_32 0
		.amdhsa_float_round_mode_16_64 0
		.amdhsa_float_denorm_mode_32 3
		.amdhsa_float_denorm_mode_16_64 3
		.amdhsa_dx10_clamp 1
		.amdhsa_ieee_mode 1
		.amdhsa_fp16_overflow 0
		.amdhsa_workgroup_processor_mode 1
		.amdhsa_memory_ordered 1
		.amdhsa_forward_progress 0
		.amdhsa_shared_vgpr_count 0
		.amdhsa_exception_fp_ieee_invalid_op 0
		.amdhsa_exception_fp_denorm_src 0
		.amdhsa_exception_fp_ieee_div_zero 0
		.amdhsa_exception_fp_ieee_overflow 0
		.amdhsa_exception_fp_ieee_underflow 0
		.amdhsa_exception_fp_ieee_inexact 0
		.amdhsa_exception_int_div_zero 0
	.end_amdhsa_kernel
	.section	.text._ZN9rocsparseL41csrgemm_numeric_fill_block_per_row_kernelILj1024ELj64ELj4096ELj137ELj64ElidEEvT5_PKS1_S3_NS_24const_host_device_scalarIT6_EEPKT4_S3_PKS5_S9_S3_SB_S6_S9_S3_SB_S9_S3_PS5_21rocsparse_index_base_SD_SD_SD_bbb,"axG",@progbits,_ZN9rocsparseL41csrgemm_numeric_fill_block_per_row_kernelILj1024ELj64ELj4096ELj137ELj64ElidEEvT5_PKS1_S3_NS_24const_host_device_scalarIT6_EEPKT4_S3_PKS5_S9_S3_SB_S6_S9_S3_SB_S9_S3_PS5_21rocsparse_index_base_SD_SD_SD_bbb,comdat
.Lfunc_end191:
	.size	_ZN9rocsparseL41csrgemm_numeric_fill_block_per_row_kernelILj1024ELj64ELj4096ELj137ELj64ElidEEvT5_PKS1_S3_NS_24const_host_device_scalarIT6_EEPKT4_S3_PKS5_S9_S3_SB_S6_S9_S3_SB_S9_S3_PS5_21rocsparse_index_base_SD_SD_SD_bbb, .Lfunc_end191-_ZN9rocsparseL41csrgemm_numeric_fill_block_per_row_kernelILj1024ELj64ELj4096ELj137ELj64ElidEEvT5_PKS1_S3_NS_24const_host_device_scalarIT6_EEPKT4_S3_PKS5_S9_S3_SB_S6_S9_S3_SB_S9_S3_PS5_21rocsparse_index_base_SD_SD_SD_bbb
                                        ; -- End function
	.section	.AMDGPU.csdata,"",@progbits
; Kernel info:
; codeLenInByte = 3732
; NumSgprs: 44
; NumVgprs: 28
; ScratchSize: 0
; MemoryBound: 0
; FloatMode: 240
; IeeeMode: 1
; LDSByteSize: 0 bytes/workgroup (compile time only)
; SGPRBlocks: 5
; VGPRBlocks: 3
; NumSGPRsForWavesPerEU: 44
; NumVGPRsForWavesPerEU: 28
; Occupancy: 16
; WaveLimiterHint : 1
; COMPUTE_PGM_RSRC2:SCRATCH_EN: 0
; COMPUTE_PGM_RSRC2:USER_SGPR: 15
; COMPUTE_PGM_RSRC2:TRAP_HANDLER: 0
; COMPUTE_PGM_RSRC2:TGID_X_EN: 1
; COMPUTE_PGM_RSRC2:TGID_Y_EN: 0
; COMPUTE_PGM_RSRC2:TGID_Z_EN: 0
; COMPUTE_PGM_RSRC2:TIDIG_COMP_CNT: 0
	.section	.text._ZN9rocsparseL41csrgemm_numeric_fill_block_per_row_kernelILj1024ELj64ELj8192ELj137ELj32ElidEEvT5_PKS1_S3_NS_24const_host_device_scalarIT6_EEPKT4_S3_PKS5_S9_S3_SB_S6_S9_S3_SB_S9_S3_PS5_21rocsparse_index_base_SD_SD_SD_bbb,"axG",@progbits,_ZN9rocsparseL41csrgemm_numeric_fill_block_per_row_kernelILj1024ELj64ELj8192ELj137ELj32ElidEEvT5_PKS1_S3_NS_24const_host_device_scalarIT6_EEPKT4_S3_PKS5_S9_S3_SB_S6_S9_S3_SB_S9_S3_PS5_21rocsparse_index_base_SD_SD_SD_bbb,comdat
	.globl	_ZN9rocsparseL41csrgemm_numeric_fill_block_per_row_kernelILj1024ELj64ELj8192ELj137ELj32ElidEEvT5_PKS1_S3_NS_24const_host_device_scalarIT6_EEPKT4_S3_PKS5_S9_S3_SB_S6_S9_S3_SB_S9_S3_PS5_21rocsparse_index_base_SD_SD_SD_bbb ; -- Begin function _ZN9rocsparseL41csrgemm_numeric_fill_block_per_row_kernelILj1024ELj64ELj8192ELj137ELj32ElidEEvT5_PKS1_S3_NS_24const_host_device_scalarIT6_EEPKT4_S3_PKS5_S9_S3_SB_S6_S9_S3_SB_S9_S3_PS5_21rocsparse_index_base_SD_SD_SD_bbb
	.p2align	8
	.type	_ZN9rocsparseL41csrgemm_numeric_fill_block_per_row_kernelILj1024ELj64ELj8192ELj137ELj32ElidEEvT5_PKS1_S3_NS_24const_host_device_scalarIT6_EEPKT4_S3_PKS5_S9_S3_SB_S6_S9_S3_SB_S9_S3_PS5_21rocsparse_index_base_SD_SD_SD_bbb,@function
_ZN9rocsparseL41csrgemm_numeric_fill_block_per_row_kernelILj1024ELj64ELj8192ELj137ELj32ElidEEvT5_PKS1_S3_NS_24const_host_device_scalarIT6_EEPKT4_S3_PKS5_S9_S3_SB_S6_S9_S3_SB_S9_S3_PS5_21rocsparse_index_base_SD_SD_SD_bbb: ; @_ZN9rocsparseL41csrgemm_numeric_fill_block_per_row_kernelILj1024ELj64ELj8192ELj137ELj32ElidEEvT5_PKS1_S3_NS_24const_host_device_scalarIT6_EEPKT4_S3_PKS5_S9_S3_SB_S6_S9_S3_SB_S9_S3_PS5_21rocsparse_index_base_SD_SD_SD_bbb
; %bb.0:
	s_clause 0x4
	s_load_b32 s11, s[0:1], 0x98
	s_load_b64 s[8:9], s[0:1], 0x18
	s_load_b128 s[4:7], s[0:1], 0x8
	s_load_b128 s[36:39], s[0:1], 0x88
	s_load_b64 s[2:3], s[0:1], 0x50
	s_waitcnt lgkmcnt(0)
	s_and_b32 s10, 1, s11
	s_bitcmp1_b32 s11, 16
	s_cselect_b32 s12, -1, 0
	s_cmp_eq_u32 s10, 1
	s_cselect_b32 s10, -1, 0
	s_delay_alu instid0(SALU_CYCLE_1)
	s_and_b32 s13, s10, exec_lo
	s_cselect_b32 s17, s9, 0
	s_cselect_b32 s16, s8, 0
	s_xor_b32 s13, s10, -1
	v_dual_mov_b32 v3, s16 :: v_dual_mov_b32 v4, s17
	s_or_b32 s13, s13, s12
	s_delay_alu instid0(SALU_CYCLE_1)
	s_and_b32 vcc_lo, exec_lo, s13
	s_cbranch_vccnz .LBB192_2
; %bb.1:
	v_dual_mov_b32 v1, s8 :: v_dual_mov_b32 v2, s9
	flat_load_b64 v[3:4], v[1:2]
.LBB192_2:
	s_bitcmp1_b32 s11, 8
	s_cselect_b32 s14, -1, 0
	s_delay_alu instid0(SALU_CYCLE_1)
	s_and_b32 s8, s14, exec_lo
	s_cselect_b32 s9, s3, 0
	s_cselect_b32 s8, s2, 0
	s_xor_b32 s11, s14, -1
	v_dual_mov_b32 v1, s8 :: v_dual_mov_b32 v2, s9
	s_or_b32 s11, s11, s12
	s_delay_alu instid0(SALU_CYCLE_1)
	s_and_b32 vcc_lo, exec_lo, s11
	s_cbranch_vccnz .LBB192_4
; %bb.3:
	v_dual_mov_b32 v1, s2 :: v_dual_mov_b32 v2, s3
	flat_load_b64 v[1:2], v[1:2]
.LBB192_4:
	s_load_b32 s33, s[0:1], 0x0
	s_mov_b32 s2, 0
	s_delay_alu instid0(SALU_CYCLE_1) | instskip(NEXT) | instid1(SALU_CYCLE_1)
	s_mov_b32 s3, s2
	v_dual_mov_b32 v6, s3 :: v_dual_lshlrev_b32 v7, 2, v0
	v_dual_mov_b32 v5, s2 :: v_dual_lshlrev_b32 v18, 3, v0
	s_delay_alu instid0(VALU_DEP_2) | instskip(NEXT) | instid1(VALU_DEP_2)
	v_add_nc_u32_e32 v17, 0, v7
	v_add3_u32 v8, 0, 0x8000, v18
	ds_store_2addr_stride64_b64 v8, v[5:6], v[5:6] offset0:16 offset1:32
	ds_store_2addr_stride64_b64 v8, v[5:6], v[5:6] offset0:48 offset1:64
	;; [unrolled: 1-line block ×3, first 2 shown]
	s_waitcnt lgkmcnt(0)
	v_dual_mov_b32 v10, s33 :: v_dual_add_nc_u32 v7, v17, v7
	v_dual_mov_b32 v12, s33 :: v_dual_mov_b32 v9, s33
	v_dual_mov_b32 v14, s33 :: v_dual_mov_b32 v11, s33
	v_dual_mov_b32 v16, s33 :: v_dual_mov_b32 v13, s33
	v_mov_b32_e32 v15, s33
	ds_store_b64 v7, v[5:6] offset:32768
	ds_store_b64 v8, v[5:6] offset:57344
	ds_store_2addr_stride64_b32 v17, v9, v10 offset1:16
	ds_store_2addr_stride64_b32 v17, v11, v12 offset0:32 offset1:48
	ds_store_2addr_stride64_b32 v17, v13, v14 offset0:64 offset1:80
	;; [unrolled: 1-line block ×3, first 2 shown]
	s_waitcnt vmcnt(0) lgkmcnt(0)
	s_barrier
	buffer_gl0_inv
	s_load_b32 s3, s[4:5], 0x0
	s_mov_b32 s5, s2
	s_waitcnt lgkmcnt(0)
	s_add_i32 s4, s3, s15
	s_delay_alu instid0(SALU_CYCLE_1) | instskip(NEXT) | instid1(SALU_CYCLE_1)
	s_lshl_b64 s[2:3], s[4:5], 2
	s_add_u32 s2, s6, s2
	s_addc_u32 s3, s7, s3
	s_and_not1_b32 vcc_lo, exec_lo, s10
	s_load_b32 s34, s[2:3], 0x0
	s_cbranch_vccnz .LBB192_28
; %bb.5:
	s_load_b64 s[2:3], s[0:1], 0x20
	s_waitcnt lgkmcnt(0)
	s_ashr_i32 s35, s34, 31
	v_lshrrev_b32_e32 v5, 6, v0
	s_lshl_b64 s[4:5], s[34:35], 3
	s_mov_b32 s15, exec_lo
	s_add_u32 s2, s2, s4
	s_addc_u32 s3, s3, s5
	s_load_b128 s[4:7], s[2:3], 0x0
	v_sub_co_u32 v5, s2, v5, s36
	s_delay_alu instid0(VALU_DEP_1) | instskip(SKIP_1) | instid1(VALU_DEP_2)
	v_sub_co_ci_u32_e64 v6, null, 0, 0, s2
	s_waitcnt lgkmcnt(0)
	v_add_co_u32 v5, vcc_lo, s4, v5
	s_delay_alu instid0(VALU_DEP_2)
	v_add_co_ci_u32_e32 v6, vcc_lo, s5, v6, vcc_lo
	s_sub_u32 s2, s6, s36
	s_subb_u32 s3, s7, 0
	s_delay_alu instid0(VALU_DEP_1) | instid1(SALU_CYCLE_1)
	v_cmpx_gt_i64_e64 s[2:3], v[5:6]
	s_cbranch_execz .LBB192_27
; %bb.6:
	s_clause 0x1
	s_load_b64 s[12:13], s[0:1], 0x48
	s_load_b256 s[4:11], s[0:1], 0x28
	v_and_b32_e32 v7, 63, v0
	s_mov_b32 s17, s37
	s_delay_alu instid0(VALU_DEP_1) | instskip(NEXT) | instid1(VALU_DEP_1)
	v_sub_co_u32 v19, s16, v7, s37
	v_sub_co_ci_u32_e64 v20, null, 0, 0, s16
	s_mov_b32 s16, 0
	s_branch .LBB192_8
.LBB192_7:                              ;   in Loop: Header=BB192_8 Depth=1
	s_or_b32 exec_lo, exec_lo, s18
	v_add_co_u32 v5, vcc_lo, v5, 16
	v_add_co_ci_u32_e32 v6, vcc_lo, 0, v6, vcc_lo
	s_delay_alu instid0(VALU_DEP_1) | instskip(SKIP_1) | instid1(SALU_CYCLE_1)
	v_cmp_le_i64_e32 vcc_lo, s[2:3], v[5:6]
	s_or_b32 s16, vcc_lo, s16
	s_and_not1_b32 exec_lo, exec_lo, s16
	s_cbranch_execz .LBB192_27
.LBB192_8:                              ; =>This Loop Header: Depth=1
                                        ;     Child Loop BB192_11 Depth 2
                                        ;       Child Loop BB192_13 Depth 3
                                        ;         Child Loop BB192_19 Depth 4
                                        ;         Child Loop BB192_25 Depth 4
	v_lshlrev_b64 v[7:8], 2, v[5:6]
	s_mov_b32 s18, exec_lo
	s_waitcnt lgkmcnt(0)
	s_delay_alu instid0(VALU_DEP_1) | instskip(NEXT) | instid1(VALU_DEP_2)
	v_add_co_u32 v7, vcc_lo, s4, v7
	v_add_co_ci_u32_e32 v8, vcc_lo, s5, v8, vcc_lo
	global_load_b32 v7, v[7:8], off
	s_waitcnt vmcnt(0)
	v_subrev_nc_u32_e32 v7, s36, v7
	s_delay_alu instid0(VALU_DEP_1) | instskip(NEXT) | instid1(VALU_DEP_1)
	v_ashrrev_i32_e32 v8, 31, v7
	v_lshlrev_b64 v[7:8], 3, v[7:8]
	s_delay_alu instid0(VALU_DEP_1) | instskip(NEXT) | instid1(VALU_DEP_2)
	v_add_co_u32 v7, vcc_lo, s8, v7
	v_add_co_ci_u32_e32 v8, vcc_lo, s9, v8, vcc_lo
	global_load_b128 v[9:12], v[7:8], off
	s_waitcnt vmcnt(0)
	v_sub_co_u32 v7, vcc_lo, v11, s17
	v_subrev_co_ci_u32_e32 v8, vcc_lo, 0, v12, vcc_lo
	v_add_co_u32 v9, vcc_lo, v9, v19
	v_add_co_ci_u32_e32 v10, vcc_lo, v10, v20, vcc_lo
	s_delay_alu instid0(VALU_DEP_1)
	v_cmpx_lt_i64_e64 v[9:10], v[7:8]
	s_cbranch_execz .LBB192_7
; %bb.9:                                ;   in Loop: Header=BB192_8 Depth=1
	v_lshlrev_b64 v[11:12], 3, v[5:6]
	s_mov_b32 s19, 0
	s_delay_alu instid0(VALU_DEP_1) | instskip(NEXT) | instid1(VALU_DEP_2)
	v_add_co_u32 v11, vcc_lo, s6, v11
	v_add_co_ci_u32_e32 v12, vcc_lo, s7, v12, vcc_lo
	global_load_b64 v[11:12], v[11:12], off
	s_waitcnt vmcnt(0)
	v_mul_f64 v[11:12], v[3:4], v[11:12]
	s_branch .LBB192_11
.LBB192_10:                             ;   in Loop: Header=BB192_11 Depth=2
	s_or_b32 exec_lo, exec_lo, s20
	v_add_co_u32 v9, vcc_lo, v9, 64
	v_add_co_ci_u32_e32 v10, vcc_lo, 0, v10, vcc_lo
	s_delay_alu instid0(VALU_DEP_1) | instskip(SKIP_1) | instid1(SALU_CYCLE_1)
	v_cmp_ge_i64_e32 vcc_lo, v[9:10], v[7:8]
	s_or_b32 s19, vcc_lo, s19
	s_and_not1_b32 exec_lo, exec_lo, s19
	s_cbranch_execz .LBB192_7
.LBB192_11:                             ;   Parent Loop BB192_8 Depth=1
                                        ; =>  This Loop Header: Depth=2
                                        ;       Child Loop BB192_13 Depth 3
                                        ;         Child Loop BB192_19 Depth 4
                                        ;         Child Loop BB192_25 Depth 4
	v_lshlrev_b64 v[13:14], 3, v[9:10]
	v_lshlrev_b64 v[15:16], 2, v[9:10]
	s_mov_b32 s20, 0
	s_delay_alu instid0(VALU_DEP_2) | instskip(NEXT) | instid1(VALU_DEP_3)
	v_add_co_u32 v13, vcc_lo, s12, v13
	v_add_co_ci_u32_e32 v14, vcc_lo, s13, v14, vcc_lo
	s_delay_alu instid0(VALU_DEP_3) | instskip(NEXT) | instid1(VALU_DEP_4)
	v_add_co_u32 v15, vcc_lo, s10, v15
	v_add_co_ci_u32_e32 v16, vcc_lo, s11, v16, vcc_lo
	global_load_b64 v[13:14], v[13:14], off
	global_load_b32 v15, v[15:16], off
	s_waitcnt vmcnt(1)
	v_mul_f64 v[13:14], v[11:12], v[13:14]
	s_waitcnt vmcnt(0)
	v_subrev_nc_u32_e32 v21, s37, v15
	s_delay_alu instid0(VALU_DEP_1) | instskip(NEXT) | instid1(VALU_DEP_1)
	v_mul_lo_u32 v15, 0x89, v21
	v_and_b32_e32 v22, 0x1fff, v15
	s_branch .LBB192_13
.LBB192_12:                             ;   in Loop: Header=BB192_13 Depth=3
	s_or_b32 exec_lo, exec_lo, s21
	s_xor_b32 s21, s22, -1
	s_delay_alu instid0(SALU_CYCLE_1) | instskip(NEXT) | instid1(SALU_CYCLE_1)
	s_and_b32 s21, exec_lo, s21
	s_or_b32 s20, s21, s20
	s_delay_alu instid0(SALU_CYCLE_1)
	s_and_not1_b32 exec_lo, exec_lo, s20
	s_cbranch_execz .LBB192_10
.LBB192_13:                             ;   Parent Loop BB192_8 Depth=1
                                        ;     Parent Loop BB192_11 Depth=2
                                        ; =>    This Loop Header: Depth=3
                                        ;         Child Loop BB192_19 Depth 4
                                        ;         Child Loop BB192_25 Depth 4
	s_delay_alu instid0(VALU_DEP_1)
	v_lshl_add_u32 v15, v22, 2, 0
	s_mov_b32 s21, exec_lo
                                        ; implicit-def: $sgpr22
	ds_load_b32 v16, v15
	s_waitcnt lgkmcnt(0)
	v_cmpx_ne_u32_e64 v16, v21
	s_xor_b32 s21, exec_lo, s21
	s_cbranch_execz .LBB192_23
; %bb.14:                               ;   in Loop: Header=BB192_13 Depth=3
	s_mov_b32 s23, exec_lo
                                        ; implicit-def: $sgpr22
	v_cmpx_ne_u32_e64 s33, v16
	s_xor_b32 s23, exec_lo, s23
; %bb.15:                               ;   in Loop: Header=BB192_13 Depth=3
	v_add_nc_u32_e32 v15, 1, v22
	s_mov_b32 s22, -1
	s_delay_alu instid0(VALU_DEP_1)
	v_and_b32_e32 v22, 0x1fff, v15
                                        ; implicit-def: $vgpr15
; %bb.16:                               ;   in Loop: Header=BB192_13 Depth=3
	s_and_not1_saveexec_b32 s23, s23
	s_cbranch_execz .LBB192_22
; %bb.17:                               ;   in Loop: Header=BB192_13 Depth=3
	v_mov_b32_e32 v16, s33
	s_mov_b32 s25, -1
	s_mov_b32 s24, exec_lo
	ds_cmpstore_rtn_b32 v16, v15, v21, v16
	s_waitcnt lgkmcnt(0)
	v_cmpx_eq_u32_e64 s33, v16
	s_cbranch_execz .LBB192_21
; %bb.18:                               ;   in Loop: Header=BB192_13 Depth=3
	v_lshlrev_b32_e32 v16, 2, v22
	s_mov_b32 s25, 0
	s_delay_alu instid0(VALU_DEP_1)
	v_add_nc_u32_e32 v23, v15, v16
	ds_load_b64 v[15:16], v23 offset:32768
.LBB192_19:                             ;   Parent Loop BB192_8 Depth=1
                                        ;     Parent Loop BB192_11 Depth=2
                                        ;       Parent Loop BB192_13 Depth=3
                                        ; =>      This Inner Loop Header: Depth=4
	s_waitcnt lgkmcnt(0)
	v_add_f64 v[24:25], v[15:16], v[13:14]
	ds_cmpstore_rtn_b64 v[24:25], v23, v[24:25], v[15:16] offset:32768
	s_waitcnt lgkmcnt(0)
	v_cmp_eq_u64_e32 vcc_lo, v[24:25], v[15:16]
	v_dual_mov_b32 v15, v24 :: v_dual_mov_b32 v16, v25
	s_or_b32 s25, vcc_lo, s25
	s_delay_alu instid0(SALU_CYCLE_1)
	s_and_not1_b32 exec_lo, exec_lo, s25
	s_cbranch_execnz .LBB192_19
; %bb.20:                               ;   in Loop: Header=BB192_13 Depth=3
	s_or_b32 exec_lo, exec_lo, s25
	s_delay_alu instid0(SALU_CYCLE_1)
	s_xor_b32 s25, exec_lo, -1
.LBB192_21:                             ;   in Loop: Header=BB192_13 Depth=3
	s_or_b32 exec_lo, exec_lo, s24
	s_delay_alu instid0(SALU_CYCLE_1) | instskip(SKIP_1) | instid1(SALU_CYCLE_1)
	s_and_not1_b32 s22, s22, exec_lo
	s_and_b32 s24, s25, exec_lo
	s_or_b32 s22, s22, s24
.LBB192_22:                             ;   in Loop: Header=BB192_13 Depth=3
	s_or_b32 exec_lo, exec_lo, s23
	s_delay_alu instid0(SALU_CYCLE_1)
	s_and_b32 s22, s22, exec_lo
                                        ; implicit-def: $vgpr15
.LBB192_23:                             ;   in Loop: Header=BB192_13 Depth=3
	s_and_not1_saveexec_b32 s21, s21
	s_cbranch_execz .LBB192_12
; %bb.24:                               ;   in Loop: Header=BB192_13 Depth=3
	v_lshlrev_b32_e32 v16, 2, v22
	s_mov_b32 s23, 0
	s_delay_alu instid0(VALU_DEP_1)
	v_add_nc_u32_e32 v23, v15, v16
	ds_load_b64 v[15:16], v23 offset:32768
.LBB192_25:                             ;   Parent Loop BB192_8 Depth=1
                                        ;     Parent Loop BB192_11 Depth=2
                                        ;       Parent Loop BB192_13 Depth=3
                                        ; =>      This Inner Loop Header: Depth=4
	s_waitcnt lgkmcnt(0)
	v_add_f64 v[24:25], v[15:16], v[13:14]
	ds_cmpstore_rtn_b64 v[24:25], v23, v[24:25], v[15:16] offset:32768
	s_waitcnt lgkmcnt(0)
	v_cmp_eq_u64_e32 vcc_lo, v[24:25], v[15:16]
	v_dual_mov_b32 v15, v24 :: v_dual_mov_b32 v16, v25
	s_or_b32 s23, vcc_lo, s23
	s_delay_alu instid0(SALU_CYCLE_1)
	s_and_not1_b32 exec_lo, exec_lo, s23
	s_cbranch_execnz .LBB192_25
; %bb.26:                               ;   in Loop: Header=BB192_13 Depth=3
	s_or_b32 exec_lo, exec_lo, s23
	s_delay_alu instid0(SALU_CYCLE_1)
	s_and_not1_b32 s22, s22, exec_lo
	s_branch .LBB192_12
.LBB192_27:
	s_or_b32 exec_lo, exec_lo, s15
.LBB192_28:
	s_clause 0x1
	s_load_b64 s[36:37], s[0:1], 0x80
	s_load_b64 s[40:41], s[0:1], 0x70
	s_and_not1_b32 vcc_lo, exec_lo, s14
	s_cbranch_vccnz .LBB192_49
; %bb.29:
	s_load_b64 s[2:3], s[0:1], 0x58
	s_waitcnt lgkmcnt(0)
	s_ashr_i32 s35, s34, 31
	s_delay_alu instid0(SALU_CYCLE_1) | instskip(NEXT) | instid1(SALU_CYCLE_1)
	s_lshl_b64 s[4:5], s[34:35], 3
	s_add_u32 s2, s2, s4
	s_addc_u32 s3, s3, s5
	s_load_b128 s[4:7], s[2:3], 0x0
	v_sub_co_u32 v3, s2, v0, s39
	s_delay_alu instid0(VALU_DEP_1) | instskip(SKIP_1) | instid1(VALU_DEP_2)
	v_sub_co_ci_u32_e64 v4, null, 0, 0, s2
	s_waitcnt lgkmcnt(0)
	v_add_co_u32 v3, vcc_lo, s4, v3
	s_delay_alu instid0(VALU_DEP_2)
	v_add_co_ci_u32_e32 v4, vcc_lo, s5, v4, vcc_lo
	s_sub_u32 s4, s6, s39
	s_subb_u32 s5, s7, 0
	s_mov_b32 s7, 0
	s_mov_b32 s6, exec_lo
	v_cmpx_gt_i64_e64 s[4:5], v[3:4]
	s_cbranch_execz .LBB192_48
; %bb.30:
	s_load_b128 s[0:3], s[0:1], 0x60
	s_branch .LBB192_32
.LBB192_31:                             ;   in Loop: Header=BB192_32 Depth=1
	s_or_b32 exec_lo, exec_lo, s8
	v_add_co_u32 v3, vcc_lo, 0x400, v3
	v_add_co_ci_u32_e32 v4, vcc_lo, 0, v4, vcc_lo
	s_delay_alu instid0(VALU_DEP_1) | instskip(SKIP_1) | instid1(SALU_CYCLE_1)
	v_cmp_le_i64_e32 vcc_lo, s[4:5], v[3:4]
	s_or_b32 s7, vcc_lo, s7
	s_and_not1_b32 exec_lo, exec_lo, s7
	s_cbranch_execz .LBB192_48
.LBB192_32:                             ; =>This Loop Header: Depth=1
                                        ;     Child Loop BB192_34 Depth 2
                                        ;       Child Loop BB192_40 Depth 3
                                        ;       Child Loop BB192_46 Depth 3
	v_lshlrev_b64 v[5:6], 3, v[3:4]
	v_lshlrev_b64 v[7:8], 2, v[3:4]
	s_mov_b32 s8, 0
	s_waitcnt lgkmcnt(0)
	s_delay_alu instid0(VALU_DEP_2) | instskip(NEXT) | instid1(VALU_DEP_3)
	v_add_co_u32 v5, vcc_lo, s2, v5
	v_add_co_ci_u32_e32 v6, vcc_lo, s3, v6, vcc_lo
	s_delay_alu instid0(VALU_DEP_3)
	v_add_co_u32 v7, vcc_lo, s0, v7
	v_add_co_ci_u32_e32 v8, vcc_lo, s1, v8, vcc_lo
	global_load_b64 v[5:6], v[5:6], off
	global_load_b32 v7, v[7:8], off
	s_waitcnt vmcnt(1)
	v_mul_f64 v[5:6], v[1:2], v[5:6]
	s_waitcnt vmcnt(0)
	v_subrev_nc_u32_e32 v9, s39, v7
	s_delay_alu instid0(VALU_DEP_1) | instskip(NEXT) | instid1(VALU_DEP_1)
	v_mul_lo_u32 v7, 0x89, v9
	v_and_b32_e32 v10, 0x1fff, v7
	s_branch .LBB192_34
.LBB192_33:                             ;   in Loop: Header=BB192_34 Depth=2
	s_or_b32 exec_lo, exec_lo, s9
	s_xor_b32 s9, s10, -1
	s_delay_alu instid0(SALU_CYCLE_1) | instskip(NEXT) | instid1(SALU_CYCLE_1)
	s_and_b32 s9, exec_lo, s9
	s_or_b32 s8, s9, s8
	s_delay_alu instid0(SALU_CYCLE_1)
	s_and_not1_b32 exec_lo, exec_lo, s8
	s_cbranch_execz .LBB192_31
.LBB192_34:                             ;   Parent Loop BB192_32 Depth=1
                                        ; =>  This Loop Header: Depth=2
                                        ;       Child Loop BB192_40 Depth 3
                                        ;       Child Loop BB192_46 Depth 3
	s_delay_alu instid0(VALU_DEP_1)
	v_lshl_add_u32 v7, v10, 2, 0
	s_mov_b32 s9, exec_lo
                                        ; implicit-def: $sgpr10
	ds_load_b32 v8, v7
	s_waitcnt lgkmcnt(0)
	v_cmpx_ne_u32_e64 v8, v9
	s_xor_b32 s9, exec_lo, s9
	s_cbranch_execz .LBB192_44
; %bb.35:                               ;   in Loop: Header=BB192_34 Depth=2
	s_mov_b32 s11, exec_lo
                                        ; implicit-def: $sgpr10
	v_cmpx_ne_u32_e64 s33, v8
	s_xor_b32 s11, exec_lo, s11
; %bb.36:                               ;   in Loop: Header=BB192_34 Depth=2
	v_add_nc_u32_e32 v7, 1, v10
	s_mov_b32 s10, -1
	s_delay_alu instid0(VALU_DEP_1)
	v_and_b32_e32 v10, 0x1fff, v7
                                        ; implicit-def: $vgpr7
; %bb.37:                               ;   in Loop: Header=BB192_34 Depth=2
	s_and_not1_saveexec_b32 s11, s11
	s_cbranch_execz .LBB192_43
; %bb.38:                               ;   in Loop: Header=BB192_34 Depth=2
	v_mov_b32_e32 v8, s33
	s_mov_b32 s13, -1
	s_mov_b32 s12, exec_lo
	ds_cmpstore_rtn_b32 v8, v7, v9, v8
	s_waitcnt lgkmcnt(0)
	v_cmpx_eq_u32_e64 s33, v8
	s_cbranch_execz .LBB192_42
; %bb.39:                               ;   in Loop: Header=BB192_34 Depth=2
	v_lshlrev_b32_e32 v8, 2, v10
	s_mov_b32 s13, 0
	s_delay_alu instid0(VALU_DEP_1)
	v_add_nc_u32_e32 v11, v7, v8
	ds_load_b64 v[7:8], v11 offset:32768
.LBB192_40:                             ;   Parent Loop BB192_32 Depth=1
                                        ;     Parent Loop BB192_34 Depth=2
                                        ; =>    This Inner Loop Header: Depth=3
	s_waitcnt lgkmcnt(0)
	v_add_f64 v[12:13], v[7:8], v[5:6]
	ds_cmpstore_rtn_b64 v[12:13], v11, v[12:13], v[7:8] offset:32768
	s_waitcnt lgkmcnt(0)
	v_cmp_eq_u64_e32 vcc_lo, v[12:13], v[7:8]
	v_dual_mov_b32 v7, v12 :: v_dual_mov_b32 v8, v13
	s_or_b32 s13, vcc_lo, s13
	s_delay_alu instid0(SALU_CYCLE_1)
	s_and_not1_b32 exec_lo, exec_lo, s13
	s_cbranch_execnz .LBB192_40
; %bb.41:                               ;   in Loop: Header=BB192_34 Depth=2
	s_or_b32 exec_lo, exec_lo, s13
	s_delay_alu instid0(SALU_CYCLE_1)
	s_xor_b32 s13, exec_lo, -1
.LBB192_42:                             ;   in Loop: Header=BB192_34 Depth=2
	s_or_b32 exec_lo, exec_lo, s12
	s_delay_alu instid0(SALU_CYCLE_1) | instskip(SKIP_1) | instid1(SALU_CYCLE_1)
	s_and_not1_b32 s10, s10, exec_lo
	s_and_b32 s12, s13, exec_lo
	s_or_b32 s10, s10, s12
.LBB192_43:                             ;   in Loop: Header=BB192_34 Depth=2
	s_or_b32 exec_lo, exec_lo, s11
	s_delay_alu instid0(SALU_CYCLE_1)
	s_and_b32 s10, s10, exec_lo
                                        ; implicit-def: $vgpr7
.LBB192_44:                             ;   in Loop: Header=BB192_34 Depth=2
	s_and_not1_saveexec_b32 s9, s9
	s_cbranch_execz .LBB192_33
; %bb.45:                               ;   in Loop: Header=BB192_34 Depth=2
	v_lshlrev_b32_e32 v8, 2, v10
	s_mov_b32 s11, 0
	s_delay_alu instid0(VALU_DEP_1)
	v_add_nc_u32_e32 v11, v7, v8
	ds_load_b64 v[7:8], v11 offset:32768
.LBB192_46:                             ;   Parent Loop BB192_32 Depth=1
                                        ;     Parent Loop BB192_34 Depth=2
                                        ; =>    This Inner Loop Header: Depth=3
	s_waitcnt lgkmcnt(0)
	v_add_f64 v[12:13], v[7:8], v[5:6]
	ds_cmpstore_rtn_b64 v[12:13], v11, v[12:13], v[7:8] offset:32768
	s_waitcnt lgkmcnt(0)
	v_cmp_eq_u64_e32 vcc_lo, v[12:13], v[7:8]
	v_dual_mov_b32 v7, v12 :: v_dual_mov_b32 v8, v13
	s_or_b32 s11, vcc_lo, s11
	s_delay_alu instid0(SALU_CYCLE_1)
	s_and_not1_b32 exec_lo, exec_lo, s11
	s_cbranch_execnz .LBB192_46
; %bb.47:                               ;   in Loop: Header=BB192_34 Depth=2
	s_or_b32 exec_lo, exec_lo, s11
	s_delay_alu instid0(SALU_CYCLE_1)
	s_and_not1_b32 s10, s10, exec_lo
	s_branch .LBB192_33
.LBB192_48:
	s_or_b32 exec_lo, exec_lo, s6
.LBB192_49:
	v_mbcnt_lo_u32_b32 v1, -1, 0
	v_lshrrev_b32_e32 v2, 3, v0
	s_add_i32 s68, 0, 0x1807c
	v_cmp_eq_u32_e32 vcc_lo, 0x3ff, v0
	v_cmp_lt_u32_e64 s0, 31, v0
	v_xor_b32_e32 v1, 63, v1
	v_dual_mov_b32 v8, s68 :: v_dual_and_b32 v3, 0x7c, v2
	v_cmp_lt_u32_e64 s1, 63, v0
	v_cmp_lt_u32_e64 s2, 0x5f, v0
	s_delay_alu instid0(VALU_DEP_4) | instskip(NEXT) | instid1(VALU_DEP_4)
	v_lshrrev_b64 v[1:2], v1, -1
	v_add3_u32 v4, 0, 0x18000, v3
	v_cmp_lt_u32_e64 s3, 0x7f, v0
	v_cmp_lt_u32_e64 s4, 0x9f, v0
	;; [unrolled: 1-line block ×28, first 2 shown]
	v_add3_u32 v5, v18, 0, 0x8000
	v_or_b32_e32 v6, 0xfffffc00, v0
	v_mov_b32_e32 v7, 0
	s_mov_b32 s35, 0
	s_add_i32 s39, 0, 0x18000
	s_add_i32 s42, 0, 0x18004
	;; [unrolled: 1-line block ×31, first 2 shown]
	s_waitcnt lgkmcnt(0)
	s_barrier
	buffer_gl0_inv
	s_branch .LBB192_51
.LBB192_50:                             ;   in Loop: Header=BB192_51 Depth=1
	s_or_b32 exec_lo, exec_lo, s31
	s_waitcnt lgkmcnt(0)
	s_barrier
	buffer_gl0_inv
	ds_load_b32 v2, v8
	v_add_nc_u32_e32 v6, 0x400, v6
	v_add_nc_u32_e32 v5, 0x2000, v5
	;; [unrolled: 1-line block ×3, first 2 shown]
	s_delay_alu instid0(VALU_DEP_3) | instskip(NEXT) | instid1(VALU_DEP_1)
	v_cmp_lt_u32_e64 s31, 0x1bff, v6
	s_or_b32 s35, s31, s35
	s_waitcnt lgkmcnt(0)
	v_add_nc_u32_e32 v7, v2, v7
	s_and_not1_b32 exec_lo, exec_lo, s35
	s_cbranch_execz .LBB192_117
.LBB192_51:                             ; =>This Inner Loop Header: Depth=1
	ds_load_b32 v9, v17
	ds_load_b64 v[2:3], v5
	s_waitcnt lgkmcnt(0)
	s_barrier
	buffer_gl0_inv
	v_cmp_gt_i32_e64 s31, s33, v9
	s_delay_alu instid0(VALU_DEP_1) | instskip(NEXT) | instid1(SALU_CYCLE_1)
	s_bcnt1_i32_b32 s73, s31
	v_dual_mov_b32 v11, s73 :: v_dual_and_b32 v10, s31, v1
	s_delay_alu instid0(VALU_DEP_1)
	v_bcnt_u32_b32 v10, v10, 0
	ds_store_b32 v4, v11
	s_waitcnt lgkmcnt(0)
	s_barrier
	buffer_gl0_inv
	s_and_saveexec_b32 s73, s0
	s_cbranch_execnz .LBB192_84
; %bb.52:                               ;   in Loop: Header=BB192_51 Depth=1
	s_or_b32 exec_lo, exec_lo, s73
	s_and_saveexec_b32 s73, s1
	s_cbranch_execnz .LBB192_85
.LBB192_53:                             ;   in Loop: Header=BB192_51 Depth=1
	s_or_b32 exec_lo, exec_lo, s73
	s_and_saveexec_b32 s73, s2
	s_cbranch_execnz .LBB192_86
.LBB192_54:                             ;   in Loop: Header=BB192_51 Depth=1
	s_or_b32 exec_lo, exec_lo, s73
	s_and_saveexec_b32 s73, s3
	s_cbranch_execnz .LBB192_87
.LBB192_55:                             ;   in Loop: Header=BB192_51 Depth=1
	s_or_b32 exec_lo, exec_lo, s73
	s_and_saveexec_b32 s73, s4
	s_cbranch_execnz .LBB192_88
.LBB192_56:                             ;   in Loop: Header=BB192_51 Depth=1
	s_or_b32 exec_lo, exec_lo, s73
	s_and_saveexec_b32 s73, s5
	s_cbranch_execnz .LBB192_89
.LBB192_57:                             ;   in Loop: Header=BB192_51 Depth=1
	s_or_b32 exec_lo, exec_lo, s73
	s_and_saveexec_b32 s73, s6
	s_cbranch_execnz .LBB192_90
.LBB192_58:                             ;   in Loop: Header=BB192_51 Depth=1
	s_or_b32 exec_lo, exec_lo, s73
	s_and_saveexec_b32 s73, s7
	s_cbranch_execnz .LBB192_91
.LBB192_59:                             ;   in Loop: Header=BB192_51 Depth=1
	s_or_b32 exec_lo, exec_lo, s73
	s_and_saveexec_b32 s73, s8
	s_cbranch_execnz .LBB192_92
.LBB192_60:                             ;   in Loop: Header=BB192_51 Depth=1
	s_or_b32 exec_lo, exec_lo, s73
	s_and_saveexec_b32 s73, s9
	s_cbranch_execnz .LBB192_93
.LBB192_61:                             ;   in Loop: Header=BB192_51 Depth=1
	s_or_b32 exec_lo, exec_lo, s73
	s_and_saveexec_b32 s73, s10
	s_cbranch_execnz .LBB192_94
.LBB192_62:                             ;   in Loop: Header=BB192_51 Depth=1
	s_or_b32 exec_lo, exec_lo, s73
	s_and_saveexec_b32 s73, s11
	s_cbranch_execnz .LBB192_95
.LBB192_63:                             ;   in Loop: Header=BB192_51 Depth=1
	s_or_b32 exec_lo, exec_lo, s73
	s_and_saveexec_b32 s73, s12
	s_cbranch_execnz .LBB192_96
.LBB192_64:                             ;   in Loop: Header=BB192_51 Depth=1
	s_or_b32 exec_lo, exec_lo, s73
	s_and_saveexec_b32 s73, s13
	s_cbranch_execnz .LBB192_97
.LBB192_65:                             ;   in Loop: Header=BB192_51 Depth=1
	s_or_b32 exec_lo, exec_lo, s73
	s_and_saveexec_b32 s73, s14
	s_cbranch_execnz .LBB192_98
.LBB192_66:                             ;   in Loop: Header=BB192_51 Depth=1
	s_or_b32 exec_lo, exec_lo, s73
	s_and_saveexec_b32 s73, s15
	s_cbranch_execnz .LBB192_99
.LBB192_67:                             ;   in Loop: Header=BB192_51 Depth=1
	s_or_b32 exec_lo, exec_lo, s73
	s_and_saveexec_b32 s73, s16
	s_cbranch_execnz .LBB192_100
.LBB192_68:                             ;   in Loop: Header=BB192_51 Depth=1
	s_or_b32 exec_lo, exec_lo, s73
	s_and_saveexec_b32 s73, s17
	s_cbranch_execnz .LBB192_101
.LBB192_69:                             ;   in Loop: Header=BB192_51 Depth=1
	s_or_b32 exec_lo, exec_lo, s73
	s_and_saveexec_b32 s73, s18
	s_cbranch_execnz .LBB192_102
.LBB192_70:                             ;   in Loop: Header=BB192_51 Depth=1
	s_or_b32 exec_lo, exec_lo, s73
	s_and_saveexec_b32 s73, s19
	s_cbranch_execnz .LBB192_103
.LBB192_71:                             ;   in Loop: Header=BB192_51 Depth=1
	s_or_b32 exec_lo, exec_lo, s73
	s_and_saveexec_b32 s73, s20
	s_cbranch_execnz .LBB192_104
.LBB192_72:                             ;   in Loop: Header=BB192_51 Depth=1
	s_or_b32 exec_lo, exec_lo, s73
	s_and_saveexec_b32 s73, s21
	s_cbranch_execnz .LBB192_105
.LBB192_73:                             ;   in Loop: Header=BB192_51 Depth=1
	s_or_b32 exec_lo, exec_lo, s73
	s_and_saveexec_b32 s73, s22
	s_cbranch_execnz .LBB192_106
.LBB192_74:                             ;   in Loop: Header=BB192_51 Depth=1
	s_or_b32 exec_lo, exec_lo, s73
	s_and_saveexec_b32 s73, s23
	s_cbranch_execnz .LBB192_107
.LBB192_75:                             ;   in Loop: Header=BB192_51 Depth=1
	s_or_b32 exec_lo, exec_lo, s73
	s_and_saveexec_b32 s73, s24
	s_cbranch_execnz .LBB192_108
.LBB192_76:                             ;   in Loop: Header=BB192_51 Depth=1
	s_or_b32 exec_lo, exec_lo, s73
	s_and_saveexec_b32 s73, s25
	s_cbranch_execnz .LBB192_109
.LBB192_77:                             ;   in Loop: Header=BB192_51 Depth=1
	s_or_b32 exec_lo, exec_lo, s73
	s_and_saveexec_b32 s73, s26
	s_cbranch_execnz .LBB192_110
.LBB192_78:                             ;   in Loop: Header=BB192_51 Depth=1
	s_or_b32 exec_lo, exec_lo, s73
	s_and_saveexec_b32 s73, s27
	s_cbranch_execnz .LBB192_111
.LBB192_79:                             ;   in Loop: Header=BB192_51 Depth=1
	s_or_b32 exec_lo, exec_lo, s73
	s_and_saveexec_b32 s73, s28
	s_cbranch_execnz .LBB192_112
.LBB192_80:                             ;   in Loop: Header=BB192_51 Depth=1
	s_or_b32 exec_lo, exec_lo, s73
	s_and_saveexec_b32 s73, s29
	s_cbranch_execnz .LBB192_113
.LBB192_81:                             ;   in Loop: Header=BB192_51 Depth=1
	s_or_b32 exec_lo, exec_lo, s73
	s_and_saveexec_b32 s73, s30
	s_cbranch_execnz .LBB192_114
.LBB192_82:                             ;   in Loop: Header=BB192_51 Depth=1
	s_or_b32 exec_lo, exec_lo, s73
	s_and_saveexec_b32 s73, s31
	s_cbranch_execnz .LBB192_115
.LBB192_83:                             ;   in Loop: Header=BB192_51 Depth=1
	s_or_b32 exec_lo, exec_lo, s73
	s_and_saveexec_b32 s31, vcc_lo
	s_cbranch_execz .LBB192_50
	s_branch .LBB192_116
.LBB192_84:                             ;   in Loop: Header=BB192_51 Depth=1
	v_mov_b32_e32 v11, s39
	ds_load_b32 v11, v11
	s_waitcnt lgkmcnt(0)
	v_add_nc_u32_e32 v10, v11, v10
	s_or_b32 exec_lo, exec_lo, s73
	s_and_saveexec_b32 s73, s1
	s_cbranch_execz .LBB192_53
.LBB192_85:                             ;   in Loop: Header=BB192_51 Depth=1
	v_mov_b32_e32 v11, s42
	ds_load_b32 v11, v11
	s_waitcnt lgkmcnt(0)
	v_add_nc_u32_e32 v10, v11, v10
	s_or_b32 exec_lo, exec_lo, s73
	s_and_saveexec_b32 s73, s2
	s_cbranch_execz .LBB192_54
.LBB192_86:                             ;   in Loop: Header=BB192_51 Depth=1
	v_mov_b32_e32 v11, s43
	ds_load_b32 v11, v11
	s_waitcnt lgkmcnt(0)
	v_add_nc_u32_e32 v10, v11, v10
	s_or_b32 exec_lo, exec_lo, s73
	s_and_saveexec_b32 s73, s3
	s_cbranch_execz .LBB192_55
.LBB192_87:                             ;   in Loop: Header=BB192_51 Depth=1
	v_mov_b32_e32 v11, s44
	ds_load_b32 v11, v11
	s_waitcnt lgkmcnt(0)
	v_add_nc_u32_e32 v10, v11, v10
	s_or_b32 exec_lo, exec_lo, s73
	s_and_saveexec_b32 s73, s4
	s_cbranch_execz .LBB192_56
.LBB192_88:                             ;   in Loop: Header=BB192_51 Depth=1
	v_mov_b32_e32 v11, s45
	ds_load_b32 v11, v11
	s_waitcnt lgkmcnt(0)
	v_add_nc_u32_e32 v10, v11, v10
	s_or_b32 exec_lo, exec_lo, s73
	s_and_saveexec_b32 s73, s5
	s_cbranch_execz .LBB192_57
.LBB192_89:                             ;   in Loop: Header=BB192_51 Depth=1
	v_mov_b32_e32 v11, s46
	ds_load_b32 v11, v11
	s_waitcnt lgkmcnt(0)
	v_add_nc_u32_e32 v10, v11, v10
	s_or_b32 exec_lo, exec_lo, s73
	s_and_saveexec_b32 s73, s6
	s_cbranch_execz .LBB192_58
.LBB192_90:                             ;   in Loop: Header=BB192_51 Depth=1
	v_mov_b32_e32 v11, s47
	ds_load_b32 v11, v11
	s_waitcnt lgkmcnt(0)
	v_add_nc_u32_e32 v10, v11, v10
	s_or_b32 exec_lo, exec_lo, s73
	s_and_saveexec_b32 s73, s7
	s_cbranch_execz .LBB192_59
.LBB192_91:                             ;   in Loop: Header=BB192_51 Depth=1
	v_mov_b32_e32 v11, s48
	ds_load_b32 v11, v11
	s_waitcnt lgkmcnt(0)
	v_add_nc_u32_e32 v10, v11, v10
	s_or_b32 exec_lo, exec_lo, s73
	s_and_saveexec_b32 s73, s8
	s_cbranch_execz .LBB192_60
.LBB192_92:                             ;   in Loop: Header=BB192_51 Depth=1
	v_mov_b32_e32 v11, s49
	ds_load_b32 v11, v11
	s_waitcnt lgkmcnt(0)
	v_add_nc_u32_e32 v10, v11, v10
	s_or_b32 exec_lo, exec_lo, s73
	s_and_saveexec_b32 s73, s9
	s_cbranch_execz .LBB192_61
.LBB192_93:                             ;   in Loop: Header=BB192_51 Depth=1
	v_mov_b32_e32 v11, s50
	ds_load_b32 v11, v11
	s_waitcnt lgkmcnt(0)
	v_add_nc_u32_e32 v10, v11, v10
	s_or_b32 exec_lo, exec_lo, s73
	s_and_saveexec_b32 s73, s10
	s_cbranch_execz .LBB192_62
.LBB192_94:                             ;   in Loop: Header=BB192_51 Depth=1
	v_mov_b32_e32 v11, s51
	ds_load_b32 v11, v11
	s_waitcnt lgkmcnt(0)
	v_add_nc_u32_e32 v10, v11, v10
	s_or_b32 exec_lo, exec_lo, s73
	s_and_saveexec_b32 s73, s11
	s_cbranch_execz .LBB192_63
.LBB192_95:                             ;   in Loop: Header=BB192_51 Depth=1
	v_mov_b32_e32 v11, s52
	ds_load_b32 v11, v11
	s_waitcnt lgkmcnt(0)
	v_add_nc_u32_e32 v10, v11, v10
	s_or_b32 exec_lo, exec_lo, s73
	s_and_saveexec_b32 s73, s12
	s_cbranch_execz .LBB192_64
.LBB192_96:                             ;   in Loop: Header=BB192_51 Depth=1
	v_mov_b32_e32 v11, s53
	ds_load_b32 v11, v11
	s_waitcnt lgkmcnt(0)
	v_add_nc_u32_e32 v10, v11, v10
	s_or_b32 exec_lo, exec_lo, s73
	s_and_saveexec_b32 s73, s13
	s_cbranch_execz .LBB192_65
.LBB192_97:                             ;   in Loop: Header=BB192_51 Depth=1
	v_mov_b32_e32 v11, s54
	ds_load_b32 v11, v11
	s_waitcnt lgkmcnt(0)
	v_add_nc_u32_e32 v10, v11, v10
	s_or_b32 exec_lo, exec_lo, s73
	s_and_saveexec_b32 s73, s14
	s_cbranch_execz .LBB192_66
.LBB192_98:                             ;   in Loop: Header=BB192_51 Depth=1
	v_mov_b32_e32 v11, s55
	ds_load_b32 v11, v11
	s_waitcnt lgkmcnt(0)
	v_add_nc_u32_e32 v10, v11, v10
	s_or_b32 exec_lo, exec_lo, s73
	s_and_saveexec_b32 s73, s15
	s_cbranch_execz .LBB192_67
.LBB192_99:                             ;   in Loop: Header=BB192_51 Depth=1
	v_mov_b32_e32 v11, s56
	ds_load_b32 v11, v11
	s_waitcnt lgkmcnt(0)
	v_add_nc_u32_e32 v10, v11, v10
	s_or_b32 exec_lo, exec_lo, s73
	s_and_saveexec_b32 s73, s16
	s_cbranch_execz .LBB192_68
.LBB192_100:                            ;   in Loop: Header=BB192_51 Depth=1
	v_mov_b32_e32 v11, s57
	ds_load_b32 v11, v11
	s_waitcnt lgkmcnt(0)
	v_add_nc_u32_e32 v10, v11, v10
	s_or_b32 exec_lo, exec_lo, s73
	s_and_saveexec_b32 s73, s17
	s_cbranch_execz .LBB192_69
.LBB192_101:                            ;   in Loop: Header=BB192_51 Depth=1
	v_mov_b32_e32 v11, s58
	ds_load_b32 v11, v11
	s_waitcnt lgkmcnt(0)
	v_add_nc_u32_e32 v10, v11, v10
	s_or_b32 exec_lo, exec_lo, s73
	s_and_saveexec_b32 s73, s18
	s_cbranch_execz .LBB192_70
.LBB192_102:                            ;   in Loop: Header=BB192_51 Depth=1
	v_mov_b32_e32 v11, s59
	ds_load_b32 v11, v11
	s_waitcnt lgkmcnt(0)
	v_add_nc_u32_e32 v10, v11, v10
	s_or_b32 exec_lo, exec_lo, s73
	s_and_saveexec_b32 s73, s19
	s_cbranch_execz .LBB192_71
.LBB192_103:                            ;   in Loop: Header=BB192_51 Depth=1
	v_mov_b32_e32 v11, s60
	ds_load_b32 v11, v11
	s_waitcnt lgkmcnt(0)
	v_add_nc_u32_e32 v10, v11, v10
	s_or_b32 exec_lo, exec_lo, s73
	s_and_saveexec_b32 s73, s20
	s_cbranch_execz .LBB192_72
.LBB192_104:                            ;   in Loop: Header=BB192_51 Depth=1
	v_mov_b32_e32 v11, s61
	ds_load_b32 v11, v11
	s_waitcnt lgkmcnt(0)
	v_add_nc_u32_e32 v10, v11, v10
	s_or_b32 exec_lo, exec_lo, s73
	s_and_saveexec_b32 s73, s21
	s_cbranch_execz .LBB192_73
.LBB192_105:                            ;   in Loop: Header=BB192_51 Depth=1
	v_mov_b32_e32 v11, s62
	ds_load_b32 v11, v11
	s_waitcnt lgkmcnt(0)
	v_add_nc_u32_e32 v10, v11, v10
	s_or_b32 exec_lo, exec_lo, s73
	s_and_saveexec_b32 s73, s22
	s_cbranch_execz .LBB192_74
.LBB192_106:                            ;   in Loop: Header=BB192_51 Depth=1
	v_mov_b32_e32 v11, s63
	ds_load_b32 v11, v11
	s_waitcnt lgkmcnt(0)
	v_add_nc_u32_e32 v10, v11, v10
	s_or_b32 exec_lo, exec_lo, s73
	s_and_saveexec_b32 s73, s23
	s_cbranch_execz .LBB192_75
.LBB192_107:                            ;   in Loop: Header=BB192_51 Depth=1
	v_mov_b32_e32 v11, s64
	ds_load_b32 v11, v11
	s_waitcnt lgkmcnt(0)
	v_add_nc_u32_e32 v10, v11, v10
	s_or_b32 exec_lo, exec_lo, s73
	s_and_saveexec_b32 s73, s24
	s_cbranch_execz .LBB192_76
.LBB192_108:                            ;   in Loop: Header=BB192_51 Depth=1
	v_mov_b32_e32 v11, s65
	ds_load_b32 v11, v11
	s_waitcnt lgkmcnt(0)
	v_add_nc_u32_e32 v10, v11, v10
	s_or_b32 exec_lo, exec_lo, s73
	s_and_saveexec_b32 s73, s25
	s_cbranch_execz .LBB192_77
.LBB192_109:                            ;   in Loop: Header=BB192_51 Depth=1
	v_mov_b32_e32 v11, s66
	ds_load_b32 v11, v11
	s_waitcnt lgkmcnt(0)
	v_add_nc_u32_e32 v10, v11, v10
	s_or_b32 exec_lo, exec_lo, s73
	s_and_saveexec_b32 s73, s26
	s_cbranch_execz .LBB192_78
.LBB192_110:                            ;   in Loop: Header=BB192_51 Depth=1
	v_mov_b32_e32 v11, s67
	ds_load_b32 v11, v11
	s_waitcnt lgkmcnt(0)
	v_add_nc_u32_e32 v10, v11, v10
	s_or_b32 exec_lo, exec_lo, s73
	s_and_saveexec_b32 s73, s27
	s_cbranch_execz .LBB192_79
.LBB192_111:                            ;   in Loop: Header=BB192_51 Depth=1
	v_mov_b32_e32 v11, s69
	ds_load_b32 v11, v11
	s_waitcnt lgkmcnt(0)
	v_add_nc_u32_e32 v10, v11, v10
	s_or_b32 exec_lo, exec_lo, s73
	s_and_saveexec_b32 s73, s28
	s_cbranch_execz .LBB192_80
.LBB192_112:                            ;   in Loop: Header=BB192_51 Depth=1
	v_mov_b32_e32 v11, s70
	ds_load_b32 v11, v11
	s_waitcnt lgkmcnt(0)
	v_add_nc_u32_e32 v10, v11, v10
	s_or_b32 exec_lo, exec_lo, s73
	s_and_saveexec_b32 s73, s29
	s_cbranch_execz .LBB192_81
.LBB192_113:                            ;   in Loop: Header=BB192_51 Depth=1
	v_mov_b32_e32 v11, s71
	ds_load_b32 v11, v11
	s_waitcnt lgkmcnt(0)
	v_add_nc_u32_e32 v10, v11, v10
	s_or_b32 exec_lo, exec_lo, s73
	s_and_saveexec_b32 s73, s30
	s_cbranch_execz .LBB192_82
.LBB192_114:                            ;   in Loop: Header=BB192_51 Depth=1
	v_mov_b32_e32 v11, s72
	ds_load_b32 v11, v11
	s_waitcnt lgkmcnt(0)
	v_add_nc_u32_e32 v10, v11, v10
	s_or_b32 exec_lo, exec_lo, s73
	s_and_saveexec_b32 s73, s31
	s_cbranch_execz .LBB192_83
.LBB192_115:                            ;   in Loop: Header=BB192_51 Depth=1
	s_delay_alu instid0(VALU_DEP_1) | instskip(NEXT) | instid1(VALU_DEP_1)
	v_add3_u32 v11, v7, -1, v10
	v_lshl_add_u32 v12, v11, 2, 0
	v_lshl_add_u32 v11, v11, 3, 0
	ds_store_b32 v12, v9
	ds_store_b64 v11, v[2:3] offset:32768
	s_or_b32 exec_lo, exec_lo, s73
	s_and_saveexec_b32 s31, vcc_lo
	s_cbranch_execz .LBB192_50
.LBB192_116:                            ;   in Loop: Header=BB192_51 Depth=1
	v_mov_b32_e32 v2, s68
	ds_store_b32 v2, v10
	s_branch .LBB192_50
.LBB192_117:
	s_or_b32 exec_lo, exec_lo, s35
	s_ashr_i32 s35, s34, 31
	s_mov_b32 s4, exec_lo
	s_lshl_b64 s[0:1], s[34:35], 3
	s_delay_alu instid0(SALU_CYCLE_1) | instskip(SKIP_4) | instid1(SALU_CYCLE_1)
	s_add_u32 s0, s40, s0
	s_addc_u32 s1, s41, s1
	s_load_b128 s[0:3], s[0:1], 0x0
	s_waitcnt lgkmcnt(0)
	s_sub_i32 s3, s2, s0
	v_cmpx_gt_i32_e64 s3, v0
	s_cbranch_execz .LBB192_127
; %bb.118:
	s_sub_u32 s4, s0, s38
	s_subb_u32 s5, s1, 0
	s_sub_i32 s0, s0, s2
	s_and_b32 s1, s3, 7
	s_cmp_lt_u32 s0, -7
	s_mov_b32 s8, 0
	s_cselect_b32 s2, -1, 0
	s_and_b32 s6, s3, -8
	s_cmp_lg_u32 s1, 0
	s_cselect_b32 s7, -1, 0
	s_branch .LBB192_120
.LBB192_119:                            ;   in Loop: Header=BB192_120 Depth=1
	s_delay_alu instid0(VALU_DEP_1) | instskip(SKIP_1) | instid1(VALU_DEP_1)
	v_lshlrev_b64 v[3:4], 3, v[3:4]
	v_add_nc_u32_e32 v0, 0x400, v0
	v_cmp_le_i32_e32 vcc_lo, s3, v0
	s_delay_alu instid0(VALU_DEP_3) | instskip(NEXT) | instid1(VALU_DEP_1)
	v_add_co_u32 v3, s0, s36, v3
	v_add_co_ci_u32_e64 v4, s0, s37, v4, s0
	s_or_b32 s8, vcc_lo, s8
	s_waitcnt lgkmcnt(0)
	global_store_b64 v[3:4], v[1:2], off
	s_and_not1_b32 exec_lo, exec_lo, s8
	s_cbranch_execz .LBB192_127
.LBB192_120:                            ; =>This Loop Header: Depth=1
                                        ;     Child Loop BB192_122 Depth 2
                                        ;     Child Loop BB192_126 Depth 2
	v_lshlrev_b32_e32 v1, 2, v0
	v_dual_mov_b32 v3, s4 :: v_dual_mov_b32 v4, s5
	s_and_not1_b32 vcc_lo, exec_lo, s2
	s_mov_b32 s0, 0
	s_delay_alu instid0(VALU_DEP_2) | instskip(NEXT) | instid1(VALU_DEP_1)
	v_add_nc_u32_e32 v2, 0, v1
	v_add_nc_u32_e32 v1, v2, v1
	ds_load_b32 v5, v2
	ds_load_b64 v[1:2], v1 offset:32768
	s_cbranch_vccnz .LBB192_124
; %bb.121:                              ;   in Loop: Header=BB192_120 Depth=1
	v_dual_mov_b32 v3, s4 :: v_dual_mov_b32 v4, s5
	s_mov_b32 s9, 0
	s_mov_b32 s10, 0
.LBB192_122:                            ;   Parent Loop BB192_120 Depth=1
                                        ; =>  This Inner Loop Header: Depth=2
	s_delay_alu instid0(SALU_CYCLE_1)
	v_mov_b32_e32 v12, s10
	s_add_i32 s9, s9, 8
	s_add_i32 s10, s10, 32
	s_cmp_eq_u32 s6, s9
	ds_load_2addr_b32 v[6:7], v12 offset1:1
	ds_load_2addr_b32 v[8:9], v12 offset0:2 offset1:3
	ds_load_2addr_b32 v[10:11], v12 offset0:4 offset1:5
	;; [unrolled: 1-line block ×3, first 2 shown]
	s_waitcnt lgkmcnt(3)
	v_cmp_gt_i32_e32 vcc_lo, v5, v6
	v_cndmask_b32_e64 v6, 0, 1, vcc_lo
	v_cmp_gt_i32_e32 vcc_lo, v5, v7
	v_cndmask_b32_e64 v7, 0, 1, vcc_lo
	s_waitcnt lgkmcnt(2)
	v_cmp_gt_i32_e32 vcc_lo, v5, v8
	v_cndmask_b32_e64 v8, 0, 1, vcc_lo
	v_cmp_gt_i32_e32 vcc_lo, v5, v9
	v_cndmask_b32_e64 v9, 0, 1, vcc_lo
	s_waitcnt lgkmcnt(1)
	v_cmp_gt_i32_e32 vcc_lo, v5, v10
	v_cndmask_b32_e64 v10, 0, 1, vcc_lo
	v_add_co_u32 v3, vcc_lo, v3, v6
	v_add_co_ci_u32_e32 v4, vcc_lo, 0, v4, vcc_lo
	v_cmp_gt_i32_e32 vcc_lo, v5, v11
	s_delay_alu instid0(VALU_DEP_3) | instskip(NEXT) | instid1(VALU_DEP_1)
	v_add_co_u32 v3, s0, v3, v7
	v_add_co_ci_u32_e64 v4, s0, 0, v4, s0
	v_cndmask_b32_e64 v6, 0, 1, vcc_lo
	s_delay_alu instid0(VALU_DEP_3) | instskip(NEXT) | instid1(VALU_DEP_3)
	v_add_co_u32 v3, vcc_lo, v3, v8
	v_add_co_ci_u32_e32 v4, vcc_lo, 0, v4, vcc_lo
	s_waitcnt lgkmcnt(0)
	v_cmp_gt_i32_e32 vcc_lo, v5, v12
	s_delay_alu instid0(VALU_DEP_3) | instskip(NEXT) | instid1(VALU_DEP_1)
	v_add_co_u32 v3, s0, v3, v9
	v_add_co_ci_u32_e64 v4, s0, 0, v4, s0
	v_cndmask_b32_e64 v7, 0, 1, vcc_lo
	s_delay_alu instid0(VALU_DEP_3) | instskip(NEXT) | instid1(VALU_DEP_3)
	v_add_co_u32 v3, vcc_lo, v3, v10
	v_add_co_ci_u32_e32 v4, vcc_lo, 0, v4, vcc_lo
	v_cmp_gt_i32_e32 vcc_lo, v5, v13
	s_delay_alu instid0(VALU_DEP_3) | instskip(NEXT) | instid1(VALU_DEP_1)
	v_add_co_u32 v3, s0, v3, v6
	v_add_co_ci_u32_e64 v4, s0, 0, v4, s0
	v_cndmask_b32_e64 v6, 0, 1, vcc_lo
	s_delay_alu instid0(VALU_DEP_3) | instskip(NEXT) | instid1(VALU_DEP_3)
	v_add_co_u32 v3, vcc_lo, v3, v7
	v_add_co_ci_u32_e32 v4, vcc_lo, 0, v4, vcc_lo
	s_delay_alu instid0(VALU_DEP_2) | instskip(NEXT) | instid1(VALU_DEP_2)
	v_add_co_u32 v3, vcc_lo, v3, v6
	v_add_co_ci_u32_e32 v4, vcc_lo, 0, v4, vcc_lo
	s_cbranch_scc0 .LBB192_122
; %bb.123:                              ;   in Loop: Header=BB192_120 Depth=1
	s_mov_b32 s0, s6
.LBB192_124:                            ;   in Loop: Header=BB192_120 Depth=1
	s_and_not1_b32 vcc_lo, exec_lo, s7
	s_cbranch_vccnz .LBB192_119
; %bb.125:                              ;   in Loop: Header=BB192_120 Depth=1
	s_lshl_b32 s0, s0, 2
	s_mov_b32 s9, s1
	s_add_i32 s0, s0, 0
.LBB192_126:                            ;   Parent Loop BB192_120 Depth=1
                                        ; =>  This Inner Loop Header: Depth=2
	s_delay_alu instid0(SALU_CYCLE_1)
	v_mov_b32_e32 v6, s0
	s_add_i32 s9, s9, -1
	s_add_i32 s0, s0, 4
	s_cmp_lg_u32 s9, 0
	ds_load_b32 v6, v6
	s_waitcnt lgkmcnt(0)
	v_cmp_gt_i32_e32 vcc_lo, v5, v6
	v_cndmask_b32_e64 v6, 0, 1, vcc_lo
	s_delay_alu instid0(VALU_DEP_1)
	v_add_co_u32 v3, vcc_lo, v3, v6
	v_add_co_ci_u32_e32 v4, vcc_lo, 0, v4, vcc_lo
	s_cbranch_scc1 .LBB192_126
	s_branch .LBB192_119
.LBB192_127:
	s_nop 0
	s_sendmsg sendmsg(MSG_DEALLOC_VGPRS)
	s_endpgm
	.section	.rodata,"a",@progbits
	.p2align	6, 0x0
	.amdhsa_kernel _ZN9rocsparseL41csrgemm_numeric_fill_block_per_row_kernelILj1024ELj64ELj8192ELj137ELj32ElidEEvT5_PKS1_S3_NS_24const_host_device_scalarIT6_EEPKT4_S3_PKS5_S9_S3_SB_S6_S9_S3_SB_S9_S3_PS5_21rocsparse_index_base_SD_SD_SD_bbb
		.amdhsa_group_segment_fixed_size 0
		.amdhsa_private_segment_fixed_size 0
		.amdhsa_kernarg_size 156
		.amdhsa_user_sgpr_count 15
		.amdhsa_user_sgpr_dispatch_ptr 0
		.amdhsa_user_sgpr_queue_ptr 0
		.amdhsa_user_sgpr_kernarg_segment_ptr 1
		.amdhsa_user_sgpr_dispatch_id 0
		.amdhsa_user_sgpr_private_segment_size 0
		.amdhsa_wavefront_size32 1
		.amdhsa_uses_dynamic_stack 0
		.amdhsa_enable_private_segment 0
		.amdhsa_system_sgpr_workgroup_id_x 1
		.amdhsa_system_sgpr_workgroup_id_y 0
		.amdhsa_system_sgpr_workgroup_id_z 0
		.amdhsa_system_sgpr_workgroup_info 0
		.amdhsa_system_vgpr_workitem_id 0
		.amdhsa_next_free_vgpr 26
		.amdhsa_next_free_sgpr 74
		.amdhsa_reserve_vcc 1
		.amdhsa_float_round_mode_32 0
		.amdhsa_float_round_mode_16_64 0
		.amdhsa_float_denorm_mode_32 3
		.amdhsa_float_denorm_mode_16_64 3
		.amdhsa_dx10_clamp 1
		.amdhsa_ieee_mode 1
		.amdhsa_fp16_overflow 0
		.amdhsa_workgroup_processor_mode 1
		.amdhsa_memory_ordered 1
		.amdhsa_forward_progress 0
		.amdhsa_shared_vgpr_count 0
		.amdhsa_exception_fp_ieee_invalid_op 0
		.amdhsa_exception_fp_denorm_src 0
		.amdhsa_exception_fp_ieee_div_zero 0
		.amdhsa_exception_fp_ieee_overflow 0
		.amdhsa_exception_fp_ieee_underflow 0
		.amdhsa_exception_fp_ieee_inexact 0
		.amdhsa_exception_int_div_zero 0
	.end_amdhsa_kernel
	.section	.text._ZN9rocsparseL41csrgemm_numeric_fill_block_per_row_kernelILj1024ELj64ELj8192ELj137ELj32ElidEEvT5_PKS1_S3_NS_24const_host_device_scalarIT6_EEPKT4_S3_PKS5_S9_S3_SB_S6_S9_S3_SB_S9_S3_PS5_21rocsparse_index_base_SD_SD_SD_bbb,"axG",@progbits,_ZN9rocsparseL41csrgemm_numeric_fill_block_per_row_kernelILj1024ELj64ELj8192ELj137ELj32ElidEEvT5_PKS1_S3_NS_24const_host_device_scalarIT6_EEPKT4_S3_PKS5_S9_S3_SB_S6_S9_S3_SB_S9_S3_PS5_21rocsparse_index_base_SD_SD_SD_bbb,comdat
.Lfunc_end192:
	.size	_ZN9rocsparseL41csrgemm_numeric_fill_block_per_row_kernelILj1024ELj64ELj8192ELj137ELj32ElidEEvT5_PKS1_S3_NS_24const_host_device_scalarIT6_EEPKT4_S3_PKS5_S9_S3_SB_S6_S9_S3_SB_S9_S3_PS5_21rocsparse_index_base_SD_SD_SD_bbb, .Lfunc_end192-_ZN9rocsparseL41csrgemm_numeric_fill_block_per_row_kernelILj1024ELj64ELj8192ELj137ELj32ElidEEvT5_PKS1_S3_NS_24const_host_device_scalarIT6_EEPKT4_S3_PKS5_S9_S3_SB_S6_S9_S3_SB_S9_S3_PS5_21rocsparse_index_base_SD_SD_SD_bbb
                                        ; -- End function
	.section	.AMDGPU.csdata,"",@progbits
; Kernel info:
; codeLenInByte = 5048
; NumSgprs: 76
; NumVgprs: 26
; ScratchSize: 0
; MemoryBound: 0
; FloatMode: 240
; IeeeMode: 1
; LDSByteSize: 0 bytes/workgroup (compile time only)
; SGPRBlocks: 9
; VGPRBlocks: 3
; NumSGPRsForWavesPerEU: 76
; NumVGPRsForWavesPerEU: 26
; Occupancy: 16
; WaveLimiterHint : 1
; COMPUTE_PGM_RSRC2:SCRATCH_EN: 0
; COMPUTE_PGM_RSRC2:USER_SGPR: 15
; COMPUTE_PGM_RSRC2:TRAP_HANDLER: 0
; COMPUTE_PGM_RSRC2:TGID_X_EN: 1
; COMPUTE_PGM_RSRC2:TGID_Y_EN: 0
; COMPUTE_PGM_RSRC2:TGID_Z_EN: 0
; COMPUTE_PGM_RSRC2:TIDIG_COMP_CNT: 0
	.section	.text._ZN9rocsparseL41csrgemm_numeric_fill_block_per_row_kernelILj1024ELj64ELj8192ELj137ELj64ElidEEvT5_PKS1_S3_NS_24const_host_device_scalarIT6_EEPKT4_S3_PKS5_S9_S3_SB_S6_S9_S3_SB_S9_S3_PS5_21rocsparse_index_base_SD_SD_SD_bbb,"axG",@progbits,_ZN9rocsparseL41csrgemm_numeric_fill_block_per_row_kernelILj1024ELj64ELj8192ELj137ELj64ElidEEvT5_PKS1_S3_NS_24const_host_device_scalarIT6_EEPKT4_S3_PKS5_S9_S3_SB_S6_S9_S3_SB_S9_S3_PS5_21rocsparse_index_base_SD_SD_SD_bbb,comdat
	.globl	_ZN9rocsparseL41csrgemm_numeric_fill_block_per_row_kernelILj1024ELj64ELj8192ELj137ELj64ElidEEvT5_PKS1_S3_NS_24const_host_device_scalarIT6_EEPKT4_S3_PKS5_S9_S3_SB_S6_S9_S3_SB_S9_S3_PS5_21rocsparse_index_base_SD_SD_SD_bbb ; -- Begin function _ZN9rocsparseL41csrgemm_numeric_fill_block_per_row_kernelILj1024ELj64ELj8192ELj137ELj64ElidEEvT5_PKS1_S3_NS_24const_host_device_scalarIT6_EEPKT4_S3_PKS5_S9_S3_SB_S6_S9_S3_SB_S9_S3_PS5_21rocsparse_index_base_SD_SD_SD_bbb
	.p2align	8
	.type	_ZN9rocsparseL41csrgemm_numeric_fill_block_per_row_kernelILj1024ELj64ELj8192ELj137ELj64ElidEEvT5_PKS1_S3_NS_24const_host_device_scalarIT6_EEPKT4_S3_PKS5_S9_S3_SB_S6_S9_S3_SB_S9_S3_PS5_21rocsparse_index_base_SD_SD_SD_bbb,@function
_ZN9rocsparseL41csrgemm_numeric_fill_block_per_row_kernelILj1024ELj64ELj8192ELj137ELj64ElidEEvT5_PKS1_S3_NS_24const_host_device_scalarIT6_EEPKT4_S3_PKS5_S9_S3_SB_S6_S9_S3_SB_S9_S3_PS5_21rocsparse_index_base_SD_SD_SD_bbb: ; @_ZN9rocsparseL41csrgemm_numeric_fill_block_per_row_kernelILj1024ELj64ELj8192ELj137ELj64ElidEEvT5_PKS1_S3_NS_24const_host_device_scalarIT6_EEPKT4_S3_PKS5_S9_S3_SB_S6_S9_S3_SB_S9_S3_PS5_21rocsparse_index_base_SD_SD_SD_bbb
; %bb.0:
	s_clause 0x4
	s_load_b32 s11, s[0:1], 0x98
	s_load_b64 s[8:9], s[0:1], 0x18
	s_load_b128 s[4:7], s[0:1], 0x8
	s_load_b128 s[16:19], s[0:1], 0x88
	s_load_b64 s[2:3], s[0:1], 0x50
	s_waitcnt lgkmcnt(0)
	s_and_b32 s10, 1, s11
	s_bitcmp1_b32 s11, 16
	s_cselect_b32 s12, -1, 0
	s_cmp_eq_u32 s10, 1
	s_cselect_b32 s10, -1, 0
	s_delay_alu instid0(SALU_CYCLE_1)
	s_and_b32 s13, s10, exec_lo
	s_cselect_b32 s21, s9, 0
	s_cselect_b32 s20, s8, 0
	s_xor_b32 s13, s10, -1
	v_dual_mov_b32 v3, s20 :: v_dual_mov_b32 v4, s21
	s_or_b32 s13, s13, s12
	s_delay_alu instid0(SALU_CYCLE_1)
	s_and_b32 vcc_lo, exec_lo, s13
	s_cbranch_vccnz .LBB193_2
; %bb.1:
	v_dual_mov_b32 v1, s8 :: v_dual_mov_b32 v2, s9
	flat_load_b64 v[3:4], v[1:2]
.LBB193_2:
	s_bitcmp1_b32 s11, 8
	s_cselect_b32 s14, -1, 0
	s_delay_alu instid0(SALU_CYCLE_1)
	s_and_b32 s8, s14, exec_lo
	s_cselect_b32 s9, s3, 0
	s_cselect_b32 s8, s2, 0
	s_xor_b32 s11, s14, -1
	v_dual_mov_b32 v1, s8 :: v_dual_mov_b32 v2, s9
	s_or_b32 s11, s11, s12
	s_delay_alu instid0(SALU_CYCLE_1)
	s_and_b32 vcc_lo, exec_lo, s11
	s_cbranch_vccnz .LBB193_4
; %bb.3:
	v_dual_mov_b32 v1, s2 :: v_dual_mov_b32 v2, s3
	flat_load_b64 v[1:2], v[1:2]
.LBB193_4:
	s_load_b32 s24, s[0:1], 0x0
	s_mov_b32 s2, 0
	v_lshrrev_b32_e32 v19, 6, v0
	s_mov_b32 s3, s2
	s_delay_alu instid0(SALU_CYCLE_1) | instskip(SKIP_1) | instid1(VALU_DEP_2)
	v_dual_mov_b32 v6, s3 :: v_dual_lshlrev_b32 v7, 2, v0
	v_dual_mov_b32 v5, s2 :: v_dual_lshlrev_b32 v18, 3, v0
	v_add_nc_u32_e32 v17, 0, v7
	s_delay_alu instid0(VALU_DEP_2)
	v_add3_u32 v8, 0, 0x8000, v18
	ds_store_2addr_stride64_b64 v8, v[5:6], v[5:6] offset0:16 offset1:32
	ds_store_2addr_stride64_b64 v8, v[5:6], v[5:6] offset0:48 offset1:64
	;; [unrolled: 1-line block ×3, first 2 shown]
	s_waitcnt lgkmcnt(0)
	v_dual_mov_b32 v10, s24 :: v_dual_add_nc_u32 v7, v17, v7
	v_dual_mov_b32 v12, s24 :: v_dual_mov_b32 v9, s24
	v_dual_mov_b32 v14, s24 :: v_dual_mov_b32 v11, s24
	;; [unrolled: 1-line block ×3, first 2 shown]
	v_mov_b32_e32 v15, s24
	ds_store_b64 v7, v[5:6] offset:32768
	ds_store_b64 v8, v[5:6] offset:57344
	ds_store_2addr_stride64_b32 v17, v9, v10 offset1:16
	ds_store_2addr_stride64_b32 v17, v11, v12 offset0:32 offset1:48
	ds_store_2addr_stride64_b32 v17, v13, v14 offset0:64 offset1:80
	;; [unrolled: 1-line block ×3, first 2 shown]
	s_waitcnt vmcnt(0) lgkmcnt(0)
	s_barrier
	buffer_gl0_inv
	s_load_b32 s3, s[4:5], 0x0
	s_mov_b32 s5, s2
	s_waitcnt lgkmcnt(0)
	s_add_i32 s4, s3, s15
	s_delay_alu instid0(SALU_CYCLE_1) | instskip(NEXT) | instid1(SALU_CYCLE_1)
	s_lshl_b64 s[2:3], s[4:5], 2
	s_add_u32 s2, s6, s2
	s_addc_u32 s3, s7, s3
	s_and_not1_b32 vcc_lo, exec_lo, s10
	s_load_b32 s20, s[2:3], 0x0
	s_cbranch_vccnz .LBB193_28
; %bb.5:
	s_load_b64 s[2:3], s[0:1], 0x20
	s_waitcnt lgkmcnt(0)
	s_ashr_i32 s21, s20, 31
	s_mov_b32 s15, exec_lo
	s_lshl_b64 s[4:5], s[20:21], 3
	s_delay_alu instid0(SALU_CYCLE_1) | instskip(SKIP_3) | instid1(VALU_DEP_1)
	s_add_u32 s2, s2, s4
	s_addc_u32 s3, s3, s5
	s_load_b128 s[4:7], s[2:3], 0x0
	v_sub_co_u32 v5, s2, v19, s16
	v_sub_co_ci_u32_e64 v6, null, 0, 0, s2
	s_waitcnt lgkmcnt(0)
	s_delay_alu instid0(VALU_DEP_2) | instskip(NEXT) | instid1(VALU_DEP_2)
	v_add_co_u32 v5, vcc_lo, s4, v5
	v_add_co_ci_u32_e32 v6, vcc_lo, s5, v6, vcc_lo
	s_sub_u32 s2, s6, s16
	s_subb_u32 s3, s7, 0
	s_delay_alu instid0(VALU_DEP_1) | instid1(SALU_CYCLE_1)
	v_cmpx_gt_i64_e64 s[2:3], v[5:6]
	s_cbranch_execz .LBB193_27
; %bb.6:
	s_clause 0x1
	s_load_b64 s[12:13], s[0:1], 0x48
	s_load_b256 s[4:11], s[0:1], 0x28
	v_and_b32_e32 v7, 63, v0
	s_mov_b32 s22, s17
	s_delay_alu instid0(VALU_DEP_1) | instskip(NEXT) | instid1(VALU_DEP_1)
	v_sub_co_u32 v20, s21, v7, s17
	v_sub_co_ci_u32_e64 v21, null, 0, 0, s21
	s_mov_b32 s21, 0
	s_branch .LBB193_8
.LBB193_7:                              ;   in Loop: Header=BB193_8 Depth=1
	s_or_b32 exec_lo, exec_lo, s23
	v_add_co_u32 v5, vcc_lo, v5, 16
	v_add_co_ci_u32_e32 v6, vcc_lo, 0, v6, vcc_lo
	s_delay_alu instid0(VALU_DEP_1) | instskip(SKIP_1) | instid1(SALU_CYCLE_1)
	v_cmp_le_i64_e32 vcc_lo, s[2:3], v[5:6]
	s_or_b32 s21, vcc_lo, s21
	s_and_not1_b32 exec_lo, exec_lo, s21
	s_cbranch_execz .LBB193_27
.LBB193_8:                              ; =>This Loop Header: Depth=1
                                        ;     Child Loop BB193_11 Depth 2
                                        ;       Child Loop BB193_13 Depth 3
                                        ;         Child Loop BB193_19 Depth 4
                                        ;         Child Loop BB193_25 Depth 4
	v_lshlrev_b64 v[7:8], 2, v[5:6]
	s_mov_b32 s23, exec_lo
	s_waitcnt lgkmcnt(0)
	s_delay_alu instid0(VALU_DEP_1) | instskip(NEXT) | instid1(VALU_DEP_2)
	v_add_co_u32 v7, vcc_lo, s4, v7
	v_add_co_ci_u32_e32 v8, vcc_lo, s5, v8, vcc_lo
	global_load_b32 v7, v[7:8], off
	s_waitcnt vmcnt(0)
	v_subrev_nc_u32_e32 v7, s16, v7
	s_delay_alu instid0(VALU_DEP_1) | instskip(NEXT) | instid1(VALU_DEP_1)
	v_ashrrev_i32_e32 v8, 31, v7
	v_lshlrev_b64 v[7:8], 3, v[7:8]
	s_delay_alu instid0(VALU_DEP_1) | instskip(NEXT) | instid1(VALU_DEP_2)
	v_add_co_u32 v7, vcc_lo, s8, v7
	v_add_co_ci_u32_e32 v8, vcc_lo, s9, v8, vcc_lo
	global_load_b128 v[9:12], v[7:8], off
	s_waitcnt vmcnt(0)
	v_sub_co_u32 v7, vcc_lo, v11, s22
	v_subrev_co_ci_u32_e32 v8, vcc_lo, 0, v12, vcc_lo
	v_add_co_u32 v9, vcc_lo, v9, v20
	v_add_co_ci_u32_e32 v10, vcc_lo, v10, v21, vcc_lo
	s_delay_alu instid0(VALU_DEP_1)
	v_cmpx_lt_i64_e64 v[9:10], v[7:8]
	s_cbranch_execz .LBB193_7
; %bb.9:                                ;   in Loop: Header=BB193_8 Depth=1
	v_lshlrev_b64 v[11:12], 3, v[5:6]
	s_mov_b32 s25, 0
	s_delay_alu instid0(VALU_DEP_1) | instskip(NEXT) | instid1(VALU_DEP_2)
	v_add_co_u32 v11, vcc_lo, s6, v11
	v_add_co_ci_u32_e32 v12, vcc_lo, s7, v12, vcc_lo
	global_load_b64 v[11:12], v[11:12], off
	s_waitcnt vmcnt(0)
	v_mul_f64 v[11:12], v[3:4], v[11:12]
	s_branch .LBB193_11
.LBB193_10:                             ;   in Loop: Header=BB193_11 Depth=2
	s_or_b32 exec_lo, exec_lo, s26
	v_add_co_u32 v9, vcc_lo, v9, 64
	v_add_co_ci_u32_e32 v10, vcc_lo, 0, v10, vcc_lo
	s_delay_alu instid0(VALU_DEP_1) | instskip(SKIP_1) | instid1(SALU_CYCLE_1)
	v_cmp_ge_i64_e32 vcc_lo, v[9:10], v[7:8]
	s_or_b32 s25, vcc_lo, s25
	s_and_not1_b32 exec_lo, exec_lo, s25
	s_cbranch_execz .LBB193_7
.LBB193_11:                             ;   Parent Loop BB193_8 Depth=1
                                        ; =>  This Loop Header: Depth=2
                                        ;       Child Loop BB193_13 Depth 3
                                        ;         Child Loop BB193_19 Depth 4
                                        ;         Child Loop BB193_25 Depth 4
	v_lshlrev_b64 v[13:14], 3, v[9:10]
	v_lshlrev_b64 v[15:16], 2, v[9:10]
	s_mov_b32 s26, 0
	s_delay_alu instid0(VALU_DEP_2) | instskip(NEXT) | instid1(VALU_DEP_3)
	v_add_co_u32 v13, vcc_lo, s12, v13
	v_add_co_ci_u32_e32 v14, vcc_lo, s13, v14, vcc_lo
	s_delay_alu instid0(VALU_DEP_3) | instskip(NEXT) | instid1(VALU_DEP_4)
	v_add_co_u32 v15, vcc_lo, s10, v15
	v_add_co_ci_u32_e32 v16, vcc_lo, s11, v16, vcc_lo
	global_load_b64 v[13:14], v[13:14], off
	global_load_b32 v15, v[15:16], off
	s_waitcnt vmcnt(1)
	v_mul_f64 v[13:14], v[11:12], v[13:14]
	s_waitcnt vmcnt(0)
	v_subrev_nc_u32_e32 v22, s17, v15
	s_delay_alu instid0(VALU_DEP_1) | instskip(NEXT) | instid1(VALU_DEP_1)
	v_mul_lo_u32 v15, 0x89, v22
	v_and_b32_e32 v23, 0x1fff, v15
	s_branch .LBB193_13
.LBB193_12:                             ;   in Loop: Header=BB193_13 Depth=3
	s_or_b32 exec_lo, exec_lo, s27
	s_xor_b32 s27, s28, -1
	s_delay_alu instid0(SALU_CYCLE_1) | instskip(NEXT) | instid1(SALU_CYCLE_1)
	s_and_b32 s27, exec_lo, s27
	s_or_b32 s26, s27, s26
	s_delay_alu instid0(SALU_CYCLE_1)
	s_and_not1_b32 exec_lo, exec_lo, s26
	s_cbranch_execz .LBB193_10
.LBB193_13:                             ;   Parent Loop BB193_8 Depth=1
                                        ;     Parent Loop BB193_11 Depth=2
                                        ; =>    This Loop Header: Depth=3
                                        ;         Child Loop BB193_19 Depth 4
                                        ;         Child Loop BB193_25 Depth 4
	s_delay_alu instid0(VALU_DEP_1)
	v_lshl_add_u32 v15, v23, 2, 0
	s_mov_b32 s27, exec_lo
                                        ; implicit-def: $sgpr28
	ds_load_b32 v16, v15
	s_waitcnt lgkmcnt(0)
	v_cmpx_ne_u32_e64 v16, v22
	s_xor_b32 s27, exec_lo, s27
	s_cbranch_execz .LBB193_23
; %bb.14:                               ;   in Loop: Header=BB193_13 Depth=3
	s_mov_b32 s29, exec_lo
                                        ; implicit-def: $sgpr28
	v_cmpx_ne_u32_e64 s24, v16
	s_xor_b32 s29, exec_lo, s29
; %bb.15:                               ;   in Loop: Header=BB193_13 Depth=3
	v_add_nc_u32_e32 v15, 1, v23
	s_mov_b32 s28, -1
	s_delay_alu instid0(VALU_DEP_1)
	v_and_b32_e32 v23, 0x1fff, v15
                                        ; implicit-def: $vgpr15
; %bb.16:                               ;   in Loop: Header=BB193_13 Depth=3
	s_and_not1_saveexec_b32 s29, s29
	s_cbranch_execz .LBB193_22
; %bb.17:                               ;   in Loop: Header=BB193_13 Depth=3
	v_mov_b32_e32 v16, s24
	s_mov_b32 s31, -1
	s_mov_b32 s30, exec_lo
	ds_cmpstore_rtn_b32 v16, v15, v22, v16
	s_waitcnt lgkmcnt(0)
	v_cmpx_eq_u32_e64 s24, v16
	s_cbranch_execz .LBB193_21
; %bb.18:                               ;   in Loop: Header=BB193_13 Depth=3
	v_lshlrev_b32_e32 v16, 2, v23
	s_mov_b32 s31, 0
	s_delay_alu instid0(VALU_DEP_1)
	v_add_nc_u32_e32 v24, v15, v16
	ds_load_b64 v[15:16], v24 offset:32768
.LBB193_19:                             ;   Parent Loop BB193_8 Depth=1
                                        ;     Parent Loop BB193_11 Depth=2
                                        ;       Parent Loop BB193_13 Depth=3
                                        ; =>      This Inner Loop Header: Depth=4
	s_waitcnt lgkmcnt(0)
	v_add_f64 v[25:26], v[15:16], v[13:14]
	ds_cmpstore_rtn_b64 v[25:26], v24, v[25:26], v[15:16] offset:32768
	s_waitcnt lgkmcnt(0)
	v_cmp_eq_u64_e32 vcc_lo, v[25:26], v[15:16]
	v_dual_mov_b32 v15, v25 :: v_dual_mov_b32 v16, v26
	s_or_b32 s31, vcc_lo, s31
	s_delay_alu instid0(SALU_CYCLE_1)
	s_and_not1_b32 exec_lo, exec_lo, s31
	s_cbranch_execnz .LBB193_19
; %bb.20:                               ;   in Loop: Header=BB193_13 Depth=3
	s_or_b32 exec_lo, exec_lo, s31
	s_delay_alu instid0(SALU_CYCLE_1)
	s_xor_b32 s31, exec_lo, -1
.LBB193_21:                             ;   in Loop: Header=BB193_13 Depth=3
	s_or_b32 exec_lo, exec_lo, s30
	s_delay_alu instid0(SALU_CYCLE_1) | instskip(SKIP_1) | instid1(SALU_CYCLE_1)
	s_and_not1_b32 s28, s28, exec_lo
	s_and_b32 s30, s31, exec_lo
	s_or_b32 s28, s28, s30
.LBB193_22:                             ;   in Loop: Header=BB193_13 Depth=3
	s_or_b32 exec_lo, exec_lo, s29
	s_delay_alu instid0(SALU_CYCLE_1)
	s_and_b32 s28, s28, exec_lo
                                        ; implicit-def: $vgpr15
.LBB193_23:                             ;   in Loop: Header=BB193_13 Depth=3
	s_and_not1_saveexec_b32 s27, s27
	s_cbranch_execz .LBB193_12
; %bb.24:                               ;   in Loop: Header=BB193_13 Depth=3
	v_lshlrev_b32_e32 v16, 2, v23
	s_mov_b32 s29, 0
	s_delay_alu instid0(VALU_DEP_1)
	v_add_nc_u32_e32 v24, v15, v16
	ds_load_b64 v[15:16], v24 offset:32768
.LBB193_25:                             ;   Parent Loop BB193_8 Depth=1
                                        ;     Parent Loop BB193_11 Depth=2
                                        ;       Parent Loop BB193_13 Depth=3
                                        ; =>      This Inner Loop Header: Depth=4
	s_waitcnt lgkmcnt(0)
	v_add_f64 v[25:26], v[15:16], v[13:14]
	ds_cmpstore_rtn_b64 v[25:26], v24, v[25:26], v[15:16] offset:32768
	s_waitcnt lgkmcnt(0)
	v_cmp_eq_u64_e32 vcc_lo, v[25:26], v[15:16]
	v_dual_mov_b32 v15, v25 :: v_dual_mov_b32 v16, v26
	s_or_b32 s29, vcc_lo, s29
	s_delay_alu instid0(SALU_CYCLE_1)
	s_and_not1_b32 exec_lo, exec_lo, s29
	s_cbranch_execnz .LBB193_25
; %bb.26:                               ;   in Loop: Header=BB193_13 Depth=3
	s_or_b32 exec_lo, exec_lo, s29
	s_delay_alu instid0(SALU_CYCLE_1)
	s_and_not1_b32 s28, s28, exec_lo
	s_branch .LBB193_12
.LBB193_27:
	s_or_b32 exec_lo, exec_lo, s15
.LBB193_28:
	s_clause 0x1
	s_load_b64 s[16:17], s[0:1], 0x80
	s_load_b64 s[22:23], s[0:1], 0x70
	s_and_not1_b32 vcc_lo, exec_lo, s14
	s_cbranch_vccnz .LBB193_49
; %bb.29:
	s_load_b64 s[2:3], s[0:1], 0x58
	s_waitcnt lgkmcnt(0)
	s_ashr_i32 s21, s20, 31
	s_delay_alu instid0(SALU_CYCLE_1) | instskip(NEXT) | instid1(SALU_CYCLE_1)
	s_lshl_b64 s[4:5], s[20:21], 3
	s_add_u32 s2, s2, s4
	s_addc_u32 s3, s3, s5
	s_load_b128 s[4:7], s[2:3], 0x0
	v_sub_co_u32 v3, s2, v0, s19
	s_delay_alu instid0(VALU_DEP_1) | instskip(SKIP_1) | instid1(VALU_DEP_2)
	v_sub_co_ci_u32_e64 v4, null, 0, 0, s2
	s_waitcnt lgkmcnt(0)
	v_add_co_u32 v3, vcc_lo, s4, v3
	s_delay_alu instid0(VALU_DEP_2)
	v_add_co_ci_u32_e32 v4, vcc_lo, s5, v4, vcc_lo
	s_sub_u32 s4, s6, s19
	s_subb_u32 s5, s7, 0
	s_mov_b32 s7, 0
	s_mov_b32 s6, exec_lo
	v_cmpx_gt_i64_e64 s[4:5], v[3:4]
	s_cbranch_execz .LBB193_48
; %bb.30:
	s_load_b128 s[0:3], s[0:1], 0x60
	s_branch .LBB193_32
.LBB193_31:                             ;   in Loop: Header=BB193_32 Depth=1
	s_or_b32 exec_lo, exec_lo, s8
	v_add_co_u32 v3, vcc_lo, 0x400, v3
	v_add_co_ci_u32_e32 v4, vcc_lo, 0, v4, vcc_lo
	s_delay_alu instid0(VALU_DEP_1) | instskip(SKIP_1) | instid1(SALU_CYCLE_1)
	v_cmp_le_i64_e32 vcc_lo, s[4:5], v[3:4]
	s_or_b32 s7, vcc_lo, s7
	s_and_not1_b32 exec_lo, exec_lo, s7
	s_cbranch_execz .LBB193_48
.LBB193_32:                             ; =>This Loop Header: Depth=1
                                        ;     Child Loop BB193_34 Depth 2
                                        ;       Child Loop BB193_40 Depth 3
                                        ;       Child Loop BB193_46 Depth 3
	v_lshlrev_b64 v[5:6], 3, v[3:4]
	v_lshlrev_b64 v[7:8], 2, v[3:4]
	s_mov_b32 s8, 0
	s_waitcnt lgkmcnt(0)
	s_delay_alu instid0(VALU_DEP_2) | instskip(NEXT) | instid1(VALU_DEP_3)
	v_add_co_u32 v5, vcc_lo, s2, v5
	v_add_co_ci_u32_e32 v6, vcc_lo, s3, v6, vcc_lo
	s_delay_alu instid0(VALU_DEP_3)
	v_add_co_u32 v7, vcc_lo, s0, v7
	v_add_co_ci_u32_e32 v8, vcc_lo, s1, v8, vcc_lo
	global_load_b64 v[5:6], v[5:6], off
	global_load_b32 v7, v[7:8], off
	s_waitcnt vmcnt(1)
	v_mul_f64 v[5:6], v[1:2], v[5:6]
	s_waitcnt vmcnt(0)
	v_subrev_nc_u32_e32 v9, s19, v7
	s_delay_alu instid0(VALU_DEP_1) | instskip(NEXT) | instid1(VALU_DEP_1)
	v_mul_lo_u32 v7, 0x89, v9
	v_and_b32_e32 v10, 0x1fff, v7
	s_branch .LBB193_34
.LBB193_33:                             ;   in Loop: Header=BB193_34 Depth=2
	s_or_b32 exec_lo, exec_lo, s9
	s_xor_b32 s9, s10, -1
	s_delay_alu instid0(SALU_CYCLE_1) | instskip(NEXT) | instid1(SALU_CYCLE_1)
	s_and_b32 s9, exec_lo, s9
	s_or_b32 s8, s9, s8
	s_delay_alu instid0(SALU_CYCLE_1)
	s_and_not1_b32 exec_lo, exec_lo, s8
	s_cbranch_execz .LBB193_31
.LBB193_34:                             ;   Parent Loop BB193_32 Depth=1
                                        ; =>  This Loop Header: Depth=2
                                        ;       Child Loop BB193_40 Depth 3
                                        ;       Child Loop BB193_46 Depth 3
	s_delay_alu instid0(VALU_DEP_1)
	v_lshl_add_u32 v7, v10, 2, 0
	s_mov_b32 s9, exec_lo
                                        ; implicit-def: $sgpr10
	ds_load_b32 v8, v7
	s_waitcnt lgkmcnt(0)
	v_cmpx_ne_u32_e64 v8, v9
	s_xor_b32 s9, exec_lo, s9
	s_cbranch_execz .LBB193_44
; %bb.35:                               ;   in Loop: Header=BB193_34 Depth=2
	s_mov_b32 s11, exec_lo
                                        ; implicit-def: $sgpr10
	v_cmpx_ne_u32_e64 s24, v8
	s_xor_b32 s11, exec_lo, s11
; %bb.36:                               ;   in Loop: Header=BB193_34 Depth=2
	v_add_nc_u32_e32 v7, 1, v10
	s_mov_b32 s10, -1
	s_delay_alu instid0(VALU_DEP_1)
	v_and_b32_e32 v10, 0x1fff, v7
                                        ; implicit-def: $vgpr7
; %bb.37:                               ;   in Loop: Header=BB193_34 Depth=2
	s_and_not1_saveexec_b32 s11, s11
	s_cbranch_execz .LBB193_43
; %bb.38:                               ;   in Loop: Header=BB193_34 Depth=2
	v_mov_b32_e32 v8, s24
	s_mov_b32 s13, -1
	s_mov_b32 s12, exec_lo
	ds_cmpstore_rtn_b32 v8, v7, v9, v8
	s_waitcnt lgkmcnt(0)
	v_cmpx_eq_u32_e64 s24, v8
	s_cbranch_execz .LBB193_42
; %bb.39:                               ;   in Loop: Header=BB193_34 Depth=2
	v_lshlrev_b32_e32 v8, 2, v10
	s_mov_b32 s13, 0
	s_delay_alu instid0(VALU_DEP_1)
	v_add_nc_u32_e32 v11, v7, v8
	ds_load_b64 v[7:8], v11 offset:32768
.LBB193_40:                             ;   Parent Loop BB193_32 Depth=1
                                        ;     Parent Loop BB193_34 Depth=2
                                        ; =>    This Inner Loop Header: Depth=3
	s_waitcnt lgkmcnt(0)
	v_add_f64 v[12:13], v[7:8], v[5:6]
	ds_cmpstore_rtn_b64 v[12:13], v11, v[12:13], v[7:8] offset:32768
	s_waitcnt lgkmcnt(0)
	v_cmp_eq_u64_e32 vcc_lo, v[12:13], v[7:8]
	v_dual_mov_b32 v7, v12 :: v_dual_mov_b32 v8, v13
	s_or_b32 s13, vcc_lo, s13
	s_delay_alu instid0(SALU_CYCLE_1)
	s_and_not1_b32 exec_lo, exec_lo, s13
	s_cbranch_execnz .LBB193_40
; %bb.41:                               ;   in Loop: Header=BB193_34 Depth=2
	s_or_b32 exec_lo, exec_lo, s13
	s_delay_alu instid0(SALU_CYCLE_1)
	s_xor_b32 s13, exec_lo, -1
.LBB193_42:                             ;   in Loop: Header=BB193_34 Depth=2
	s_or_b32 exec_lo, exec_lo, s12
	s_delay_alu instid0(SALU_CYCLE_1) | instskip(SKIP_1) | instid1(SALU_CYCLE_1)
	s_and_not1_b32 s10, s10, exec_lo
	s_and_b32 s12, s13, exec_lo
	s_or_b32 s10, s10, s12
.LBB193_43:                             ;   in Loop: Header=BB193_34 Depth=2
	s_or_b32 exec_lo, exec_lo, s11
	s_delay_alu instid0(SALU_CYCLE_1)
	s_and_b32 s10, s10, exec_lo
                                        ; implicit-def: $vgpr7
.LBB193_44:                             ;   in Loop: Header=BB193_34 Depth=2
	s_and_not1_saveexec_b32 s9, s9
	s_cbranch_execz .LBB193_33
; %bb.45:                               ;   in Loop: Header=BB193_34 Depth=2
	v_lshlrev_b32_e32 v8, 2, v10
	s_mov_b32 s11, 0
	s_delay_alu instid0(VALU_DEP_1)
	v_add_nc_u32_e32 v11, v7, v8
	ds_load_b64 v[7:8], v11 offset:32768
.LBB193_46:                             ;   Parent Loop BB193_32 Depth=1
                                        ;     Parent Loop BB193_34 Depth=2
                                        ; =>    This Inner Loop Header: Depth=3
	s_waitcnt lgkmcnt(0)
	v_add_f64 v[12:13], v[7:8], v[5:6]
	ds_cmpstore_rtn_b64 v[12:13], v11, v[12:13], v[7:8] offset:32768
	s_waitcnt lgkmcnt(0)
	v_cmp_eq_u64_e32 vcc_lo, v[12:13], v[7:8]
	v_dual_mov_b32 v7, v12 :: v_dual_mov_b32 v8, v13
	s_or_b32 s11, vcc_lo, s11
	s_delay_alu instid0(SALU_CYCLE_1)
	s_and_not1_b32 exec_lo, exec_lo, s11
	s_cbranch_execnz .LBB193_46
; %bb.47:                               ;   in Loop: Header=BB193_34 Depth=2
	s_or_b32 exec_lo, exec_lo, s11
	s_delay_alu instid0(SALU_CYCLE_1)
	s_and_not1_b32 s10, s10, exec_lo
	s_branch .LBB193_33
.LBB193_48:
	s_or_b32 exec_lo, exec_lo, s6
.LBB193_49:
	v_mbcnt_lo_u32_b32 v1, -1, 0
	v_dual_mov_b32 v7, 0 :: v_dual_lshlrev_b32 v2, 2, v19
	s_add_i32 s36, 0, 0x1803c
	v_cmp_eq_u32_e32 vcc_lo, 0x3ff, v0
	s_delay_alu instid0(VALU_DEP_3) | instskip(NEXT) | instid1(VALU_DEP_3)
	v_xor_b32_e32 v1, 63, v1
	v_add3_u32 v4, 0, 0x18000, v2
	v_cmp_lt_u32_e64 s0, 63, v0
	v_cmp_lt_u32_e64 s1, 0x7f, v0
	;; [unrolled: 1-line block ×3, first 2 shown]
	v_lshrrev_b64 v[1:2], v1, -1
	v_cmp_lt_u32_e64 s3, 0xff, v0
	v_cmp_lt_u32_e64 s4, 0x13f, v0
	;; [unrolled: 1-line block ×12, first 2 shown]
	v_add3_u32 v5, v18, 0, 0x8000
	v_or_b32_e32 v6, 0xfffffc00, v0
	v_mov_b32_e32 v8, s36
	s_mov_b32 s19, 0
	s_add_i32 s21, 0, 0x18000
	s_add_i32 s25, 0, 0x18004
	;; [unrolled: 1-line block ×15, first 2 shown]
	s_waitcnt lgkmcnt(0)
	s_barrier
	buffer_gl0_inv
	s_branch .LBB193_51
.LBB193_50:                             ;   in Loop: Header=BB193_51 Depth=1
	s_or_b32 exec_lo, exec_lo, s15
	s_waitcnt lgkmcnt(0)
	s_barrier
	buffer_gl0_inv
	ds_load_b32 v2, v8
	v_add_nc_u32_e32 v6, 0x400, v6
	v_add_nc_u32_e32 v5, 0x2000, v5
	;; [unrolled: 1-line block ×3, first 2 shown]
	s_delay_alu instid0(VALU_DEP_3) | instskip(NEXT) | instid1(VALU_DEP_1)
	v_cmp_lt_u32_e64 s15, 0x1bff, v6
	s_or_b32 s19, s15, s19
	s_waitcnt lgkmcnt(0)
	v_add_nc_u32_e32 v7, v2, v7
	s_and_not1_b32 exec_lo, exec_lo, s19
	s_cbranch_execz .LBB193_85
.LBB193_51:                             ; =>This Inner Loop Header: Depth=1
	ds_load_b32 v9, v17
	ds_load_b64 v[2:3], v5
	s_waitcnt lgkmcnt(0)
	s_barrier
	buffer_gl0_inv
	v_cmp_gt_i32_e64 s15, s24, v9
	s_delay_alu instid0(VALU_DEP_1) | instskip(NEXT) | instid1(SALU_CYCLE_1)
	s_bcnt1_i32_b32 s41, s15
	v_dual_mov_b32 v11, s41 :: v_dual_and_b32 v10, s15, v1
	s_delay_alu instid0(VALU_DEP_1)
	v_bcnt_u32_b32 v10, v10, 0
	ds_store_b32 v4, v11
	s_waitcnt lgkmcnt(0)
	s_barrier
	buffer_gl0_inv
	s_and_saveexec_b32 s41, s0
	s_cbranch_execnz .LBB193_68
; %bb.52:                               ;   in Loop: Header=BB193_51 Depth=1
	s_or_b32 exec_lo, exec_lo, s41
	s_and_saveexec_b32 s41, s1
	s_cbranch_execnz .LBB193_69
.LBB193_53:                             ;   in Loop: Header=BB193_51 Depth=1
	s_or_b32 exec_lo, exec_lo, s41
	s_and_saveexec_b32 s41, s2
	s_cbranch_execnz .LBB193_70
.LBB193_54:                             ;   in Loop: Header=BB193_51 Depth=1
	s_or_b32 exec_lo, exec_lo, s41
	s_and_saveexec_b32 s41, s3
	s_cbranch_execnz .LBB193_71
.LBB193_55:                             ;   in Loop: Header=BB193_51 Depth=1
	s_or_b32 exec_lo, exec_lo, s41
	s_and_saveexec_b32 s41, s4
	s_cbranch_execnz .LBB193_72
.LBB193_56:                             ;   in Loop: Header=BB193_51 Depth=1
	s_or_b32 exec_lo, exec_lo, s41
	s_and_saveexec_b32 s41, s5
	s_cbranch_execnz .LBB193_73
.LBB193_57:                             ;   in Loop: Header=BB193_51 Depth=1
	s_or_b32 exec_lo, exec_lo, s41
	s_and_saveexec_b32 s41, s6
	s_cbranch_execnz .LBB193_74
.LBB193_58:                             ;   in Loop: Header=BB193_51 Depth=1
	s_or_b32 exec_lo, exec_lo, s41
	s_and_saveexec_b32 s41, s7
	s_cbranch_execnz .LBB193_75
.LBB193_59:                             ;   in Loop: Header=BB193_51 Depth=1
	s_or_b32 exec_lo, exec_lo, s41
	s_and_saveexec_b32 s41, s8
	s_cbranch_execnz .LBB193_76
.LBB193_60:                             ;   in Loop: Header=BB193_51 Depth=1
	s_or_b32 exec_lo, exec_lo, s41
	s_and_saveexec_b32 s41, s9
	s_cbranch_execnz .LBB193_77
.LBB193_61:                             ;   in Loop: Header=BB193_51 Depth=1
	s_or_b32 exec_lo, exec_lo, s41
	s_and_saveexec_b32 s41, s10
	s_cbranch_execnz .LBB193_78
.LBB193_62:                             ;   in Loop: Header=BB193_51 Depth=1
	s_or_b32 exec_lo, exec_lo, s41
	s_and_saveexec_b32 s41, s11
	s_cbranch_execnz .LBB193_79
.LBB193_63:                             ;   in Loop: Header=BB193_51 Depth=1
	s_or_b32 exec_lo, exec_lo, s41
	s_and_saveexec_b32 s41, s12
	s_cbranch_execnz .LBB193_80
.LBB193_64:                             ;   in Loop: Header=BB193_51 Depth=1
	s_or_b32 exec_lo, exec_lo, s41
	s_and_saveexec_b32 s41, s13
	s_cbranch_execnz .LBB193_81
.LBB193_65:                             ;   in Loop: Header=BB193_51 Depth=1
	s_or_b32 exec_lo, exec_lo, s41
	s_and_saveexec_b32 s41, s14
	s_cbranch_execnz .LBB193_82
.LBB193_66:                             ;   in Loop: Header=BB193_51 Depth=1
	s_or_b32 exec_lo, exec_lo, s41
	s_and_saveexec_b32 s41, s15
	s_cbranch_execnz .LBB193_83
.LBB193_67:                             ;   in Loop: Header=BB193_51 Depth=1
	s_or_b32 exec_lo, exec_lo, s41
	s_and_saveexec_b32 s15, vcc_lo
	s_cbranch_execz .LBB193_50
	s_branch .LBB193_84
.LBB193_68:                             ;   in Loop: Header=BB193_51 Depth=1
	v_mov_b32_e32 v11, s21
	ds_load_b32 v11, v11
	s_waitcnt lgkmcnt(0)
	v_add_nc_u32_e32 v10, v11, v10
	s_or_b32 exec_lo, exec_lo, s41
	s_and_saveexec_b32 s41, s1
	s_cbranch_execz .LBB193_53
.LBB193_69:                             ;   in Loop: Header=BB193_51 Depth=1
	v_mov_b32_e32 v11, s25
	ds_load_b32 v11, v11
	s_waitcnt lgkmcnt(0)
	v_add_nc_u32_e32 v10, v11, v10
	s_or_b32 exec_lo, exec_lo, s41
	s_and_saveexec_b32 s41, s2
	s_cbranch_execz .LBB193_54
.LBB193_70:                             ;   in Loop: Header=BB193_51 Depth=1
	v_mov_b32_e32 v11, s26
	ds_load_b32 v11, v11
	s_waitcnt lgkmcnt(0)
	v_add_nc_u32_e32 v10, v11, v10
	s_or_b32 exec_lo, exec_lo, s41
	s_and_saveexec_b32 s41, s3
	s_cbranch_execz .LBB193_55
.LBB193_71:                             ;   in Loop: Header=BB193_51 Depth=1
	v_mov_b32_e32 v11, s27
	ds_load_b32 v11, v11
	s_waitcnt lgkmcnt(0)
	v_add_nc_u32_e32 v10, v11, v10
	s_or_b32 exec_lo, exec_lo, s41
	s_and_saveexec_b32 s41, s4
	s_cbranch_execz .LBB193_56
.LBB193_72:                             ;   in Loop: Header=BB193_51 Depth=1
	v_mov_b32_e32 v11, s28
	ds_load_b32 v11, v11
	s_waitcnt lgkmcnt(0)
	v_add_nc_u32_e32 v10, v11, v10
	s_or_b32 exec_lo, exec_lo, s41
	s_and_saveexec_b32 s41, s5
	s_cbranch_execz .LBB193_57
.LBB193_73:                             ;   in Loop: Header=BB193_51 Depth=1
	v_mov_b32_e32 v11, s29
	ds_load_b32 v11, v11
	s_waitcnt lgkmcnt(0)
	v_add_nc_u32_e32 v10, v11, v10
	s_or_b32 exec_lo, exec_lo, s41
	s_and_saveexec_b32 s41, s6
	s_cbranch_execz .LBB193_58
.LBB193_74:                             ;   in Loop: Header=BB193_51 Depth=1
	v_mov_b32_e32 v11, s30
	ds_load_b32 v11, v11
	s_waitcnt lgkmcnt(0)
	v_add_nc_u32_e32 v10, v11, v10
	s_or_b32 exec_lo, exec_lo, s41
	s_and_saveexec_b32 s41, s7
	s_cbranch_execz .LBB193_59
.LBB193_75:                             ;   in Loop: Header=BB193_51 Depth=1
	v_mov_b32_e32 v11, s31
	ds_load_b32 v11, v11
	s_waitcnt lgkmcnt(0)
	v_add_nc_u32_e32 v10, v11, v10
	s_or_b32 exec_lo, exec_lo, s41
	s_and_saveexec_b32 s41, s8
	s_cbranch_execz .LBB193_60
.LBB193_76:                             ;   in Loop: Header=BB193_51 Depth=1
	v_mov_b32_e32 v11, s33
	ds_load_b32 v11, v11
	s_waitcnt lgkmcnt(0)
	v_add_nc_u32_e32 v10, v11, v10
	s_or_b32 exec_lo, exec_lo, s41
	s_and_saveexec_b32 s41, s9
	s_cbranch_execz .LBB193_61
.LBB193_77:                             ;   in Loop: Header=BB193_51 Depth=1
	v_mov_b32_e32 v11, s34
	ds_load_b32 v11, v11
	s_waitcnt lgkmcnt(0)
	v_add_nc_u32_e32 v10, v11, v10
	s_or_b32 exec_lo, exec_lo, s41
	s_and_saveexec_b32 s41, s10
	s_cbranch_execz .LBB193_62
.LBB193_78:                             ;   in Loop: Header=BB193_51 Depth=1
	v_mov_b32_e32 v11, s35
	ds_load_b32 v11, v11
	s_waitcnt lgkmcnt(0)
	v_add_nc_u32_e32 v10, v11, v10
	s_or_b32 exec_lo, exec_lo, s41
	s_and_saveexec_b32 s41, s11
	s_cbranch_execz .LBB193_63
.LBB193_79:                             ;   in Loop: Header=BB193_51 Depth=1
	v_mov_b32_e32 v11, s37
	ds_load_b32 v11, v11
	s_waitcnt lgkmcnt(0)
	v_add_nc_u32_e32 v10, v11, v10
	s_or_b32 exec_lo, exec_lo, s41
	s_and_saveexec_b32 s41, s12
	s_cbranch_execz .LBB193_64
.LBB193_80:                             ;   in Loop: Header=BB193_51 Depth=1
	v_mov_b32_e32 v11, s38
	ds_load_b32 v11, v11
	s_waitcnt lgkmcnt(0)
	v_add_nc_u32_e32 v10, v11, v10
	s_or_b32 exec_lo, exec_lo, s41
	s_and_saveexec_b32 s41, s13
	s_cbranch_execz .LBB193_65
.LBB193_81:                             ;   in Loop: Header=BB193_51 Depth=1
	v_mov_b32_e32 v11, s39
	ds_load_b32 v11, v11
	s_waitcnt lgkmcnt(0)
	v_add_nc_u32_e32 v10, v11, v10
	s_or_b32 exec_lo, exec_lo, s41
	s_and_saveexec_b32 s41, s14
	s_cbranch_execz .LBB193_66
.LBB193_82:                             ;   in Loop: Header=BB193_51 Depth=1
	v_mov_b32_e32 v11, s40
	ds_load_b32 v11, v11
	s_waitcnt lgkmcnt(0)
	v_add_nc_u32_e32 v10, v11, v10
	s_or_b32 exec_lo, exec_lo, s41
	s_and_saveexec_b32 s41, s15
	s_cbranch_execz .LBB193_67
.LBB193_83:                             ;   in Loop: Header=BB193_51 Depth=1
	s_delay_alu instid0(VALU_DEP_1) | instskip(NEXT) | instid1(VALU_DEP_1)
	v_add3_u32 v11, v7, -1, v10
	v_lshl_add_u32 v12, v11, 2, 0
	v_lshl_add_u32 v11, v11, 3, 0
	ds_store_b32 v12, v9
	ds_store_b64 v11, v[2:3] offset:32768
	s_or_b32 exec_lo, exec_lo, s41
	s_and_saveexec_b32 s15, vcc_lo
	s_cbranch_execz .LBB193_50
.LBB193_84:                             ;   in Loop: Header=BB193_51 Depth=1
	v_mov_b32_e32 v2, s36
	ds_store_b32 v2, v10
	s_branch .LBB193_50
.LBB193_85:
	s_or_b32 exec_lo, exec_lo, s19
	s_ashr_i32 s21, s20, 31
	s_mov_b32 s4, exec_lo
	s_lshl_b64 s[0:1], s[20:21], 3
	s_delay_alu instid0(SALU_CYCLE_1) | instskip(SKIP_4) | instid1(SALU_CYCLE_1)
	s_add_u32 s0, s22, s0
	s_addc_u32 s1, s23, s1
	s_load_b128 s[0:3], s[0:1], 0x0
	s_waitcnt lgkmcnt(0)
	s_sub_i32 s3, s2, s0
	v_cmpx_gt_i32_e64 s3, v0
	s_cbranch_execz .LBB193_95
; %bb.86:
	s_sub_u32 s4, s0, s18
	s_subb_u32 s5, s1, 0
	s_sub_i32 s0, s0, s2
	s_and_b32 s1, s3, 7
	s_cmp_lt_u32 s0, -7
	s_mov_b32 s8, 0
	s_cselect_b32 s2, -1, 0
	s_and_b32 s6, s3, -8
	s_cmp_lg_u32 s1, 0
	s_cselect_b32 s7, -1, 0
	s_branch .LBB193_88
.LBB193_87:                             ;   in Loop: Header=BB193_88 Depth=1
	s_delay_alu instid0(VALU_DEP_1) | instskip(SKIP_1) | instid1(VALU_DEP_1)
	v_lshlrev_b64 v[3:4], 3, v[3:4]
	v_add_nc_u32_e32 v0, 0x400, v0
	v_cmp_le_i32_e32 vcc_lo, s3, v0
	s_delay_alu instid0(VALU_DEP_3) | instskip(NEXT) | instid1(VALU_DEP_1)
	v_add_co_u32 v3, s0, s16, v3
	v_add_co_ci_u32_e64 v4, s0, s17, v4, s0
	s_or_b32 s8, vcc_lo, s8
	s_waitcnt lgkmcnt(0)
	global_store_b64 v[3:4], v[1:2], off
	s_and_not1_b32 exec_lo, exec_lo, s8
	s_cbranch_execz .LBB193_95
.LBB193_88:                             ; =>This Loop Header: Depth=1
                                        ;     Child Loop BB193_90 Depth 2
                                        ;     Child Loop BB193_94 Depth 2
	v_lshlrev_b32_e32 v1, 2, v0
	v_dual_mov_b32 v3, s4 :: v_dual_mov_b32 v4, s5
	s_and_not1_b32 vcc_lo, exec_lo, s2
	s_mov_b32 s0, 0
	s_delay_alu instid0(VALU_DEP_2) | instskip(NEXT) | instid1(VALU_DEP_1)
	v_add_nc_u32_e32 v2, 0, v1
	v_add_nc_u32_e32 v1, v2, v1
	ds_load_b32 v5, v2
	ds_load_b64 v[1:2], v1 offset:32768
	s_cbranch_vccnz .LBB193_92
; %bb.89:                               ;   in Loop: Header=BB193_88 Depth=1
	v_dual_mov_b32 v3, s4 :: v_dual_mov_b32 v4, s5
	s_mov_b32 s9, 0
	s_mov_b32 s10, 0
.LBB193_90:                             ;   Parent Loop BB193_88 Depth=1
                                        ; =>  This Inner Loop Header: Depth=2
	s_delay_alu instid0(SALU_CYCLE_1)
	v_mov_b32_e32 v12, s10
	s_add_i32 s9, s9, 8
	s_add_i32 s10, s10, 32
	s_cmp_eq_u32 s6, s9
	ds_load_2addr_b32 v[6:7], v12 offset1:1
	ds_load_2addr_b32 v[8:9], v12 offset0:2 offset1:3
	ds_load_2addr_b32 v[10:11], v12 offset0:4 offset1:5
	ds_load_2addr_b32 v[12:13], v12 offset0:6 offset1:7
	s_waitcnt lgkmcnt(3)
	v_cmp_gt_i32_e32 vcc_lo, v5, v6
	v_cndmask_b32_e64 v6, 0, 1, vcc_lo
	v_cmp_gt_i32_e32 vcc_lo, v5, v7
	v_cndmask_b32_e64 v7, 0, 1, vcc_lo
	s_waitcnt lgkmcnt(2)
	v_cmp_gt_i32_e32 vcc_lo, v5, v8
	v_cndmask_b32_e64 v8, 0, 1, vcc_lo
	v_cmp_gt_i32_e32 vcc_lo, v5, v9
	v_cndmask_b32_e64 v9, 0, 1, vcc_lo
	s_waitcnt lgkmcnt(1)
	v_cmp_gt_i32_e32 vcc_lo, v5, v10
	v_cndmask_b32_e64 v10, 0, 1, vcc_lo
	v_add_co_u32 v3, vcc_lo, v3, v6
	v_add_co_ci_u32_e32 v4, vcc_lo, 0, v4, vcc_lo
	v_cmp_gt_i32_e32 vcc_lo, v5, v11
	s_delay_alu instid0(VALU_DEP_3) | instskip(NEXT) | instid1(VALU_DEP_1)
	v_add_co_u32 v3, s0, v3, v7
	v_add_co_ci_u32_e64 v4, s0, 0, v4, s0
	v_cndmask_b32_e64 v6, 0, 1, vcc_lo
	s_delay_alu instid0(VALU_DEP_3) | instskip(NEXT) | instid1(VALU_DEP_3)
	v_add_co_u32 v3, vcc_lo, v3, v8
	v_add_co_ci_u32_e32 v4, vcc_lo, 0, v4, vcc_lo
	s_waitcnt lgkmcnt(0)
	v_cmp_gt_i32_e32 vcc_lo, v5, v12
	s_delay_alu instid0(VALU_DEP_3) | instskip(NEXT) | instid1(VALU_DEP_1)
	v_add_co_u32 v3, s0, v3, v9
	v_add_co_ci_u32_e64 v4, s0, 0, v4, s0
	v_cndmask_b32_e64 v7, 0, 1, vcc_lo
	s_delay_alu instid0(VALU_DEP_3) | instskip(NEXT) | instid1(VALU_DEP_3)
	v_add_co_u32 v3, vcc_lo, v3, v10
	v_add_co_ci_u32_e32 v4, vcc_lo, 0, v4, vcc_lo
	v_cmp_gt_i32_e32 vcc_lo, v5, v13
	s_delay_alu instid0(VALU_DEP_3) | instskip(NEXT) | instid1(VALU_DEP_1)
	v_add_co_u32 v3, s0, v3, v6
	v_add_co_ci_u32_e64 v4, s0, 0, v4, s0
	v_cndmask_b32_e64 v6, 0, 1, vcc_lo
	s_delay_alu instid0(VALU_DEP_3) | instskip(NEXT) | instid1(VALU_DEP_3)
	v_add_co_u32 v3, vcc_lo, v3, v7
	v_add_co_ci_u32_e32 v4, vcc_lo, 0, v4, vcc_lo
	s_delay_alu instid0(VALU_DEP_2) | instskip(NEXT) | instid1(VALU_DEP_2)
	v_add_co_u32 v3, vcc_lo, v3, v6
	v_add_co_ci_u32_e32 v4, vcc_lo, 0, v4, vcc_lo
	s_cbranch_scc0 .LBB193_90
; %bb.91:                               ;   in Loop: Header=BB193_88 Depth=1
	s_mov_b32 s0, s6
.LBB193_92:                             ;   in Loop: Header=BB193_88 Depth=1
	s_and_not1_b32 vcc_lo, exec_lo, s7
	s_cbranch_vccnz .LBB193_87
; %bb.93:                               ;   in Loop: Header=BB193_88 Depth=1
	s_lshl_b32 s0, s0, 2
	s_mov_b32 s9, s1
	s_add_i32 s0, s0, 0
.LBB193_94:                             ;   Parent Loop BB193_88 Depth=1
                                        ; =>  This Inner Loop Header: Depth=2
	s_delay_alu instid0(SALU_CYCLE_1)
	v_mov_b32_e32 v6, s0
	s_add_i32 s9, s9, -1
	s_add_i32 s0, s0, 4
	s_cmp_lg_u32 s9, 0
	ds_load_b32 v6, v6
	s_waitcnt lgkmcnt(0)
	v_cmp_gt_i32_e32 vcc_lo, v5, v6
	v_cndmask_b32_e64 v6, 0, 1, vcc_lo
	s_delay_alu instid0(VALU_DEP_1)
	v_add_co_u32 v3, vcc_lo, v3, v6
	v_add_co_ci_u32_e32 v4, vcc_lo, 0, v4, vcc_lo
	s_cbranch_scc1 .LBB193_94
	s_branch .LBB193_87
.LBB193_95:
	s_nop 0
	s_sendmsg sendmsg(MSG_DEALLOC_VGPRS)
	s_endpgm
	.section	.rodata,"a",@progbits
	.p2align	6, 0x0
	.amdhsa_kernel _ZN9rocsparseL41csrgemm_numeric_fill_block_per_row_kernelILj1024ELj64ELj8192ELj137ELj64ElidEEvT5_PKS1_S3_NS_24const_host_device_scalarIT6_EEPKT4_S3_PKS5_S9_S3_SB_S6_S9_S3_SB_S9_S3_PS5_21rocsparse_index_base_SD_SD_SD_bbb
		.amdhsa_group_segment_fixed_size 0
		.amdhsa_private_segment_fixed_size 0
		.amdhsa_kernarg_size 156
		.amdhsa_user_sgpr_count 15
		.amdhsa_user_sgpr_dispatch_ptr 0
		.amdhsa_user_sgpr_queue_ptr 0
		.amdhsa_user_sgpr_kernarg_segment_ptr 1
		.amdhsa_user_sgpr_dispatch_id 0
		.amdhsa_user_sgpr_private_segment_size 0
		.amdhsa_wavefront_size32 1
		.amdhsa_uses_dynamic_stack 0
		.amdhsa_enable_private_segment 0
		.amdhsa_system_sgpr_workgroup_id_x 1
		.amdhsa_system_sgpr_workgroup_id_y 0
		.amdhsa_system_sgpr_workgroup_id_z 0
		.amdhsa_system_sgpr_workgroup_info 0
		.amdhsa_system_vgpr_workitem_id 0
		.amdhsa_next_free_vgpr 27
		.amdhsa_next_free_sgpr 42
		.amdhsa_reserve_vcc 1
		.amdhsa_float_round_mode_32 0
		.amdhsa_float_round_mode_16_64 0
		.amdhsa_float_denorm_mode_32 3
		.amdhsa_float_denorm_mode_16_64 3
		.amdhsa_dx10_clamp 1
		.amdhsa_ieee_mode 1
		.amdhsa_fp16_overflow 0
		.amdhsa_workgroup_processor_mode 1
		.amdhsa_memory_ordered 1
		.amdhsa_forward_progress 0
		.amdhsa_shared_vgpr_count 0
		.amdhsa_exception_fp_ieee_invalid_op 0
		.amdhsa_exception_fp_denorm_src 0
		.amdhsa_exception_fp_ieee_div_zero 0
		.amdhsa_exception_fp_ieee_overflow 0
		.amdhsa_exception_fp_ieee_underflow 0
		.amdhsa_exception_fp_ieee_inexact 0
		.amdhsa_exception_int_div_zero 0
	.end_amdhsa_kernel
	.section	.text._ZN9rocsparseL41csrgemm_numeric_fill_block_per_row_kernelILj1024ELj64ELj8192ELj137ELj64ElidEEvT5_PKS1_S3_NS_24const_host_device_scalarIT6_EEPKT4_S3_PKS5_S9_S3_SB_S6_S9_S3_SB_S9_S3_PS5_21rocsparse_index_base_SD_SD_SD_bbb,"axG",@progbits,_ZN9rocsparseL41csrgemm_numeric_fill_block_per_row_kernelILj1024ELj64ELj8192ELj137ELj64ElidEEvT5_PKS1_S3_NS_24const_host_device_scalarIT6_EEPKT4_S3_PKS5_S9_S3_SB_S6_S9_S3_SB_S9_S3_PS5_21rocsparse_index_base_SD_SD_SD_bbb,comdat
.Lfunc_end193:
	.size	_ZN9rocsparseL41csrgemm_numeric_fill_block_per_row_kernelILj1024ELj64ELj8192ELj137ELj64ElidEEvT5_PKS1_S3_NS_24const_host_device_scalarIT6_EEPKT4_S3_PKS5_S9_S3_SB_S6_S9_S3_SB_S9_S3_PS5_21rocsparse_index_base_SD_SD_SD_bbb, .Lfunc_end193-_ZN9rocsparseL41csrgemm_numeric_fill_block_per_row_kernelILj1024ELj64ELj8192ELj137ELj64ElidEEvT5_PKS1_S3_NS_24const_host_device_scalarIT6_EEPKT4_S3_PKS5_S9_S3_SB_S6_S9_S3_SB_S9_S3_PS5_21rocsparse_index_base_SD_SD_SD_bbb
                                        ; -- End function
	.section	.AMDGPU.csdata,"",@progbits
; Kernel info:
; codeLenInByte = 4020
; NumSgprs: 44
; NumVgprs: 27
; ScratchSize: 0
; MemoryBound: 0
; FloatMode: 240
; IeeeMode: 1
; LDSByteSize: 0 bytes/workgroup (compile time only)
; SGPRBlocks: 5
; VGPRBlocks: 3
; NumSGPRsForWavesPerEU: 44
; NumVGPRsForWavesPerEU: 27
; Occupancy: 16
; WaveLimiterHint : 1
; COMPUTE_PGM_RSRC2:SCRATCH_EN: 0
; COMPUTE_PGM_RSRC2:USER_SGPR: 15
; COMPUTE_PGM_RSRC2:TRAP_HANDLER: 0
; COMPUTE_PGM_RSRC2:TGID_X_EN: 1
; COMPUTE_PGM_RSRC2:TGID_Y_EN: 0
; COMPUTE_PGM_RSRC2:TGID_Z_EN: 0
; COMPUTE_PGM_RSRC2:TIDIG_COMP_CNT: 0
	.section	.text._ZN9rocsparseL41csrgemm_numeric_fill_block_per_row_kernelILj1024ELj64ELj16384ELj137ELj32ElidEEvT5_PKS1_S3_NS_24const_host_device_scalarIT6_EEPKT4_S3_PKS5_S9_S3_SB_S6_S9_S3_SB_S9_S3_PS5_21rocsparse_index_base_SD_SD_SD_bbb,"axG",@progbits,_ZN9rocsparseL41csrgemm_numeric_fill_block_per_row_kernelILj1024ELj64ELj16384ELj137ELj32ElidEEvT5_PKS1_S3_NS_24const_host_device_scalarIT6_EEPKT4_S3_PKS5_S9_S3_SB_S6_S9_S3_SB_S9_S3_PS5_21rocsparse_index_base_SD_SD_SD_bbb,comdat
	.globl	_ZN9rocsparseL41csrgemm_numeric_fill_block_per_row_kernelILj1024ELj64ELj16384ELj137ELj32ElidEEvT5_PKS1_S3_NS_24const_host_device_scalarIT6_EEPKT4_S3_PKS5_S9_S3_SB_S6_S9_S3_SB_S9_S3_PS5_21rocsparse_index_base_SD_SD_SD_bbb ; -- Begin function _ZN9rocsparseL41csrgemm_numeric_fill_block_per_row_kernelILj1024ELj64ELj16384ELj137ELj32ElidEEvT5_PKS1_S3_NS_24const_host_device_scalarIT6_EEPKT4_S3_PKS5_S9_S3_SB_S6_S9_S3_SB_S9_S3_PS5_21rocsparse_index_base_SD_SD_SD_bbb
	.p2align	8
	.type	_ZN9rocsparseL41csrgemm_numeric_fill_block_per_row_kernelILj1024ELj64ELj16384ELj137ELj32ElidEEvT5_PKS1_S3_NS_24const_host_device_scalarIT6_EEPKT4_S3_PKS5_S9_S3_SB_S6_S9_S3_SB_S9_S3_PS5_21rocsparse_index_base_SD_SD_SD_bbb,@function
_ZN9rocsparseL41csrgemm_numeric_fill_block_per_row_kernelILj1024ELj64ELj16384ELj137ELj32ElidEEvT5_PKS1_S3_NS_24const_host_device_scalarIT6_EEPKT4_S3_PKS5_S9_S3_SB_S6_S9_S3_SB_S9_S3_PS5_21rocsparse_index_base_SD_SD_SD_bbb: ; @_ZN9rocsparseL41csrgemm_numeric_fill_block_per_row_kernelILj1024ELj64ELj16384ELj137ELj32ElidEEvT5_PKS1_S3_NS_24const_host_device_scalarIT6_EEPKT4_S3_PKS5_S9_S3_SB_S6_S9_S3_SB_S9_S3_PS5_21rocsparse_index_base_SD_SD_SD_bbb
; %bb.0:
	s_clause 0x3
	s_load_b32 s12, s[0:1], 0x98
	s_load_b64 s[4:5], s[0:1], 0x18
	s_load_b128 s[44:47], s[0:1], 0x88
	s_load_b64 s[2:3], s[0:1], 0x50
	s_waitcnt lgkmcnt(0)
	s_and_b32 s6, 1, s12
	s_bitcmp1_b32 s12, 16
	s_cselect_b32 s14, -1, 0
	s_cmp_eq_u32 s6, 1
	s_cselect_b32 s13, -1, 0
	s_delay_alu instid0(SALU_CYCLE_1)
	s_and_b32 s6, s13, exec_lo
	s_cselect_b32 s7, s5, 0
	s_cselect_b32 s6, s4, 0
	s_xor_b32 s8, s13, -1
	v_dual_mov_b32 v3, s6 :: v_dual_mov_b32 v4, s7
	s_or_b32 s8, s8, s14
	s_delay_alu instid0(SALU_CYCLE_1)
	s_and_b32 vcc_lo, exec_lo, s8
	s_cbranch_vccnz .LBB194_2
; %bb.1:
	v_dual_mov_b32 v1, s4 :: v_dual_mov_b32 v2, s5
	flat_load_b64 v[3:4], v[1:2]
.LBB194_2:
	s_clause 0x4
	s_load_b64 s[34:35], s[0:1], 0x80
	s_load_b256 s[36:43], s[0:1], 0x58
	s_load_b128 s[16:19], s[0:1], 0x40
	s_load_b128 s[20:23], s[0:1], 0x8
	s_load_b256 s[4:11], s[0:1], 0x20
	s_bitcmp1_b32 s12, 8
	s_cselect_b32 s12, -1, 0
	s_delay_alu instid0(SALU_CYCLE_1)
	s_and_b32 s24, s12, exec_lo
	s_cselect_b32 s25, s3, 0
	s_cselect_b32 s24, s2, 0
	s_xor_b32 s26, s12, -1
	v_dual_mov_b32 v1, s24 :: v_dual_mov_b32 v2, s25
	s_or_b32 s14, s26, s14
	s_delay_alu instid0(SALU_CYCLE_1)
	s_and_b32 vcc_lo, exec_lo, s14
	s_cbranch_vccnz .LBB194_4
; %bb.3:
	v_dual_mov_b32 v1, s2 :: v_dual_mov_b32 v2, s3
	flat_load_b64 v[1:2], v[1:2]
.LBB194_4:
	s_load_b32 s33, s[0:1], 0x0
	v_dual_mov_b32 v5, 0 :: v_dual_lshlrev_b32 v6, 3, v0
	v_lshl_add_u32 v17, v0, 2, 0
	v_or_b32_e32 v19, 0xfffffc00, v0
	s_mov_b32 s0, 0
	s_delay_alu instid0(VALU_DEP_3) | instskip(SKIP_1) | instid1(VALU_DEP_3)
	v_add3_u32 v18, v6, 0, 0x10000
	v_mov_b32_e32 v6, v5
	v_dual_mov_b32 v7, v17 :: v_dual_mov_b32 v10, v19
	s_waitcnt lgkmcnt(0)
	s_delay_alu instid0(VALU_DEP_3)
	v_dual_mov_b32 v8, v18 :: v_dual_mov_b32 v9, s33
.LBB194_5:                              ; =>This Inner Loop Header: Depth=1
	s_delay_alu instid0(VALU_DEP_2)
	v_add_nc_u32_e32 v10, 0x400, v10
	ds_store_b32 v7, v9
	ds_store_b64 v8, v[5:6]
	v_add_nc_u32_e32 v8, 0x2000, v8
	v_add_nc_u32_e32 v7, 0x1000, v7
	v_cmp_lt_u32_e32 vcc_lo, 0x3bff, v10
	s_or_b32 s0, vcc_lo, s0
	s_delay_alu instid0(SALU_CYCLE_1)
	s_and_not1_b32 exec_lo, exec_lo, s0
	s_cbranch_execnz .LBB194_5
; %bb.6:
	s_or_b32 exec_lo, exec_lo, s0
	s_waitcnt vmcnt(0) lgkmcnt(0)
	s_barrier
	buffer_gl0_inv
	s_load_b32 s0, s[20:21], 0x0
	s_mov_b32 s1, 0
	s_waitcnt lgkmcnt(0)
	s_add_i32 s0, s0, s15
	s_delay_alu instid0(SALU_CYCLE_1) | instskip(NEXT) | instid1(SALU_CYCLE_1)
	s_lshl_b64 s[0:1], s[0:1], 2
	s_add_u32 s0, s22, s0
	s_addc_u32 s1, s23, s1
	s_and_b32 vcc_lo, exec_lo, s13
	s_load_b32 s48, s[0:1], 0x0
	s_cbranch_vccz .LBB194_30
; %bb.7:
	s_waitcnt lgkmcnt(0)
	s_ashr_i32 s49, s48, 31
	v_lshrrev_b32_e32 v5, 6, v0
	s_lshl_b64 s[0:1], s[48:49], 3
	s_delay_alu instid0(SALU_CYCLE_1) | instskip(SKIP_1) | instid1(VALU_DEP_1)
	s_add_u32 s0, s4, s0
	s_addc_u32 s1, s5, s1
	v_sub_co_u32 v5, s4, v5, s44
	s_load_b128 s[0:3], s[0:1], 0x0
	v_sub_co_ci_u32_e64 v6, null, 0, 0, s4
	s_waitcnt lgkmcnt(0)
	s_delay_alu instid0(VALU_DEP_2) | instskip(NEXT) | instid1(VALU_DEP_2)
	v_add_co_u32 v5, vcc_lo, s0, v5
	v_add_co_ci_u32_e32 v6, vcc_lo, s1, v6, vcc_lo
	s_sub_u32 s0, s2, s44
	s_subb_u32 s1, s3, 0
	s_mov_b32 s2, exec_lo
	s_delay_alu instid0(VALU_DEP_1)
	v_cmpx_gt_i64_e64 s[0:1], v[5:6]
	s_cbranch_execz .LBB194_29
; %bb.8:
	v_and_b32_e32 v7, 63, v0
	s_mov_b32 s4, s45
	s_delay_alu instid0(VALU_DEP_1) | instskip(NEXT) | instid1(VALU_DEP_1)
	v_sub_co_u32 v20, s3, v7, s45
	v_sub_co_ci_u32_e64 v21, null, 0, 0, s3
	s_mov_b32 s3, 0
	s_branch .LBB194_10
.LBB194_9:                              ;   in Loop: Header=BB194_10 Depth=1
	s_or_b32 exec_lo, exec_lo, s5
	v_add_co_u32 v5, vcc_lo, v5, 16
	v_add_co_ci_u32_e32 v6, vcc_lo, 0, v6, vcc_lo
	s_delay_alu instid0(VALU_DEP_1) | instskip(SKIP_1) | instid1(SALU_CYCLE_1)
	v_cmp_le_i64_e32 vcc_lo, s[0:1], v[5:6]
	s_or_b32 s3, vcc_lo, s3
	s_and_not1_b32 exec_lo, exec_lo, s3
	s_cbranch_execz .LBB194_29
.LBB194_10:                             ; =>This Loop Header: Depth=1
                                        ;     Child Loop BB194_13 Depth 2
                                        ;       Child Loop BB194_15 Depth 3
                                        ;         Child Loop BB194_21 Depth 4
                                        ;         Child Loop BB194_27 Depth 4
	v_lshlrev_b64 v[7:8], 2, v[5:6]
	s_mov_b32 s5, exec_lo
	s_delay_alu instid0(VALU_DEP_1) | instskip(NEXT) | instid1(VALU_DEP_2)
	v_add_co_u32 v7, vcc_lo, s6, v7
	v_add_co_ci_u32_e32 v8, vcc_lo, s7, v8, vcc_lo
	global_load_b32 v7, v[7:8], off
	s_waitcnt vmcnt(0)
	v_subrev_nc_u32_e32 v7, s44, v7
	s_delay_alu instid0(VALU_DEP_1) | instskip(NEXT) | instid1(VALU_DEP_1)
	v_ashrrev_i32_e32 v8, 31, v7
	v_lshlrev_b64 v[7:8], 3, v[7:8]
	s_delay_alu instid0(VALU_DEP_1) | instskip(NEXT) | instid1(VALU_DEP_2)
	v_add_co_u32 v7, vcc_lo, s10, v7
	v_add_co_ci_u32_e32 v8, vcc_lo, s11, v8, vcc_lo
	global_load_b128 v[9:12], v[7:8], off
	s_waitcnt vmcnt(0)
	v_sub_co_u32 v7, vcc_lo, v11, s4
	v_subrev_co_ci_u32_e32 v8, vcc_lo, 0, v12, vcc_lo
	v_add_co_u32 v9, vcc_lo, v9, v20
	v_add_co_ci_u32_e32 v10, vcc_lo, v10, v21, vcc_lo
	s_delay_alu instid0(VALU_DEP_1)
	v_cmpx_lt_i64_e64 v[9:10], v[7:8]
	s_cbranch_execz .LBB194_9
; %bb.11:                               ;   in Loop: Header=BB194_10 Depth=1
	v_lshlrev_b64 v[11:12], 3, v[5:6]
	s_mov_b32 s13, 0
	s_delay_alu instid0(VALU_DEP_1) | instskip(NEXT) | instid1(VALU_DEP_2)
	v_add_co_u32 v11, vcc_lo, s8, v11
	v_add_co_ci_u32_e32 v12, vcc_lo, s9, v12, vcc_lo
	global_load_b64 v[11:12], v[11:12], off
	s_waitcnt vmcnt(0)
	v_mul_f64 v[11:12], v[3:4], v[11:12]
	s_branch .LBB194_13
.LBB194_12:                             ;   in Loop: Header=BB194_13 Depth=2
	s_or_b32 exec_lo, exec_lo, s14
	v_add_co_u32 v9, vcc_lo, v9, 64
	v_add_co_ci_u32_e32 v10, vcc_lo, 0, v10, vcc_lo
	s_delay_alu instid0(VALU_DEP_1) | instskip(SKIP_1) | instid1(SALU_CYCLE_1)
	v_cmp_ge_i64_e32 vcc_lo, v[9:10], v[7:8]
	s_or_b32 s13, vcc_lo, s13
	s_and_not1_b32 exec_lo, exec_lo, s13
	s_cbranch_execz .LBB194_9
.LBB194_13:                             ;   Parent Loop BB194_10 Depth=1
                                        ; =>  This Loop Header: Depth=2
                                        ;       Child Loop BB194_15 Depth 3
                                        ;         Child Loop BB194_21 Depth 4
                                        ;         Child Loop BB194_27 Depth 4
	v_lshlrev_b64 v[13:14], 3, v[9:10]
	v_lshlrev_b64 v[15:16], 2, v[9:10]
	s_mov_b32 s14, 0
	s_delay_alu instid0(VALU_DEP_2) | instskip(NEXT) | instid1(VALU_DEP_3)
	v_add_co_u32 v13, vcc_lo, s18, v13
	v_add_co_ci_u32_e32 v14, vcc_lo, s19, v14, vcc_lo
	s_delay_alu instid0(VALU_DEP_3) | instskip(NEXT) | instid1(VALU_DEP_4)
	v_add_co_u32 v15, vcc_lo, s16, v15
	v_add_co_ci_u32_e32 v16, vcc_lo, s17, v16, vcc_lo
	global_load_b64 v[13:14], v[13:14], off
	global_load_b32 v15, v[15:16], off
	s_waitcnt vmcnt(1)
	v_mul_f64 v[13:14], v[11:12], v[13:14]
	s_waitcnt vmcnt(0)
	v_subrev_nc_u32_e32 v22, s45, v15
	s_delay_alu instid0(VALU_DEP_1) | instskip(NEXT) | instid1(VALU_DEP_1)
	v_mul_lo_u32 v15, 0x89, v22
	v_and_b32_e32 v23, 0x3fff, v15
	s_branch .LBB194_15
.LBB194_14:                             ;   in Loop: Header=BB194_15 Depth=3
	s_or_b32 exec_lo, exec_lo, s15
	s_xor_b32 s15, s20, -1
	s_delay_alu instid0(SALU_CYCLE_1) | instskip(NEXT) | instid1(SALU_CYCLE_1)
	s_and_b32 s15, exec_lo, s15
	s_or_b32 s14, s15, s14
	s_delay_alu instid0(SALU_CYCLE_1)
	s_and_not1_b32 exec_lo, exec_lo, s14
	s_cbranch_execz .LBB194_12
.LBB194_15:                             ;   Parent Loop BB194_10 Depth=1
                                        ;     Parent Loop BB194_13 Depth=2
                                        ; =>    This Loop Header: Depth=3
                                        ;         Child Loop BB194_21 Depth 4
                                        ;         Child Loop BB194_27 Depth 4
	s_delay_alu instid0(VALU_DEP_1)
	v_lshl_add_u32 v15, v23, 2, 0
	s_mov_b32 s15, exec_lo
                                        ; implicit-def: $sgpr20
	ds_load_b32 v16, v15
	s_waitcnt lgkmcnt(0)
	v_cmpx_ne_u32_e64 v16, v22
	s_xor_b32 s15, exec_lo, s15
	s_cbranch_execz .LBB194_25
; %bb.16:                               ;   in Loop: Header=BB194_15 Depth=3
	s_mov_b32 s21, exec_lo
                                        ; implicit-def: $sgpr20
	v_cmpx_ne_u32_e64 s33, v16
	s_xor_b32 s21, exec_lo, s21
; %bb.17:                               ;   in Loop: Header=BB194_15 Depth=3
	v_add_nc_u32_e32 v15, 1, v23
	s_mov_b32 s20, -1
	s_delay_alu instid0(VALU_DEP_1)
	v_and_b32_e32 v23, 0x3fff, v15
                                        ; implicit-def: $vgpr15
; %bb.18:                               ;   in Loop: Header=BB194_15 Depth=3
	s_and_not1_saveexec_b32 s21, s21
	s_cbranch_execz .LBB194_24
; %bb.19:                               ;   in Loop: Header=BB194_15 Depth=3
	v_mov_b32_e32 v16, s33
	s_mov_b32 s23, -1
	s_mov_b32 s22, exec_lo
	ds_cmpstore_rtn_b32 v15, v15, v22, v16
	s_waitcnt lgkmcnt(0)
	v_cmpx_eq_u32_e64 s33, v15
	s_cbranch_execz .LBB194_23
; %bb.20:                               ;   in Loop: Header=BB194_15 Depth=3
	v_lshlrev_b32_e32 v15, 3, v23
	s_mov_b32 s23, 0
	s_delay_alu instid0(VALU_DEP_1)
	v_add3_u32 v24, 0, v15, 0x10000
	ds_load_b64 v[15:16], v24
.LBB194_21:                             ;   Parent Loop BB194_10 Depth=1
                                        ;     Parent Loop BB194_13 Depth=2
                                        ;       Parent Loop BB194_15 Depth=3
                                        ; =>      This Inner Loop Header: Depth=4
	s_waitcnt lgkmcnt(0)
	v_add_f64 v[25:26], v[15:16], v[13:14]
	ds_cmpstore_rtn_b64 v[25:26], v24, v[25:26], v[15:16]
	s_waitcnt lgkmcnt(0)
	v_cmp_eq_u64_e32 vcc_lo, v[25:26], v[15:16]
	v_dual_mov_b32 v15, v25 :: v_dual_mov_b32 v16, v26
	s_or_b32 s23, vcc_lo, s23
	s_delay_alu instid0(SALU_CYCLE_1)
	s_and_not1_b32 exec_lo, exec_lo, s23
	s_cbranch_execnz .LBB194_21
; %bb.22:                               ;   in Loop: Header=BB194_15 Depth=3
	s_or_b32 exec_lo, exec_lo, s23
	s_delay_alu instid0(SALU_CYCLE_1)
	s_xor_b32 s23, exec_lo, -1
.LBB194_23:                             ;   in Loop: Header=BB194_15 Depth=3
	s_or_b32 exec_lo, exec_lo, s22
	s_delay_alu instid0(SALU_CYCLE_1) | instskip(SKIP_1) | instid1(SALU_CYCLE_1)
	s_and_not1_b32 s20, s20, exec_lo
	s_and_b32 s22, s23, exec_lo
	s_or_b32 s20, s20, s22
.LBB194_24:                             ;   in Loop: Header=BB194_15 Depth=3
	s_or_b32 exec_lo, exec_lo, s21
	s_delay_alu instid0(SALU_CYCLE_1)
	s_and_b32 s20, s20, exec_lo
.LBB194_25:                             ;   in Loop: Header=BB194_15 Depth=3
	s_and_not1_saveexec_b32 s15, s15
	s_cbranch_execz .LBB194_14
; %bb.26:                               ;   in Loop: Header=BB194_15 Depth=3
	v_lshlrev_b32_e32 v15, 3, v23
	s_mov_b32 s21, 0
	s_delay_alu instid0(VALU_DEP_1)
	v_add3_u32 v24, 0, v15, 0x10000
	ds_load_b64 v[15:16], v24
.LBB194_27:                             ;   Parent Loop BB194_10 Depth=1
                                        ;     Parent Loop BB194_13 Depth=2
                                        ;       Parent Loop BB194_15 Depth=3
                                        ; =>      This Inner Loop Header: Depth=4
	s_waitcnt lgkmcnt(0)
	v_add_f64 v[25:26], v[15:16], v[13:14]
	ds_cmpstore_rtn_b64 v[25:26], v24, v[25:26], v[15:16]
	s_waitcnt lgkmcnt(0)
	v_cmp_eq_u64_e32 vcc_lo, v[25:26], v[15:16]
	v_dual_mov_b32 v15, v25 :: v_dual_mov_b32 v16, v26
	s_or_b32 s21, vcc_lo, s21
	s_delay_alu instid0(SALU_CYCLE_1)
	s_and_not1_b32 exec_lo, exec_lo, s21
	s_cbranch_execnz .LBB194_27
; %bb.28:                               ;   in Loop: Header=BB194_15 Depth=3
	s_or_b32 exec_lo, exec_lo, s21
	s_delay_alu instid0(SALU_CYCLE_1)
	s_and_not1_b32 s20, s20, exec_lo
	s_branch .LBB194_14
.LBB194_29:
	s_or_b32 exec_lo, exec_lo, s2
.LBB194_30:
	s_delay_alu instid0(SALU_CYCLE_1)
	s_and_not1_b32 vcc_lo, exec_lo, s12
	s_cbranch_vccnz .LBB194_33
; %bb.31:
	s_waitcnt lgkmcnt(0)
	s_ashr_i32 s49, s48, 31
	v_sub_co_u32 v3, s4, v0, s47
	s_lshl_b64 s[0:1], s[48:49], 3
	v_sub_co_ci_u32_e64 v4, null, 0, 0, s4
	s_add_u32 s0, s36, s0
	s_addc_u32 s1, s37, s1
	s_load_b128 s[0:3], s[0:1], 0x0
	s_waitcnt lgkmcnt(0)
	v_add_co_u32 v3, vcc_lo, s0, v3
	v_add_co_ci_u32_e32 v4, vcc_lo, s1, v4, vcc_lo
	s_sub_u32 s0, s2, s47
	s_subb_u32 s1, s3, 0
	s_mov_b32 s3, 0
	s_mov_b32 s2, exec_lo
	v_cmpx_gt_i64_e64 s[0:1], v[3:4]
	s_cbranch_execnz .LBB194_102
.LBB194_32:
	s_or_b32 exec_lo, exec_lo, s2
.LBB194_33:
	v_mbcnt_lo_u32_b32 v1, -1, 0
	v_lshrrev_b32_e32 v2, 3, v0
	s_add_i32 s68, 0, 0x3007c
	v_cmp_eq_u32_e32 vcc_lo, 0x3ff, v0
	v_cmp_lt_u32_e64 s0, 31, v0
	v_xor_b32_e32 v1, 63, v1
	v_dual_mov_b32 v6, s68 :: v_dual_and_b32 v3, 0x7c, v2
	v_cmp_lt_u32_e64 s1, 63, v0
	v_cmp_lt_u32_e64 s2, 0x5f, v0
	s_delay_alu instid0(VALU_DEP_4) | instskip(NEXT) | instid1(VALU_DEP_4)
	v_lshrrev_b64 v[1:2], v1, -1
	v_add3_u32 v4, 0, 0x30000, v3
	v_cmp_lt_u32_e64 s3, 0x7f, v0
	v_cmp_lt_u32_e64 s4, 0x9f, v0
	;; [unrolled: 1-line block ×28, first 2 shown]
	v_mov_b32_e32 v5, 0
	s_mov_b32 s36, 0
	s_add_i32 s37, 0, 0x30000
	s_add_i32 s38, 0, 0x30004
	;; [unrolled: 1-line block ×31, first 2 shown]
	s_waitcnt lgkmcnt(0)
	s_barrier
	buffer_gl0_inv
	s_branch .LBB194_35
.LBB194_34:                             ;   in Loop: Header=BB194_35 Depth=1
	s_or_b32 exec_lo, exec_lo, s31
	s_waitcnt lgkmcnt(0)
	s_barrier
	buffer_gl0_inv
	ds_load_b32 v2, v6
	v_add_nc_u32_e32 v19, 0x400, v19
	v_add_nc_u32_e32 v18, 0x2000, v18
	;; [unrolled: 1-line block ×3, first 2 shown]
	s_delay_alu instid0(VALU_DEP_3) | instskip(NEXT) | instid1(VALU_DEP_1)
	v_cmp_lt_u32_e64 s31, 0x3bff, v19
	s_or_b32 s36, s31, s36
	s_waitcnt lgkmcnt(0)
	v_add_nc_u32_e32 v5, v2, v5
	s_and_not1_b32 exec_lo, exec_lo, s36
	s_cbranch_execz .LBB194_118
.LBB194_35:                             ; =>This Inner Loop Header: Depth=1
	ds_load_b32 v7, v17
	ds_load_b64 v[2:3], v18
	s_waitcnt lgkmcnt(0)
	s_barrier
	buffer_gl0_inv
	v_cmp_gt_i32_e64 s31, s33, v7
	s_delay_alu instid0(VALU_DEP_1) | instskip(NEXT) | instid1(SALU_CYCLE_1)
	s_bcnt1_i32_b32 s73, s31
	v_dual_mov_b32 v9, s73 :: v_dual_and_b32 v8, s31, v1
	s_delay_alu instid0(VALU_DEP_1)
	v_bcnt_u32_b32 v8, v8, 0
	ds_store_b32 v4, v9
	s_waitcnt lgkmcnt(0)
	s_barrier
	buffer_gl0_inv
	s_and_saveexec_b32 s73, s0
	s_cbranch_execnz .LBB194_68
; %bb.36:                               ;   in Loop: Header=BB194_35 Depth=1
	s_or_b32 exec_lo, exec_lo, s73
	s_and_saveexec_b32 s73, s1
	s_cbranch_execnz .LBB194_69
.LBB194_37:                             ;   in Loop: Header=BB194_35 Depth=1
	s_or_b32 exec_lo, exec_lo, s73
	s_and_saveexec_b32 s73, s2
	s_cbranch_execnz .LBB194_70
.LBB194_38:                             ;   in Loop: Header=BB194_35 Depth=1
	s_or_b32 exec_lo, exec_lo, s73
	s_and_saveexec_b32 s73, s3
	s_cbranch_execnz .LBB194_71
.LBB194_39:                             ;   in Loop: Header=BB194_35 Depth=1
	s_or_b32 exec_lo, exec_lo, s73
	s_and_saveexec_b32 s73, s4
	s_cbranch_execnz .LBB194_72
.LBB194_40:                             ;   in Loop: Header=BB194_35 Depth=1
	s_or_b32 exec_lo, exec_lo, s73
	s_and_saveexec_b32 s73, s5
	s_cbranch_execnz .LBB194_73
.LBB194_41:                             ;   in Loop: Header=BB194_35 Depth=1
	s_or_b32 exec_lo, exec_lo, s73
	s_and_saveexec_b32 s73, s6
	s_cbranch_execnz .LBB194_74
.LBB194_42:                             ;   in Loop: Header=BB194_35 Depth=1
	s_or_b32 exec_lo, exec_lo, s73
	s_and_saveexec_b32 s73, s7
	s_cbranch_execnz .LBB194_75
.LBB194_43:                             ;   in Loop: Header=BB194_35 Depth=1
	s_or_b32 exec_lo, exec_lo, s73
	s_and_saveexec_b32 s73, s8
	s_cbranch_execnz .LBB194_76
.LBB194_44:                             ;   in Loop: Header=BB194_35 Depth=1
	s_or_b32 exec_lo, exec_lo, s73
	s_and_saveexec_b32 s73, s9
	s_cbranch_execnz .LBB194_77
.LBB194_45:                             ;   in Loop: Header=BB194_35 Depth=1
	s_or_b32 exec_lo, exec_lo, s73
	s_and_saveexec_b32 s73, s10
	s_cbranch_execnz .LBB194_78
.LBB194_46:                             ;   in Loop: Header=BB194_35 Depth=1
	s_or_b32 exec_lo, exec_lo, s73
	s_and_saveexec_b32 s73, s11
	s_cbranch_execnz .LBB194_79
.LBB194_47:                             ;   in Loop: Header=BB194_35 Depth=1
	s_or_b32 exec_lo, exec_lo, s73
	s_and_saveexec_b32 s73, s12
	s_cbranch_execnz .LBB194_80
.LBB194_48:                             ;   in Loop: Header=BB194_35 Depth=1
	s_or_b32 exec_lo, exec_lo, s73
	s_and_saveexec_b32 s73, s13
	s_cbranch_execnz .LBB194_81
.LBB194_49:                             ;   in Loop: Header=BB194_35 Depth=1
	s_or_b32 exec_lo, exec_lo, s73
	s_and_saveexec_b32 s73, s14
	s_cbranch_execnz .LBB194_82
.LBB194_50:                             ;   in Loop: Header=BB194_35 Depth=1
	s_or_b32 exec_lo, exec_lo, s73
	s_and_saveexec_b32 s73, s15
	s_cbranch_execnz .LBB194_83
.LBB194_51:                             ;   in Loop: Header=BB194_35 Depth=1
	s_or_b32 exec_lo, exec_lo, s73
	s_and_saveexec_b32 s73, s16
	s_cbranch_execnz .LBB194_84
.LBB194_52:                             ;   in Loop: Header=BB194_35 Depth=1
	s_or_b32 exec_lo, exec_lo, s73
	s_and_saveexec_b32 s73, s17
	s_cbranch_execnz .LBB194_85
.LBB194_53:                             ;   in Loop: Header=BB194_35 Depth=1
	s_or_b32 exec_lo, exec_lo, s73
	s_and_saveexec_b32 s73, s18
	s_cbranch_execnz .LBB194_86
.LBB194_54:                             ;   in Loop: Header=BB194_35 Depth=1
	s_or_b32 exec_lo, exec_lo, s73
	s_and_saveexec_b32 s73, s19
	s_cbranch_execnz .LBB194_87
.LBB194_55:                             ;   in Loop: Header=BB194_35 Depth=1
	s_or_b32 exec_lo, exec_lo, s73
	s_and_saveexec_b32 s73, s20
	s_cbranch_execnz .LBB194_88
.LBB194_56:                             ;   in Loop: Header=BB194_35 Depth=1
	s_or_b32 exec_lo, exec_lo, s73
	s_and_saveexec_b32 s73, s21
	s_cbranch_execnz .LBB194_89
.LBB194_57:                             ;   in Loop: Header=BB194_35 Depth=1
	s_or_b32 exec_lo, exec_lo, s73
	s_and_saveexec_b32 s73, s22
	s_cbranch_execnz .LBB194_90
.LBB194_58:                             ;   in Loop: Header=BB194_35 Depth=1
	s_or_b32 exec_lo, exec_lo, s73
	s_and_saveexec_b32 s73, s23
	s_cbranch_execnz .LBB194_91
.LBB194_59:                             ;   in Loop: Header=BB194_35 Depth=1
	s_or_b32 exec_lo, exec_lo, s73
	s_and_saveexec_b32 s73, s24
	s_cbranch_execnz .LBB194_92
.LBB194_60:                             ;   in Loop: Header=BB194_35 Depth=1
	s_or_b32 exec_lo, exec_lo, s73
	s_and_saveexec_b32 s73, s25
	s_cbranch_execnz .LBB194_93
.LBB194_61:                             ;   in Loop: Header=BB194_35 Depth=1
	s_or_b32 exec_lo, exec_lo, s73
	s_and_saveexec_b32 s73, s26
	s_cbranch_execnz .LBB194_94
.LBB194_62:                             ;   in Loop: Header=BB194_35 Depth=1
	s_or_b32 exec_lo, exec_lo, s73
	s_and_saveexec_b32 s73, s27
	s_cbranch_execnz .LBB194_95
.LBB194_63:                             ;   in Loop: Header=BB194_35 Depth=1
	s_or_b32 exec_lo, exec_lo, s73
	s_and_saveexec_b32 s73, s28
	s_cbranch_execnz .LBB194_96
.LBB194_64:                             ;   in Loop: Header=BB194_35 Depth=1
	s_or_b32 exec_lo, exec_lo, s73
	s_and_saveexec_b32 s73, s29
	s_cbranch_execnz .LBB194_97
.LBB194_65:                             ;   in Loop: Header=BB194_35 Depth=1
	s_or_b32 exec_lo, exec_lo, s73
	s_and_saveexec_b32 s73, s30
	s_cbranch_execnz .LBB194_98
.LBB194_66:                             ;   in Loop: Header=BB194_35 Depth=1
	s_or_b32 exec_lo, exec_lo, s73
	s_and_saveexec_b32 s73, s31
	s_cbranch_execnz .LBB194_99
.LBB194_67:                             ;   in Loop: Header=BB194_35 Depth=1
	s_or_b32 exec_lo, exec_lo, s73
	s_and_saveexec_b32 s31, vcc_lo
	s_cbranch_execz .LBB194_34
	s_branch .LBB194_100
.LBB194_68:                             ;   in Loop: Header=BB194_35 Depth=1
	v_mov_b32_e32 v9, s37
	ds_load_b32 v9, v9
	s_waitcnt lgkmcnt(0)
	v_add_nc_u32_e32 v8, v9, v8
	s_or_b32 exec_lo, exec_lo, s73
	s_and_saveexec_b32 s73, s1
	s_cbranch_execz .LBB194_37
.LBB194_69:                             ;   in Loop: Header=BB194_35 Depth=1
	v_mov_b32_e32 v9, s38
	ds_load_b32 v9, v9
	s_waitcnt lgkmcnt(0)
	v_add_nc_u32_e32 v8, v9, v8
	s_or_b32 exec_lo, exec_lo, s73
	s_and_saveexec_b32 s73, s2
	s_cbranch_execz .LBB194_38
.LBB194_70:                             ;   in Loop: Header=BB194_35 Depth=1
	v_mov_b32_e32 v9, s39
	ds_load_b32 v9, v9
	s_waitcnt lgkmcnt(0)
	v_add_nc_u32_e32 v8, v9, v8
	s_or_b32 exec_lo, exec_lo, s73
	s_and_saveexec_b32 s73, s3
	s_cbranch_execz .LBB194_39
.LBB194_71:                             ;   in Loop: Header=BB194_35 Depth=1
	v_mov_b32_e32 v9, s40
	ds_load_b32 v9, v9
	s_waitcnt lgkmcnt(0)
	v_add_nc_u32_e32 v8, v9, v8
	s_or_b32 exec_lo, exec_lo, s73
	s_and_saveexec_b32 s73, s4
	s_cbranch_execz .LBB194_40
.LBB194_72:                             ;   in Loop: Header=BB194_35 Depth=1
	v_mov_b32_e32 v9, s41
	ds_load_b32 v9, v9
	s_waitcnt lgkmcnt(0)
	v_add_nc_u32_e32 v8, v9, v8
	s_or_b32 exec_lo, exec_lo, s73
	s_and_saveexec_b32 s73, s5
	s_cbranch_execz .LBB194_41
.LBB194_73:                             ;   in Loop: Header=BB194_35 Depth=1
	v_mov_b32_e32 v9, s44
	ds_load_b32 v9, v9
	s_waitcnt lgkmcnt(0)
	v_add_nc_u32_e32 v8, v9, v8
	s_or_b32 exec_lo, exec_lo, s73
	s_and_saveexec_b32 s73, s6
	s_cbranch_execz .LBB194_42
.LBB194_74:                             ;   in Loop: Header=BB194_35 Depth=1
	v_mov_b32_e32 v9, s45
	ds_load_b32 v9, v9
	s_waitcnt lgkmcnt(0)
	v_add_nc_u32_e32 v8, v9, v8
	s_or_b32 exec_lo, exec_lo, s73
	s_and_saveexec_b32 s73, s7
	s_cbranch_execz .LBB194_43
.LBB194_75:                             ;   in Loop: Header=BB194_35 Depth=1
	v_mov_b32_e32 v9, s47
	ds_load_b32 v9, v9
	s_waitcnt lgkmcnt(0)
	v_add_nc_u32_e32 v8, v9, v8
	s_or_b32 exec_lo, exec_lo, s73
	s_and_saveexec_b32 s73, s8
	s_cbranch_execz .LBB194_44
.LBB194_76:                             ;   in Loop: Header=BB194_35 Depth=1
	v_mov_b32_e32 v9, s49
	ds_load_b32 v9, v9
	s_waitcnt lgkmcnt(0)
	v_add_nc_u32_e32 v8, v9, v8
	s_or_b32 exec_lo, exec_lo, s73
	s_and_saveexec_b32 s73, s9
	s_cbranch_execz .LBB194_45
.LBB194_77:                             ;   in Loop: Header=BB194_35 Depth=1
	v_mov_b32_e32 v9, s50
	ds_load_b32 v9, v9
	s_waitcnt lgkmcnt(0)
	v_add_nc_u32_e32 v8, v9, v8
	s_or_b32 exec_lo, exec_lo, s73
	s_and_saveexec_b32 s73, s10
	s_cbranch_execz .LBB194_46
.LBB194_78:                             ;   in Loop: Header=BB194_35 Depth=1
	v_mov_b32_e32 v9, s51
	ds_load_b32 v9, v9
	s_waitcnt lgkmcnt(0)
	v_add_nc_u32_e32 v8, v9, v8
	s_or_b32 exec_lo, exec_lo, s73
	s_and_saveexec_b32 s73, s11
	s_cbranch_execz .LBB194_47
.LBB194_79:                             ;   in Loop: Header=BB194_35 Depth=1
	v_mov_b32_e32 v9, s52
	ds_load_b32 v9, v9
	s_waitcnt lgkmcnt(0)
	v_add_nc_u32_e32 v8, v9, v8
	s_or_b32 exec_lo, exec_lo, s73
	s_and_saveexec_b32 s73, s12
	s_cbranch_execz .LBB194_48
.LBB194_80:                             ;   in Loop: Header=BB194_35 Depth=1
	v_mov_b32_e32 v9, s53
	ds_load_b32 v9, v9
	s_waitcnt lgkmcnt(0)
	v_add_nc_u32_e32 v8, v9, v8
	s_or_b32 exec_lo, exec_lo, s73
	s_and_saveexec_b32 s73, s13
	s_cbranch_execz .LBB194_49
.LBB194_81:                             ;   in Loop: Header=BB194_35 Depth=1
	v_mov_b32_e32 v9, s54
	ds_load_b32 v9, v9
	s_waitcnt lgkmcnt(0)
	v_add_nc_u32_e32 v8, v9, v8
	s_or_b32 exec_lo, exec_lo, s73
	s_and_saveexec_b32 s73, s14
	s_cbranch_execz .LBB194_50
.LBB194_82:                             ;   in Loop: Header=BB194_35 Depth=1
	v_mov_b32_e32 v9, s55
	ds_load_b32 v9, v9
	s_waitcnt lgkmcnt(0)
	v_add_nc_u32_e32 v8, v9, v8
	s_or_b32 exec_lo, exec_lo, s73
	s_and_saveexec_b32 s73, s15
	s_cbranch_execz .LBB194_51
.LBB194_83:                             ;   in Loop: Header=BB194_35 Depth=1
	v_mov_b32_e32 v9, s56
	ds_load_b32 v9, v9
	s_waitcnt lgkmcnt(0)
	v_add_nc_u32_e32 v8, v9, v8
	s_or_b32 exec_lo, exec_lo, s73
	s_and_saveexec_b32 s73, s16
	s_cbranch_execz .LBB194_52
.LBB194_84:                             ;   in Loop: Header=BB194_35 Depth=1
	v_mov_b32_e32 v9, s57
	ds_load_b32 v9, v9
	s_waitcnt lgkmcnt(0)
	v_add_nc_u32_e32 v8, v9, v8
	s_or_b32 exec_lo, exec_lo, s73
	s_and_saveexec_b32 s73, s17
	s_cbranch_execz .LBB194_53
.LBB194_85:                             ;   in Loop: Header=BB194_35 Depth=1
	v_mov_b32_e32 v9, s58
	ds_load_b32 v9, v9
	s_waitcnt lgkmcnt(0)
	v_add_nc_u32_e32 v8, v9, v8
	s_or_b32 exec_lo, exec_lo, s73
	s_and_saveexec_b32 s73, s18
	s_cbranch_execz .LBB194_54
.LBB194_86:                             ;   in Loop: Header=BB194_35 Depth=1
	v_mov_b32_e32 v9, s59
	ds_load_b32 v9, v9
	s_waitcnt lgkmcnt(0)
	v_add_nc_u32_e32 v8, v9, v8
	s_or_b32 exec_lo, exec_lo, s73
	s_and_saveexec_b32 s73, s19
	s_cbranch_execz .LBB194_55
.LBB194_87:                             ;   in Loop: Header=BB194_35 Depth=1
	v_mov_b32_e32 v9, s60
	ds_load_b32 v9, v9
	s_waitcnt lgkmcnt(0)
	v_add_nc_u32_e32 v8, v9, v8
	s_or_b32 exec_lo, exec_lo, s73
	s_and_saveexec_b32 s73, s20
	s_cbranch_execz .LBB194_56
.LBB194_88:                             ;   in Loop: Header=BB194_35 Depth=1
	v_mov_b32_e32 v9, s61
	ds_load_b32 v9, v9
	s_waitcnt lgkmcnt(0)
	v_add_nc_u32_e32 v8, v9, v8
	s_or_b32 exec_lo, exec_lo, s73
	s_and_saveexec_b32 s73, s21
	s_cbranch_execz .LBB194_57
.LBB194_89:                             ;   in Loop: Header=BB194_35 Depth=1
	v_mov_b32_e32 v9, s62
	ds_load_b32 v9, v9
	s_waitcnt lgkmcnt(0)
	v_add_nc_u32_e32 v8, v9, v8
	s_or_b32 exec_lo, exec_lo, s73
	s_and_saveexec_b32 s73, s22
	s_cbranch_execz .LBB194_58
.LBB194_90:                             ;   in Loop: Header=BB194_35 Depth=1
	v_mov_b32_e32 v9, s63
	ds_load_b32 v9, v9
	s_waitcnt lgkmcnt(0)
	v_add_nc_u32_e32 v8, v9, v8
	s_or_b32 exec_lo, exec_lo, s73
	s_and_saveexec_b32 s73, s23
	s_cbranch_execz .LBB194_59
.LBB194_91:                             ;   in Loop: Header=BB194_35 Depth=1
	v_mov_b32_e32 v9, s64
	ds_load_b32 v9, v9
	s_waitcnt lgkmcnt(0)
	v_add_nc_u32_e32 v8, v9, v8
	s_or_b32 exec_lo, exec_lo, s73
	s_and_saveexec_b32 s73, s24
	s_cbranch_execz .LBB194_60
.LBB194_92:                             ;   in Loop: Header=BB194_35 Depth=1
	v_mov_b32_e32 v9, s65
	ds_load_b32 v9, v9
	s_waitcnt lgkmcnt(0)
	v_add_nc_u32_e32 v8, v9, v8
	s_or_b32 exec_lo, exec_lo, s73
	s_and_saveexec_b32 s73, s25
	s_cbranch_execz .LBB194_61
.LBB194_93:                             ;   in Loop: Header=BB194_35 Depth=1
	v_mov_b32_e32 v9, s66
	ds_load_b32 v9, v9
	s_waitcnt lgkmcnt(0)
	v_add_nc_u32_e32 v8, v9, v8
	s_or_b32 exec_lo, exec_lo, s73
	s_and_saveexec_b32 s73, s26
	s_cbranch_execz .LBB194_62
.LBB194_94:                             ;   in Loop: Header=BB194_35 Depth=1
	v_mov_b32_e32 v9, s67
	ds_load_b32 v9, v9
	s_waitcnt lgkmcnt(0)
	v_add_nc_u32_e32 v8, v9, v8
	s_or_b32 exec_lo, exec_lo, s73
	s_and_saveexec_b32 s73, s27
	s_cbranch_execz .LBB194_63
.LBB194_95:                             ;   in Loop: Header=BB194_35 Depth=1
	v_mov_b32_e32 v9, s69
	ds_load_b32 v9, v9
	s_waitcnt lgkmcnt(0)
	v_add_nc_u32_e32 v8, v9, v8
	s_or_b32 exec_lo, exec_lo, s73
	s_and_saveexec_b32 s73, s28
	s_cbranch_execz .LBB194_64
.LBB194_96:                             ;   in Loop: Header=BB194_35 Depth=1
	v_mov_b32_e32 v9, s70
	ds_load_b32 v9, v9
	s_waitcnt lgkmcnt(0)
	v_add_nc_u32_e32 v8, v9, v8
	s_or_b32 exec_lo, exec_lo, s73
	s_and_saveexec_b32 s73, s29
	s_cbranch_execz .LBB194_65
.LBB194_97:                             ;   in Loop: Header=BB194_35 Depth=1
	v_mov_b32_e32 v9, s71
	ds_load_b32 v9, v9
	s_waitcnt lgkmcnt(0)
	v_add_nc_u32_e32 v8, v9, v8
	s_or_b32 exec_lo, exec_lo, s73
	s_and_saveexec_b32 s73, s30
	s_cbranch_execz .LBB194_66
.LBB194_98:                             ;   in Loop: Header=BB194_35 Depth=1
	v_mov_b32_e32 v9, s72
	ds_load_b32 v9, v9
	s_waitcnt lgkmcnt(0)
	v_add_nc_u32_e32 v8, v9, v8
	s_or_b32 exec_lo, exec_lo, s73
	s_and_saveexec_b32 s73, s31
	s_cbranch_execz .LBB194_67
.LBB194_99:                             ;   in Loop: Header=BB194_35 Depth=1
	s_delay_alu instid0(VALU_DEP_1) | instskip(NEXT) | instid1(VALU_DEP_1)
	v_add3_u32 v9, v5, -1, v8
	v_lshlrev_b32_e32 v10, 3, v9
	v_lshl_add_u32 v9, v9, 2, 0
	s_delay_alu instid0(VALU_DEP_2)
	v_add3_u32 v10, 0, v10, 0x10000
	ds_store_b32 v9, v7
	ds_store_b64 v10, v[2:3]
	s_or_b32 exec_lo, exec_lo, s73
	s_and_saveexec_b32 s31, vcc_lo
	s_cbranch_execz .LBB194_34
.LBB194_100:                            ;   in Loop: Header=BB194_35 Depth=1
	v_mov_b32_e32 v2, s68
	ds_store_b32 v2, v8
	s_branch .LBB194_34
.LBB194_101:                            ;   in Loop: Header=BB194_102 Depth=1
	s_or_b32 exec_lo, exec_lo, s4
	v_add_co_u32 v3, vcc_lo, 0x400, v3
	v_add_co_ci_u32_e32 v4, vcc_lo, 0, v4, vcc_lo
	s_delay_alu instid0(VALU_DEP_1) | instskip(SKIP_1) | instid1(SALU_CYCLE_1)
	v_cmp_le_i64_e32 vcc_lo, s[0:1], v[3:4]
	s_or_b32 s3, vcc_lo, s3
	s_and_not1_b32 exec_lo, exec_lo, s3
	s_cbranch_execz .LBB194_32
.LBB194_102:                            ; =>This Loop Header: Depth=1
                                        ;     Child Loop BB194_104 Depth 2
                                        ;       Child Loop BB194_110 Depth 3
                                        ;       Child Loop BB194_116 Depth 3
	v_lshlrev_b64 v[5:6], 3, v[3:4]
	v_lshlrev_b64 v[7:8], 2, v[3:4]
	s_mov_b32 s4, 0
	s_delay_alu instid0(VALU_DEP_2) | instskip(NEXT) | instid1(VALU_DEP_3)
	v_add_co_u32 v5, vcc_lo, s40, v5
	v_add_co_ci_u32_e32 v6, vcc_lo, s41, v6, vcc_lo
	s_delay_alu instid0(VALU_DEP_3) | instskip(NEXT) | instid1(VALU_DEP_4)
	v_add_co_u32 v7, vcc_lo, s38, v7
	v_add_co_ci_u32_e32 v8, vcc_lo, s39, v8, vcc_lo
	global_load_b64 v[5:6], v[5:6], off
	global_load_b32 v7, v[7:8], off
	s_waitcnt vmcnt(1)
	v_mul_f64 v[5:6], v[1:2], v[5:6]
	s_waitcnt vmcnt(0)
	v_subrev_nc_u32_e32 v9, s47, v7
	s_delay_alu instid0(VALU_DEP_1) | instskip(NEXT) | instid1(VALU_DEP_1)
	v_mul_lo_u32 v7, 0x89, v9
	v_and_b32_e32 v10, 0x3fff, v7
	s_branch .LBB194_104
.LBB194_103:                            ;   in Loop: Header=BB194_104 Depth=2
	s_or_b32 exec_lo, exec_lo, s5
	s_xor_b32 s5, s6, -1
	s_delay_alu instid0(SALU_CYCLE_1) | instskip(NEXT) | instid1(SALU_CYCLE_1)
	s_and_b32 s5, exec_lo, s5
	s_or_b32 s4, s5, s4
	s_delay_alu instid0(SALU_CYCLE_1)
	s_and_not1_b32 exec_lo, exec_lo, s4
	s_cbranch_execz .LBB194_101
.LBB194_104:                            ;   Parent Loop BB194_102 Depth=1
                                        ; =>  This Loop Header: Depth=2
                                        ;       Child Loop BB194_110 Depth 3
                                        ;       Child Loop BB194_116 Depth 3
	s_delay_alu instid0(VALU_DEP_1)
	v_lshl_add_u32 v7, v10, 2, 0
	s_mov_b32 s5, exec_lo
                                        ; implicit-def: $sgpr6
	ds_load_b32 v8, v7
	s_waitcnt lgkmcnt(0)
	v_cmpx_ne_u32_e64 v8, v9
	s_xor_b32 s5, exec_lo, s5
	s_cbranch_execz .LBB194_114
; %bb.105:                              ;   in Loop: Header=BB194_104 Depth=2
	s_mov_b32 s7, exec_lo
                                        ; implicit-def: $sgpr6
	v_cmpx_ne_u32_e64 s33, v8
	s_xor_b32 s7, exec_lo, s7
; %bb.106:                              ;   in Loop: Header=BB194_104 Depth=2
	v_add_nc_u32_e32 v7, 1, v10
	s_mov_b32 s6, -1
	s_delay_alu instid0(VALU_DEP_1)
	v_and_b32_e32 v10, 0x3fff, v7
                                        ; implicit-def: $vgpr7
; %bb.107:                              ;   in Loop: Header=BB194_104 Depth=2
	s_and_not1_saveexec_b32 s7, s7
	s_cbranch_execz .LBB194_113
; %bb.108:                              ;   in Loop: Header=BB194_104 Depth=2
	v_mov_b32_e32 v8, s33
	s_mov_b32 s9, -1
	s_mov_b32 s8, exec_lo
	ds_cmpstore_rtn_b32 v7, v7, v9, v8
	s_waitcnt lgkmcnt(0)
	v_cmpx_eq_u32_e64 s33, v7
	s_cbranch_execz .LBB194_112
; %bb.109:                              ;   in Loop: Header=BB194_104 Depth=2
	v_lshlrev_b32_e32 v7, 3, v10
	s_mov_b32 s9, 0
	s_delay_alu instid0(VALU_DEP_1)
	v_add3_u32 v11, 0, v7, 0x10000
	ds_load_b64 v[7:8], v11
.LBB194_110:                            ;   Parent Loop BB194_102 Depth=1
                                        ;     Parent Loop BB194_104 Depth=2
                                        ; =>    This Inner Loop Header: Depth=3
	s_waitcnt lgkmcnt(0)
	v_add_f64 v[12:13], v[7:8], v[5:6]
	ds_cmpstore_rtn_b64 v[12:13], v11, v[12:13], v[7:8]
	s_waitcnt lgkmcnt(0)
	v_cmp_eq_u64_e32 vcc_lo, v[12:13], v[7:8]
	v_dual_mov_b32 v7, v12 :: v_dual_mov_b32 v8, v13
	s_or_b32 s9, vcc_lo, s9
	s_delay_alu instid0(SALU_CYCLE_1)
	s_and_not1_b32 exec_lo, exec_lo, s9
	s_cbranch_execnz .LBB194_110
; %bb.111:                              ;   in Loop: Header=BB194_104 Depth=2
	s_or_b32 exec_lo, exec_lo, s9
	s_delay_alu instid0(SALU_CYCLE_1)
	s_xor_b32 s9, exec_lo, -1
.LBB194_112:                            ;   in Loop: Header=BB194_104 Depth=2
	s_or_b32 exec_lo, exec_lo, s8
	s_delay_alu instid0(SALU_CYCLE_1) | instskip(SKIP_1) | instid1(SALU_CYCLE_1)
	s_and_not1_b32 s6, s6, exec_lo
	s_and_b32 s8, s9, exec_lo
	s_or_b32 s6, s6, s8
.LBB194_113:                            ;   in Loop: Header=BB194_104 Depth=2
	s_or_b32 exec_lo, exec_lo, s7
	s_delay_alu instid0(SALU_CYCLE_1)
	s_and_b32 s6, s6, exec_lo
.LBB194_114:                            ;   in Loop: Header=BB194_104 Depth=2
	s_and_not1_saveexec_b32 s5, s5
	s_cbranch_execz .LBB194_103
; %bb.115:                              ;   in Loop: Header=BB194_104 Depth=2
	v_lshlrev_b32_e32 v7, 3, v10
	s_mov_b32 s7, 0
	s_delay_alu instid0(VALU_DEP_1)
	v_add3_u32 v11, 0, v7, 0x10000
	ds_load_b64 v[7:8], v11
.LBB194_116:                            ;   Parent Loop BB194_102 Depth=1
                                        ;     Parent Loop BB194_104 Depth=2
                                        ; =>    This Inner Loop Header: Depth=3
	s_waitcnt lgkmcnt(0)
	v_add_f64 v[12:13], v[7:8], v[5:6]
	ds_cmpstore_rtn_b64 v[12:13], v11, v[12:13], v[7:8]
	s_waitcnt lgkmcnt(0)
	v_cmp_eq_u64_e32 vcc_lo, v[12:13], v[7:8]
	v_dual_mov_b32 v7, v12 :: v_dual_mov_b32 v8, v13
	s_or_b32 s7, vcc_lo, s7
	s_delay_alu instid0(SALU_CYCLE_1)
	s_and_not1_b32 exec_lo, exec_lo, s7
	s_cbranch_execnz .LBB194_116
; %bb.117:                              ;   in Loop: Header=BB194_104 Depth=2
	s_or_b32 exec_lo, exec_lo, s7
	s_delay_alu instid0(SALU_CYCLE_1)
	s_and_not1_b32 s6, s6, exec_lo
	s_branch .LBB194_103
.LBB194_118:
	s_or_b32 exec_lo, exec_lo, s36
	s_ashr_i32 s49, s48, 31
	s_mov_b32 s4, exec_lo
	s_lshl_b64 s[0:1], s[48:49], 3
	s_delay_alu instid0(SALU_CYCLE_1) | instskip(SKIP_4) | instid1(SALU_CYCLE_1)
	s_add_u32 s0, s42, s0
	s_addc_u32 s1, s43, s1
	s_load_b128 s[0:3], s[0:1], 0x0
	s_waitcnt lgkmcnt(0)
	s_sub_i32 s3, s2, s0
	v_cmpx_gt_i32_e64 s3, v0
	s_cbranch_execz .LBB194_128
; %bb.119:
	s_sub_u32 s4, s0, s46
	s_subb_u32 s5, s1, 0
	s_sub_i32 s0, s0, s2
	s_and_b32 s1, s3, 7
	s_cmp_lt_u32 s0, -7
	s_mov_b32 s8, 0
	s_cselect_b32 s2, -1, 0
	s_and_b32 s6, s3, -8
	s_cmp_lg_u32 s1, 0
	s_cselect_b32 s7, -1, 0
	s_branch .LBB194_121
.LBB194_120:                            ;   in Loop: Header=BB194_121 Depth=1
	s_delay_alu instid0(VALU_DEP_1) | instskip(SKIP_1) | instid1(VALU_DEP_1)
	v_lshlrev_b64 v[3:4], 3, v[3:4]
	v_add_nc_u32_e32 v0, 0x400, v0
	v_cmp_le_i32_e32 vcc_lo, s3, v0
	s_delay_alu instid0(VALU_DEP_3) | instskip(NEXT) | instid1(VALU_DEP_1)
	v_add_co_u32 v3, s0, s34, v3
	v_add_co_ci_u32_e64 v4, s0, s35, v4, s0
	s_or_b32 s8, vcc_lo, s8
	s_waitcnt lgkmcnt(0)
	global_store_b64 v[3:4], v[1:2], off
	s_and_not1_b32 exec_lo, exec_lo, s8
	s_cbranch_execz .LBB194_128
.LBB194_121:                            ; =>This Loop Header: Depth=1
                                        ;     Child Loop BB194_123 Depth 2
                                        ;     Child Loop BB194_127 Depth 2
	v_lshlrev_b32_e32 v1, 3, v0
	v_lshl_add_u32 v2, v0, 2, 0
	v_dual_mov_b32 v3, s4 :: v_dual_mov_b32 v4, s5
	s_and_not1_b32 vcc_lo, exec_lo, s2
	s_delay_alu instid0(VALU_DEP_3)
	v_add3_u32 v1, 0, v1, 0x10000
	s_mov_b32 s0, 0
	ds_load_b32 v5, v2
	ds_load_b64 v[1:2], v1
	s_cbranch_vccnz .LBB194_125
; %bb.122:                              ;   in Loop: Header=BB194_121 Depth=1
	v_dual_mov_b32 v3, s4 :: v_dual_mov_b32 v4, s5
	s_mov_b32 s9, 0
	s_mov_b32 s10, 0
.LBB194_123:                            ;   Parent Loop BB194_121 Depth=1
                                        ; =>  This Inner Loop Header: Depth=2
	s_delay_alu instid0(SALU_CYCLE_1)
	v_mov_b32_e32 v12, s10
	s_add_i32 s9, s9, 8
	s_add_i32 s10, s10, 32
	s_cmp_eq_u32 s6, s9
	ds_load_2addr_b32 v[6:7], v12 offset1:1
	ds_load_2addr_b32 v[8:9], v12 offset0:2 offset1:3
	ds_load_2addr_b32 v[10:11], v12 offset0:4 offset1:5
	;; [unrolled: 1-line block ×3, first 2 shown]
	s_waitcnt lgkmcnt(3)
	v_cmp_gt_i32_e32 vcc_lo, v5, v6
	v_cndmask_b32_e64 v6, 0, 1, vcc_lo
	v_cmp_gt_i32_e32 vcc_lo, v5, v7
	v_cndmask_b32_e64 v7, 0, 1, vcc_lo
	s_waitcnt lgkmcnt(2)
	v_cmp_gt_i32_e32 vcc_lo, v5, v8
	v_cndmask_b32_e64 v8, 0, 1, vcc_lo
	v_cmp_gt_i32_e32 vcc_lo, v5, v9
	v_cndmask_b32_e64 v9, 0, 1, vcc_lo
	s_waitcnt lgkmcnt(1)
	v_cmp_gt_i32_e32 vcc_lo, v5, v10
	v_cndmask_b32_e64 v10, 0, 1, vcc_lo
	v_add_co_u32 v3, vcc_lo, v3, v6
	v_add_co_ci_u32_e32 v4, vcc_lo, 0, v4, vcc_lo
	v_cmp_gt_i32_e32 vcc_lo, v5, v11
	s_delay_alu instid0(VALU_DEP_3) | instskip(NEXT) | instid1(VALU_DEP_1)
	v_add_co_u32 v3, s0, v3, v7
	v_add_co_ci_u32_e64 v4, s0, 0, v4, s0
	v_cndmask_b32_e64 v6, 0, 1, vcc_lo
	s_delay_alu instid0(VALU_DEP_3) | instskip(NEXT) | instid1(VALU_DEP_3)
	v_add_co_u32 v3, vcc_lo, v3, v8
	v_add_co_ci_u32_e32 v4, vcc_lo, 0, v4, vcc_lo
	s_waitcnt lgkmcnt(0)
	v_cmp_gt_i32_e32 vcc_lo, v5, v12
	s_delay_alu instid0(VALU_DEP_3) | instskip(NEXT) | instid1(VALU_DEP_1)
	v_add_co_u32 v3, s0, v3, v9
	v_add_co_ci_u32_e64 v4, s0, 0, v4, s0
	v_cndmask_b32_e64 v7, 0, 1, vcc_lo
	s_delay_alu instid0(VALU_DEP_3) | instskip(NEXT) | instid1(VALU_DEP_3)
	v_add_co_u32 v3, vcc_lo, v3, v10
	v_add_co_ci_u32_e32 v4, vcc_lo, 0, v4, vcc_lo
	v_cmp_gt_i32_e32 vcc_lo, v5, v13
	s_delay_alu instid0(VALU_DEP_3) | instskip(NEXT) | instid1(VALU_DEP_1)
	v_add_co_u32 v3, s0, v3, v6
	v_add_co_ci_u32_e64 v4, s0, 0, v4, s0
	v_cndmask_b32_e64 v6, 0, 1, vcc_lo
	s_delay_alu instid0(VALU_DEP_3) | instskip(NEXT) | instid1(VALU_DEP_3)
	v_add_co_u32 v3, vcc_lo, v3, v7
	v_add_co_ci_u32_e32 v4, vcc_lo, 0, v4, vcc_lo
	s_delay_alu instid0(VALU_DEP_2) | instskip(NEXT) | instid1(VALU_DEP_2)
	v_add_co_u32 v3, vcc_lo, v3, v6
	v_add_co_ci_u32_e32 v4, vcc_lo, 0, v4, vcc_lo
	s_cbranch_scc0 .LBB194_123
; %bb.124:                              ;   in Loop: Header=BB194_121 Depth=1
	s_mov_b32 s0, s6
.LBB194_125:                            ;   in Loop: Header=BB194_121 Depth=1
	s_and_not1_b32 vcc_lo, exec_lo, s7
	s_cbranch_vccnz .LBB194_120
; %bb.126:                              ;   in Loop: Header=BB194_121 Depth=1
	s_lshl_b32 s0, s0, 2
	s_mov_b32 s9, s1
	s_add_i32 s0, s0, 0
.LBB194_127:                            ;   Parent Loop BB194_121 Depth=1
                                        ; =>  This Inner Loop Header: Depth=2
	s_delay_alu instid0(SALU_CYCLE_1)
	v_mov_b32_e32 v6, s0
	s_add_i32 s9, s9, -1
	s_add_i32 s0, s0, 4
	s_cmp_lg_u32 s9, 0
	ds_load_b32 v6, v6
	s_waitcnt lgkmcnt(0)
	v_cmp_gt_i32_e32 vcc_lo, v5, v6
	v_cndmask_b32_e64 v6, 0, 1, vcc_lo
	s_delay_alu instid0(VALU_DEP_1)
	v_add_co_u32 v3, vcc_lo, v3, v6
	v_add_co_ci_u32_e32 v4, vcc_lo, 0, v4, vcc_lo
	s_cbranch_scc1 .LBB194_127
	s_branch .LBB194_120
.LBB194_128:
	s_nop 0
	s_sendmsg sendmsg(MSG_DEALLOC_VGPRS)
	s_endpgm
	.section	.rodata,"a",@progbits
	.p2align	6, 0x0
	.amdhsa_kernel _ZN9rocsparseL41csrgemm_numeric_fill_block_per_row_kernelILj1024ELj64ELj16384ELj137ELj32ElidEEvT5_PKS1_S3_NS_24const_host_device_scalarIT6_EEPKT4_S3_PKS5_S9_S3_SB_S6_S9_S3_SB_S9_S3_PS5_21rocsparse_index_base_SD_SD_SD_bbb
		.amdhsa_group_segment_fixed_size 0
		.amdhsa_private_segment_fixed_size 0
		.amdhsa_kernarg_size 156
		.amdhsa_user_sgpr_count 15
		.amdhsa_user_sgpr_dispatch_ptr 0
		.amdhsa_user_sgpr_queue_ptr 0
		.amdhsa_user_sgpr_kernarg_segment_ptr 1
		.amdhsa_user_sgpr_dispatch_id 0
		.amdhsa_user_sgpr_private_segment_size 0
		.amdhsa_wavefront_size32 1
		.amdhsa_uses_dynamic_stack 0
		.amdhsa_enable_private_segment 0
		.amdhsa_system_sgpr_workgroup_id_x 1
		.amdhsa_system_sgpr_workgroup_id_y 0
		.amdhsa_system_sgpr_workgroup_id_z 0
		.amdhsa_system_sgpr_workgroup_info 0
		.amdhsa_system_vgpr_workitem_id 0
		.amdhsa_next_free_vgpr 27
		.amdhsa_next_free_sgpr 74
		.amdhsa_reserve_vcc 1
		.amdhsa_float_round_mode_32 0
		.amdhsa_float_round_mode_16_64 0
		.amdhsa_float_denorm_mode_32 3
		.amdhsa_float_denorm_mode_16_64 3
		.amdhsa_dx10_clamp 1
		.amdhsa_ieee_mode 1
		.amdhsa_fp16_overflow 0
		.amdhsa_workgroup_processor_mode 1
		.amdhsa_memory_ordered 1
		.amdhsa_forward_progress 0
		.amdhsa_shared_vgpr_count 0
		.amdhsa_exception_fp_ieee_invalid_op 0
		.amdhsa_exception_fp_denorm_src 0
		.amdhsa_exception_fp_ieee_div_zero 0
		.amdhsa_exception_fp_ieee_overflow 0
		.amdhsa_exception_fp_ieee_underflow 0
		.amdhsa_exception_fp_ieee_inexact 0
		.amdhsa_exception_int_div_zero 0
	.end_amdhsa_kernel
	.section	.text._ZN9rocsparseL41csrgemm_numeric_fill_block_per_row_kernelILj1024ELj64ELj16384ELj137ELj32ElidEEvT5_PKS1_S3_NS_24const_host_device_scalarIT6_EEPKT4_S3_PKS5_S9_S3_SB_S6_S9_S3_SB_S9_S3_PS5_21rocsparse_index_base_SD_SD_SD_bbb,"axG",@progbits,_ZN9rocsparseL41csrgemm_numeric_fill_block_per_row_kernelILj1024ELj64ELj16384ELj137ELj32ElidEEvT5_PKS1_S3_NS_24const_host_device_scalarIT6_EEPKT4_S3_PKS5_S9_S3_SB_S6_S9_S3_SB_S9_S3_PS5_21rocsparse_index_base_SD_SD_SD_bbb,comdat
.Lfunc_end194:
	.size	_ZN9rocsparseL41csrgemm_numeric_fill_block_per_row_kernelILj1024ELj64ELj16384ELj137ELj32ElidEEvT5_PKS1_S3_NS_24const_host_device_scalarIT6_EEPKT4_S3_PKS5_S9_S3_SB_S6_S9_S3_SB_S9_S3_PS5_21rocsparse_index_base_SD_SD_SD_bbb, .Lfunc_end194-_ZN9rocsparseL41csrgemm_numeric_fill_block_per_row_kernelILj1024ELj64ELj16384ELj137ELj32ElidEEvT5_PKS1_S3_NS_24const_host_device_scalarIT6_EEPKT4_S3_PKS5_S9_S3_SB_S6_S9_S3_SB_S9_S3_PS5_21rocsparse_index_base_SD_SD_SD_bbb
                                        ; -- End function
	.section	.AMDGPU.csdata,"",@progbits
; Kernel info:
; codeLenInByte = 5020
; NumSgprs: 76
; NumVgprs: 27
; ScratchSize: 0
; MemoryBound: 0
; FloatMode: 240
; IeeeMode: 1
; LDSByteSize: 0 bytes/workgroup (compile time only)
; SGPRBlocks: 9
; VGPRBlocks: 3
; NumSGPRsForWavesPerEU: 76
; NumVGPRsForWavesPerEU: 27
; Occupancy: 16
; WaveLimiterHint : 1
; COMPUTE_PGM_RSRC2:SCRATCH_EN: 0
; COMPUTE_PGM_RSRC2:USER_SGPR: 15
; COMPUTE_PGM_RSRC2:TRAP_HANDLER: 0
; COMPUTE_PGM_RSRC2:TGID_X_EN: 1
; COMPUTE_PGM_RSRC2:TGID_Y_EN: 0
; COMPUTE_PGM_RSRC2:TGID_Z_EN: 0
; COMPUTE_PGM_RSRC2:TIDIG_COMP_CNT: 0
	.section	.text._ZN9rocsparseL41csrgemm_numeric_fill_block_per_row_kernelILj1024ELj64ELj16384ELj137ELj64ElidEEvT5_PKS1_S3_NS_24const_host_device_scalarIT6_EEPKT4_S3_PKS5_S9_S3_SB_S6_S9_S3_SB_S9_S3_PS5_21rocsparse_index_base_SD_SD_SD_bbb,"axG",@progbits,_ZN9rocsparseL41csrgemm_numeric_fill_block_per_row_kernelILj1024ELj64ELj16384ELj137ELj64ElidEEvT5_PKS1_S3_NS_24const_host_device_scalarIT6_EEPKT4_S3_PKS5_S9_S3_SB_S6_S9_S3_SB_S9_S3_PS5_21rocsparse_index_base_SD_SD_SD_bbb,comdat
	.globl	_ZN9rocsparseL41csrgemm_numeric_fill_block_per_row_kernelILj1024ELj64ELj16384ELj137ELj64ElidEEvT5_PKS1_S3_NS_24const_host_device_scalarIT6_EEPKT4_S3_PKS5_S9_S3_SB_S6_S9_S3_SB_S9_S3_PS5_21rocsparse_index_base_SD_SD_SD_bbb ; -- Begin function _ZN9rocsparseL41csrgemm_numeric_fill_block_per_row_kernelILj1024ELj64ELj16384ELj137ELj64ElidEEvT5_PKS1_S3_NS_24const_host_device_scalarIT6_EEPKT4_S3_PKS5_S9_S3_SB_S6_S9_S3_SB_S9_S3_PS5_21rocsparse_index_base_SD_SD_SD_bbb
	.p2align	8
	.type	_ZN9rocsparseL41csrgemm_numeric_fill_block_per_row_kernelILj1024ELj64ELj16384ELj137ELj64ElidEEvT5_PKS1_S3_NS_24const_host_device_scalarIT6_EEPKT4_S3_PKS5_S9_S3_SB_S6_S9_S3_SB_S9_S3_PS5_21rocsparse_index_base_SD_SD_SD_bbb,@function
_ZN9rocsparseL41csrgemm_numeric_fill_block_per_row_kernelILj1024ELj64ELj16384ELj137ELj64ElidEEvT5_PKS1_S3_NS_24const_host_device_scalarIT6_EEPKT4_S3_PKS5_S9_S3_SB_S6_S9_S3_SB_S9_S3_PS5_21rocsparse_index_base_SD_SD_SD_bbb: ; @_ZN9rocsparseL41csrgemm_numeric_fill_block_per_row_kernelILj1024ELj64ELj16384ELj137ELj64ElidEEvT5_PKS1_S3_NS_24const_host_device_scalarIT6_EEPKT4_S3_PKS5_S9_S3_SB_S6_S9_S3_SB_S9_S3_PS5_21rocsparse_index_base_SD_SD_SD_bbb
; %bb.0:
	s_clause 0x3
	s_load_b32 s12, s[0:1], 0x98
	s_load_b64 s[4:5], s[0:1], 0x18
	s_load_b128 s[24:27], s[0:1], 0x88
	s_load_b64 s[2:3], s[0:1], 0x50
	s_waitcnt lgkmcnt(0)
	s_and_b32 s6, 1, s12
	s_bitcmp1_b32 s12, 16
	s_cselect_b32 s14, -1, 0
	s_cmp_eq_u32 s6, 1
	s_cselect_b32 s13, -1, 0
	s_delay_alu instid0(SALU_CYCLE_1)
	s_and_b32 s6, s13, exec_lo
	s_cselect_b32 s7, s5, 0
	s_cselect_b32 s6, s4, 0
	s_xor_b32 s8, s13, -1
	v_dual_mov_b32 v3, s6 :: v_dual_mov_b32 v4, s7
	s_or_b32 s8, s8, s14
	s_delay_alu instid0(SALU_CYCLE_1)
	s_and_b32 vcc_lo, exec_lo, s8
	s_cbranch_vccnz .LBB195_2
; %bb.1:
	v_dual_mov_b32 v1, s4 :: v_dual_mov_b32 v2, s5
	flat_load_b64 v[3:4], v[1:2]
.LBB195_2:
	s_clause 0x4
	s_load_b64 s[34:35], s[0:1], 0x80
	s_load_b256 s[16:23], s[0:1], 0x58
	s_load_b128 s[28:31], s[0:1], 0x40
	s_load_b128 s[36:39], s[0:1], 0x8
	s_load_b256 s[4:11], s[0:1], 0x20
	s_bitcmp1_b32 s12, 8
	s_cselect_b32 s12, -1, 0
	s_delay_alu instid0(SALU_CYCLE_1)
	s_and_b32 s33, s12, exec_lo
	s_cselect_b32 s41, s3, 0
	s_cselect_b32 s40, s2, 0
	s_xor_b32 s33, s12, -1
	v_dual_mov_b32 v1, s40 :: v_dual_mov_b32 v2, s41
	s_or_b32 s14, s33, s14
	s_delay_alu instid0(SALU_CYCLE_1)
	s_and_b32 vcc_lo, exec_lo, s14
	s_cbranch_vccnz .LBB195_4
; %bb.3:
	v_dual_mov_b32 v1, s2 :: v_dual_mov_b32 v2, s3
	flat_load_b64 v[1:2], v[1:2]
.LBB195_4:
	s_load_b32 s33, s[0:1], 0x0
	v_dual_mov_b32 v5, 0 :: v_dual_lshlrev_b32 v6, 3, v0
	v_lshl_add_u32 v17, v0, 2, 0
	v_or_b32_e32 v19, 0xfffffc00, v0
	s_mov_b32 s0, 0
	s_delay_alu instid0(VALU_DEP_3) | instskip(SKIP_1) | instid1(VALU_DEP_3)
	v_add3_u32 v18, v6, 0, 0x10000
	v_mov_b32_e32 v6, v5
	v_dual_mov_b32 v7, v17 :: v_dual_mov_b32 v10, v19
	s_waitcnt lgkmcnt(0)
	s_delay_alu instid0(VALU_DEP_3)
	v_dual_mov_b32 v8, v18 :: v_dual_mov_b32 v9, s33
.LBB195_5:                              ; =>This Inner Loop Header: Depth=1
	s_delay_alu instid0(VALU_DEP_2)
	v_add_nc_u32_e32 v10, 0x400, v10
	ds_store_b32 v7, v9
	ds_store_b64 v8, v[5:6]
	v_add_nc_u32_e32 v8, 0x2000, v8
	v_add_nc_u32_e32 v7, 0x1000, v7
	v_cmp_lt_u32_e32 vcc_lo, 0x3bff, v10
	s_or_b32 s0, vcc_lo, s0
	s_delay_alu instid0(SALU_CYCLE_1)
	s_and_not1_b32 exec_lo, exec_lo, s0
	s_cbranch_execnz .LBB195_5
; %bb.6:
	s_or_b32 exec_lo, exec_lo, s0
	s_waitcnt vmcnt(0) lgkmcnt(0)
	s_barrier
	buffer_gl0_inv
	s_load_b32 s0, s[36:37], 0x0
	s_mov_b32 s1, 0
	v_lshrrev_b32_e32 v20, 6, v0
	s_waitcnt lgkmcnt(0)
	s_add_i32 s0, s0, s15
	s_delay_alu instid0(SALU_CYCLE_1) | instskip(NEXT) | instid1(SALU_CYCLE_1)
	s_lshl_b64 s[0:1], s[0:1], 2
	s_add_u32 s0, s38, s0
	s_addc_u32 s1, s39, s1
	s_and_b32 vcc_lo, exec_lo, s13
	s_load_b32 s36, s[0:1], 0x0
	s_cbranch_vccz .LBB195_30
; %bb.7:
	s_waitcnt lgkmcnt(0)
	s_ashr_i32 s37, s36, 31
	s_delay_alu instid0(SALU_CYCLE_1) | instskip(NEXT) | instid1(SALU_CYCLE_1)
	s_lshl_b64 s[0:1], s[36:37], 3
	s_add_u32 s0, s4, s0
	s_addc_u32 s1, s5, s1
	v_sub_co_u32 v5, s4, v20, s24
	s_load_b128 s[0:3], s[0:1], 0x0
	v_sub_co_ci_u32_e64 v6, null, 0, 0, s4
	s_waitcnt lgkmcnt(0)
	s_delay_alu instid0(VALU_DEP_2) | instskip(NEXT) | instid1(VALU_DEP_2)
	v_add_co_u32 v5, vcc_lo, s0, v5
	v_add_co_ci_u32_e32 v6, vcc_lo, s1, v6, vcc_lo
	s_sub_u32 s0, s2, s24
	s_subb_u32 s1, s3, 0
	s_mov_b32 s2, exec_lo
	s_delay_alu instid0(VALU_DEP_1)
	v_cmpx_gt_i64_e64 s[0:1], v[5:6]
	s_cbranch_execz .LBB195_29
; %bb.8:
	v_and_b32_e32 v7, 63, v0
	s_mov_b32 s4, s25
	s_delay_alu instid0(VALU_DEP_1) | instskip(NEXT) | instid1(VALU_DEP_1)
	v_sub_co_u32 v21, s3, v7, s25
	v_sub_co_ci_u32_e64 v22, null, 0, 0, s3
	s_mov_b32 s3, 0
	s_branch .LBB195_10
.LBB195_9:                              ;   in Loop: Header=BB195_10 Depth=1
	s_or_b32 exec_lo, exec_lo, s5
	v_add_co_u32 v5, vcc_lo, v5, 16
	v_add_co_ci_u32_e32 v6, vcc_lo, 0, v6, vcc_lo
	s_delay_alu instid0(VALU_DEP_1) | instskip(SKIP_1) | instid1(SALU_CYCLE_1)
	v_cmp_le_i64_e32 vcc_lo, s[0:1], v[5:6]
	s_or_b32 s3, vcc_lo, s3
	s_and_not1_b32 exec_lo, exec_lo, s3
	s_cbranch_execz .LBB195_29
.LBB195_10:                             ; =>This Loop Header: Depth=1
                                        ;     Child Loop BB195_13 Depth 2
                                        ;       Child Loop BB195_15 Depth 3
                                        ;         Child Loop BB195_21 Depth 4
                                        ;         Child Loop BB195_27 Depth 4
	v_lshlrev_b64 v[7:8], 2, v[5:6]
	s_mov_b32 s5, exec_lo
	s_delay_alu instid0(VALU_DEP_1) | instskip(NEXT) | instid1(VALU_DEP_2)
	v_add_co_u32 v7, vcc_lo, s6, v7
	v_add_co_ci_u32_e32 v8, vcc_lo, s7, v8, vcc_lo
	global_load_b32 v7, v[7:8], off
	s_waitcnt vmcnt(0)
	v_subrev_nc_u32_e32 v7, s24, v7
	s_delay_alu instid0(VALU_DEP_1) | instskip(NEXT) | instid1(VALU_DEP_1)
	v_ashrrev_i32_e32 v8, 31, v7
	v_lshlrev_b64 v[7:8], 3, v[7:8]
	s_delay_alu instid0(VALU_DEP_1) | instskip(NEXT) | instid1(VALU_DEP_2)
	v_add_co_u32 v7, vcc_lo, s10, v7
	v_add_co_ci_u32_e32 v8, vcc_lo, s11, v8, vcc_lo
	global_load_b128 v[9:12], v[7:8], off
	s_waitcnt vmcnt(0)
	v_sub_co_u32 v7, vcc_lo, v11, s4
	v_subrev_co_ci_u32_e32 v8, vcc_lo, 0, v12, vcc_lo
	v_add_co_u32 v9, vcc_lo, v9, v21
	v_add_co_ci_u32_e32 v10, vcc_lo, v10, v22, vcc_lo
	s_delay_alu instid0(VALU_DEP_1)
	v_cmpx_lt_i64_e64 v[9:10], v[7:8]
	s_cbranch_execz .LBB195_9
; %bb.11:                               ;   in Loop: Header=BB195_10 Depth=1
	v_lshlrev_b64 v[11:12], 3, v[5:6]
	s_mov_b32 s13, 0
	s_delay_alu instid0(VALU_DEP_1) | instskip(NEXT) | instid1(VALU_DEP_2)
	v_add_co_u32 v11, vcc_lo, s8, v11
	v_add_co_ci_u32_e32 v12, vcc_lo, s9, v12, vcc_lo
	global_load_b64 v[11:12], v[11:12], off
	s_waitcnt vmcnt(0)
	v_mul_f64 v[11:12], v[3:4], v[11:12]
	s_branch .LBB195_13
.LBB195_12:                             ;   in Loop: Header=BB195_13 Depth=2
	s_or_b32 exec_lo, exec_lo, s14
	v_add_co_u32 v9, vcc_lo, v9, 64
	v_add_co_ci_u32_e32 v10, vcc_lo, 0, v10, vcc_lo
	s_delay_alu instid0(VALU_DEP_1) | instskip(SKIP_1) | instid1(SALU_CYCLE_1)
	v_cmp_ge_i64_e32 vcc_lo, v[9:10], v[7:8]
	s_or_b32 s13, vcc_lo, s13
	s_and_not1_b32 exec_lo, exec_lo, s13
	s_cbranch_execz .LBB195_9
.LBB195_13:                             ;   Parent Loop BB195_10 Depth=1
                                        ; =>  This Loop Header: Depth=2
                                        ;       Child Loop BB195_15 Depth 3
                                        ;         Child Loop BB195_21 Depth 4
                                        ;         Child Loop BB195_27 Depth 4
	v_lshlrev_b64 v[13:14], 3, v[9:10]
	v_lshlrev_b64 v[15:16], 2, v[9:10]
	s_mov_b32 s14, 0
	s_delay_alu instid0(VALU_DEP_2) | instskip(NEXT) | instid1(VALU_DEP_3)
	v_add_co_u32 v13, vcc_lo, s30, v13
	v_add_co_ci_u32_e32 v14, vcc_lo, s31, v14, vcc_lo
	s_delay_alu instid0(VALU_DEP_3) | instskip(NEXT) | instid1(VALU_DEP_4)
	v_add_co_u32 v15, vcc_lo, s28, v15
	v_add_co_ci_u32_e32 v16, vcc_lo, s29, v16, vcc_lo
	global_load_b64 v[13:14], v[13:14], off
	global_load_b32 v15, v[15:16], off
	s_waitcnt vmcnt(1)
	v_mul_f64 v[13:14], v[11:12], v[13:14]
	s_waitcnt vmcnt(0)
	v_subrev_nc_u32_e32 v23, s25, v15
	s_delay_alu instid0(VALU_DEP_1) | instskip(NEXT) | instid1(VALU_DEP_1)
	v_mul_lo_u32 v15, 0x89, v23
	v_and_b32_e32 v24, 0x3fff, v15
	s_branch .LBB195_15
.LBB195_14:                             ;   in Loop: Header=BB195_15 Depth=3
	s_or_b32 exec_lo, exec_lo, s15
	s_xor_b32 s15, s37, -1
	s_delay_alu instid0(SALU_CYCLE_1) | instskip(NEXT) | instid1(SALU_CYCLE_1)
	s_and_b32 s15, exec_lo, s15
	s_or_b32 s14, s15, s14
	s_delay_alu instid0(SALU_CYCLE_1)
	s_and_not1_b32 exec_lo, exec_lo, s14
	s_cbranch_execz .LBB195_12
.LBB195_15:                             ;   Parent Loop BB195_10 Depth=1
                                        ;     Parent Loop BB195_13 Depth=2
                                        ; =>    This Loop Header: Depth=3
                                        ;         Child Loop BB195_21 Depth 4
                                        ;         Child Loop BB195_27 Depth 4
	s_delay_alu instid0(VALU_DEP_1)
	v_lshl_add_u32 v15, v24, 2, 0
	s_mov_b32 s15, exec_lo
                                        ; implicit-def: $sgpr37
	ds_load_b32 v16, v15
	s_waitcnt lgkmcnt(0)
	v_cmpx_ne_u32_e64 v16, v23
	s_xor_b32 s15, exec_lo, s15
	s_cbranch_execz .LBB195_25
; %bb.16:                               ;   in Loop: Header=BB195_15 Depth=3
	s_mov_b32 s38, exec_lo
                                        ; implicit-def: $sgpr37
	v_cmpx_ne_u32_e64 s33, v16
	s_xor_b32 s38, exec_lo, s38
; %bb.17:                               ;   in Loop: Header=BB195_15 Depth=3
	v_add_nc_u32_e32 v15, 1, v24
	s_mov_b32 s37, -1
	s_delay_alu instid0(VALU_DEP_1)
	v_and_b32_e32 v24, 0x3fff, v15
                                        ; implicit-def: $vgpr15
; %bb.18:                               ;   in Loop: Header=BB195_15 Depth=3
	s_and_not1_saveexec_b32 s38, s38
	s_cbranch_execz .LBB195_24
; %bb.19:                               ;   in Loop: Header=BB195_15 Depth=3
	v_mov_b32_e32 v16, s33
	s_mov_b32 s40, -1
	s_mov_b32 s39, exec_lo
	ds_cmpstore_rtn_b32 v15, v15, v23, v16
	s_waitcnt lgkmcnt(0)
	v_cmpx_eq_u32_e64 s33, v15
	s_cbranch_execz .LBB195_23
; %bb.20:                               ;   in Loop: Header=BB195_15 Depth=3
	v_lshlrev_b32_e32 v15, 3, v24
	s_mov_b32 s40, 0
	s_delay_alu instid0(VALU_DEP_1)
	v_add3_u32 v25, 0, v15, 0x10000
	ds_load_b64 v[15:16], v25
.LBB195_21:                             ;   Parent Loop BB195_10 Depth=1
                                        ;     Parent Loop BB195_13 Depth=2
                                        ;       Parent Loop BB195_15 Depth=3
                                        ; =>      This Inner Loop Header: Depth=4
	s_waitcnt lgkmcnt(0)
	v_add_f64 v[26:27], v[15:16], v[13:14]
	ds_cmpstore_rtn_b64 v[26:27], v25, v[26:27], v[15:16]
	s_waitcnt lgkmcnt(0)
	v_cmp_eq_u64_e32 vcc_lo, v[26:27], v[15:16]
	v_dual_mov_b32 v15, v26 :: v_dual_mov_b32 v16, v27
	s_or_b32 s40, vcc_lo, s40
	s_delay_alu instid0(SALU_CYCLE_1)
	s_and_not1_b32 exec_lo, exec_lo, s40
	s_cbranch_execnz .LBB195_21
; %bb.22:                               ;   in Loop: Header=BB195_15 Depth=3
	s_or_b32 exec_lo, exec_lo, s40
	s_delay_alu instid0(SALU_CYCLE_1)
	s_xor_b32 s40, exec_lo, -1
.LBB195_23:                             ;   in Loop: Header=BB195_15 Depth=3
	s_or_b32 exec_lo, exec_lo, s39
	s_delay_alu instid0(SALU_CYCLE_1) | instskip(SKIP_1) | instid1(SALU_CYCLE_1)
	s_and_not1_b32 s37, s37, exec_lo
	s_and_b32 s39, s40, exec_lo
	s_or_b32 s37, s37, s39
.LBB195_24:                             ;   in Loop: Header=BB195_15 Depth=3
	s_or_b32 exec_lo, exec_lo, s38
	s_delay_alu instid0(SALU_CYCLE_1)
	s_and_b32 s37, s37, exec_lo
.LBB195_25:                             ;   in Loop: Header=BB195_15 Depth=3
	s_and_not1_saveexec_b32 s15, s15
	s_cbranch_execz .LBB195_14
; %bb.26:                               ;   in Loop: Header=BB195_15 Depth=3
	v_lshlrev_b32_e32 v15, 3, v24
	s_mov_b32 s38, 0
	s_delay_alu instid0(VALU_DEP_1)
	v_add3_u32 v25, 0, v15, 0x10000
	ds_load_b64 v[15:16], v25
.LBB195_27:                             ;   Parent Loop BB195_10 Depth=1
                                        ;     Parent Loop BB195_13 Depth=2
                                        ;       Parent Loop BB195_15 Depth=3
                                        ; =>      This Inner Loop Header: Depth=4
	s_waitcnt lgkmcnt(0)
	v_add_f64 v[26:27], v[15:16], v[13:14]
	ds_cmpstore_rtn_b64 v[26:27], v25, v[26:27], v[15:16]
	s_waitcnt lgkmcnt(0)
	v_cmp_eq_u64_e32 vcc_lo, v[26:27], v[15:16]
	v_dual_mov_b32 v15, v26 :: v_dual_mov_b32 v16, v27
	s_or_b32 s38, vcc_lo, s38
	s_delay_alu instid0(SALU_CYCLE_1)
	s_and_not1_b32 exec_lo, exec_lo, s38
	s_cbranch_execnz .LBB195_27
; %bb.28:                               ;   in Loop: Header=BB195_15 Depth=3
	s_or_b32 exec_lo, exec_lo, s38
	s_delay_alu instid0(SALU_CYCLE_1)
	s_and_not1_b32 s37, s37, exec_lo
	s_branch .LBB195_14
.LBB195_29:
	s_or_b32 exec_lo, exec_lo, s2
.LBB195_30:
	s_delay_alu instid0(SALU_CYCLE_1)
	s_and_not1_b32 vcc_lo, exec_lo, s12
	s_cbranch_vccnz .LBB195_33
; %bb.31:
	s_waitcnt lgkmcnt(0)
	s_ashr_i32 s37, s36, 31
	v_sub_co_u32 v3, s4, v0, s27
	s_lshl_b64 s[0:1], s[36:37], 3
	v_sub_co_ci_u32_e64 v4, null, 0, 0, s4
	s_add_u32 s0, s16, s0
	s_addc_u32 s1, s17, s1
	s_load_b128 s[0:3], s[0:1], 0x0
	s_waitcnt lgkmcnt(0)
	v_add_co_u32 v3, vcc_lo, s0, v3
	v_add_co_ci_u32_e32 v4, vcc_lo, s1, v4, vcc_lo
	s_sub_u32 s0, s2, s27
	s_subb_u32 s1, s3, 0
	s_mov_b32 s3, 0
	s_mov_b32 s2, exec_lo
	v_cmpx_gt_i64_e64 s[0:1], v[3:4]
	s_cbranch_execnz .LBB195_70
.LBB195_32:
	s_or_b32 exec_lo, exec_lo, s2
.LBB195_33:
	v_mbcnt_lo_u32_b32 v1, -1, 0
	v_dual_mov_b32 v5, 0 :: v_dual_lshlrev_b32 v2, 2, v20
	s_add_i32 s31, 0, 0x3003c
	v_cmp_eq_u32_e32 vcc_lo, 0x3ff, v0
	s_delay_alu instid0(VALU_DEP_3) | instskip(NEXT) | instid1(VALU_DEP_3)
	v_xor_b32_e32 v1, 63, v1
	v_add3_u32 v4, 0, 0x30000, v2
	v_cmp_lt_u32_e64 s0, 63, v0
	v_cmp_lt_u32_e64 s1, 0x7f, v0
	;; [unrolled: 1-line block ×3, first 2 shown]
	v_lshrrev_b64 v[1:2], v1, -1
	v_cmp_lt_u32_e64 s3, 0xff, v0
	v_cmp_lt_u32_e64 s4, 0x13f, v0
	;; [unrolled: 1-line block ×12, first 2 shown]
	v_mov_b32_e32 v6, s31
	s_mov_b32 s16, 0
	s_add_i32 s17, 0, 0x30000
	s_add_i32 s18, 0, 0x30004
	s_add_i32 s19, 0, 0x30008
	s_add_i32 s20, 0, 0x3000c
	s_add_i32 s21, 0, 0x30010
	s_add_i32 s24, 0, 0x30014
	s_add_i32 s25, 0, 0x30018
	s_add_i32 s27, 0, 0x3001c
	s_add_i32 s28, 0, 0x30020
	s_add_i32 s29, 0, 0x30024
	s_add_i32 s30, 0, 0x30028
	s_add_i32 s37, 0, 0x3002c
	s_add_i32 s38, 0, 0x30030
	s_add_i32 s39, 0, 0x30034
	s_add_i32 s40, 0, 0x30038
	s_waitcnt lgkmcnt(0)
	s_barrier
	buffer_gl0_inv
	s_branch .LBB195_35
.LBB195_34:                             ;   in Loop: Header=BB195_35 Depth=1
	s_or_b32 exec_lo, exec_lo, s15
	s_waitcnt lgkmcnt(0)
	s_barrier
	buffer_gl0_inv
	ds_load_b32 v2, v6
	v_add_nc_u32_e32 v19, 0x400, v19
	v_add_nc_u32_e32 v18, 0x2000, v18
	;; [unrolled: 1-line block ×3, first 2 shown]
	s_delay_alu instid0(VALU_DEP_3) | instskip(NEXT) | instid1(VALU_DEP_1)
	v_cmp_lt_u32_e64 s15, 0x3bff, v19
	s_or_b32 s16, s15, s16
	s_waitcnt lgkmcnt(0)
	v_add_nc_u32_e32 v5, v2, v5
	s_and_not1_b32 exec_lo, exec_lo, s16
	s_cbranch_execz .LBB195_86
.LBB195_35:                             ; =>This Inner Loop Header: Depth=1
	ds_load_b32 v7, v17
	ds_load_b64 v[2:3], v18
	s_waitcnt lgkmcnt(0)
	s_barrier
	buffer_gl0_inv
	v_cmp_gt_i32_e64 s15, s33, v7
	s_delay_alu instid0(VALU_DEP_1) | instskip(NEXT) | instid1(SALU_CYCLE_1)
	s_bcnt1_i32_b32 s41, s15
	v_dual_mov_b32 v9, s41 :: v_dual_and_b32 v8, s15, v1
	s_delay_alu instid0(VALU_DEP_1)
	v_bcnt_u32_b32 v8, v8, 0
	ds_store_b32 v4, v9
	s_waitcnt lgkmcnt(0)
	s_barrier
	buffer_gl0_inv
	s_and_saveexec_b32 s41, s0
	s_cbranch_execnz .LBB195_52
; %bb.36:                               ;   in Loop: Header=BB195_35 Depth=1
	s_or_b32 exec_lo, exec_lo, s41
	s_and_saveexec_b32 s41, s1
	s_cbranch_execnz .LBB195_53
.LBB195_37:                             ;   in Loop: Header=BB195_35 Depth=1
	s_or_b32 exec_lo, exec_lo, s41
	s_and_saveexec_b32 s41, s2
	s_cbranch_execnz .LBB195_54
.LBB195_38:                             ;   in Loop: Header=BB195_35 Depth=1
	s_or_b32 exec_lo, exec_lo, s41
	s_and_saveexec_b32 s41, s3
	s_cbranch_execnz .LBB195_55
.LBB195_39:                             ;   in Loop: Header=BB195_35 Depth=1
	s_or_b32 exec_lo, exec_lo, s41
	s_and_saveexec_b32 s41, s4
	s_cbranch_execnz .LBB195_56
.LBB195_40:                             ;   in Loop: Header=BB195_35 Depth=1
	s_or_b32 exec_lo, exec_lo, s41
	s_and_saveexec_b32 s41, s5
	s_cbranch_execnz .LBB195_57
.LBB195_41:                             ;   in Loop: Header=BB195_35 Depth=1
	s_or_b32 exec_lo, exec_lo, s41
	s_and_saveexec_b32 s41, s6
	s_cbranch_execnz .LBB195_58
.LBB195_42:                             ;   in Loop: Header=BB195_35 Depth=1
	s_or_b32 exec_lo, exec_lo, s41
	s_and_saveexec_b32 s41, s7
	s_cbranch_execnz .LBB195_59
.LBB195_43:                             ;   in Loop: Header=BB195_35 Depth=1
	s_or_b32 exec_lo, exec_lo, s41
	s_and_saveexec_b32 s41, s8
	s_cbranch_execnz .LBB195_60
.LBB195_44:                             ;   in Loop: Header=BB195_35 Depth=1
	s_or_b32 exec_lo, exec_lo, s41
	s_and_saveexec_b32 s41, s9
	s_cbranch_execnz .LBB195_61
.LBB195_45:                             ;   in Loop: Header=BB195_35 Depth=1
	s_or_b32 exec_lo, exec_lo, s41
	s_and_saveexec_b32 s41, s10
	s_cbranch_execnz .LBB195_62
.LBB195_46:                             ;   in Loop: Header=BB195_35 Depth=1
	s_or_b32 exec_lo, exec_lo, s41
	s_and_saveexec_b32 s41, s11
	s_cbranch_execnz .LBB195_63
.LBB195_47:                             ;   in Loop: Header=BB195_35 Depth=1
	s_or_b32 exec_lo, exec_lo, s41
	s_and_saveexec_b32 s41, s12
	s_cbranch_execnz .LBB195_64
.LBB195_48:                             ;   in Loop: Header=BB195_35 Depth=1
	s_or_b32 exec_lo, exec_lo, s41
	s_and_saveexec_b32 s41, s13
	s_cbranch_execnz .LBB195_65
.LBB195_49:                             ;   in Loop: Header=BB195_35 Depth=1
	s_or_b32 exec_lo, exec_lo, s41
	s_and_saveexec_b32 s41, s14
	s_cbranch_execnz .LBB195_66
.LBB195_50:                             ;   in Loop: Header=BB195_35 Depth=1
	s_or_b32 exec_lo, exec_lo, s41
	s_and_saveexec_b32 s41, s15
	s_cbranch_execnz .LBB195_67
.LBB195_51:                             ;   in Loop: Header=BB195_35 Depth=1
	s_or_b32 exec_lo, exec_lo, s41
	s_and_saveexec_b32 s15, vcc_lo
	s_cbranch_execz .LBB195_34
	s_branch .LBB195_68
.LBB195_52:                             ;   in Loop: Header=BB195_35 Depth=1
	v_mov_b32_e32 v9, s17
	ds_load_b32 v9, v9
	s_waitcnt lgkmcnt(0)
	v_add_nc_u32_e32 v8, v9, v8
	s_or_b32 exec_lo, exec_lo, s41
	s_and_saveexec_b32 s41, s1
	s_cbranch_execz .LBB195_37
.LBB195_53:                             ;   in Loop: Header=BB195_35 Depth=1
	v_mov_b32_e32 v9, s18
	ds_load_b32 v9, v9
	s_waitcnt lgkmcnt(0)
	v_add_nc_u32_e32 v8, v9, v8
	s_or_b32 exec_lo, exec_lo, s41
	s_and_saveexec_b32 s41, s2
	s_cbranch_execz .LBB195_38
.LBB195_54:                             ;   in Loop: Header=BB195_35 Depth=1
	v_mov_b32_e32 v9, s19
	ds_load_b32 v9, v9
	s_waitcnt lgkmcnt(0)
	v_add_nc_u32_e32 v8, v9, v8
	s_or_b32 exec_lo, exec_lo, s41
	s_and_saveexec_b32 s41, s3
	s_cbranch_execz .LBB195_39
.LBB195_55:                             ;   in Loop: Header=BB195_35 Depth=1
	v_mov_b32_e32 v9, s20
	ds_load_b32 v9, v9
	s_waitcnt lgkmcnt(0)
	v_add_nc_u32_e32 v8, v9, v8
	s_or_b32 exec_lo, exec_lo, s41
	s_and_saveexec_b32 s41, s4
	s_cbranch_execz .LBB195_40
.LBB195_56:                             ;   in Loop: Header=BB195_35 Depth=1
	v_mov_b32_e32 v9, s21
	ds_load_b32 v9, v9
	s_waitcnt lgkmcnt(0)
	v_add_nc_u32_e32 v8, v9, v8
	s_or_b32 exec_lo, exec_lo, s41
	s_and_saveexec_b32 s41, s5
	s_cbranch_execz .LBB195_41
.LBB195_57:                             ;   in Loop: Header=BB195_35 Depth=1
	v_mov_b32_e32 v9, s24
	ds_load_b32 v9, v9
	s_waitcnt lgkmcnt(0)
	v_add_nc_u32_e32 v8, v9, v8
	s_or_b32 exec_lo, exec_lo, s41
	s_and_saveexec_b32 s41, s6
	s_cbranch_execz .LBB195_42
.LBB195_58:                             ;   in Loop: Header=BB195_35 Depth=1
	v_mov_b32_e32 v9, s25
	ds_load_b32 v9, v9
	s_waitcnt lgkmcnt(0)
	v_add_nc_u32_e32 v8, v9, v8
	s_or_b32 exec_lo, exec_lo, s41
	s_and_saveexec_b32 s41, s7
	s_cbranch_execz .LBB195_43
.LBB195_59:                             ;   in Loop: Header=BB195_35 Depth=1
	v_mov_b32_e32 v9, s27
	ds_load_b32 v9, v9
	s_waitcnt lgkmcnt(0)
	v_add_nc_u32_e32 v8, v9, v8
	s_or_b32 exec_lo, exec_lo, s41
	s_and_saveexec_b32 s41, s8
	s_cbranch_execz .LBB195_44
.LBB195_60:                             ;   in Loop: Header=BB195_35 Depth=1
	v_mov_b32_e32 v9, s28
	ds_load_b32 v9, v9
	s_waitcnt lgkmcnt(0)
	v_add_nc_u32_e32 v8, v9, v8
	s_or_b32 exec_lo, exec_lo, s41
	s_and_saveexec_b32 s41, s9
	s_cbranch_execz .LBB195_45
.LBB195_61:                             ;   in Loop: Header=BB195_35 Depth=1
	v_mov_b32_e32 v9, s29
	ds_load_b32 v9, v9
	s_waitcnt lgkmcnt(0)
	v_add_nc_u32_e32 v8, v9, v8
	s_or_b32 exec_lo, exec_lo, s41
	s_and_saveexec_b32 s41, s10
	s_cbranch_execz .LBB195_46
.LBB195_62:                             ;   in Loop: Header=BB195_35 Depth=1
	v_mov_b32_e32 v9, s30
	ds_load_b32 v9, v9
	s_waitcnt lgkmcnt(0)
	v_add_nc_u32_e32 v8, v9, v8
	s_or_b32 exec_lo, exec_lo, s41
	s_and_saveexec_b32 s41, s11
	s_cbranch_execz .LBB195_47
.LBB195_63:                             ;   in Loop: Header=BB195_35 Depth=1
	v_mov_b32_e32 v9, s37
	ds_load_b32 v9, v9
	s_waitcnt lgkmcnt(0)
	v_add_nc_u32_e32 v8, v9, v8
	s_or_b32 exec_lo, exec_lo, s41
	s_and_saveexec_b32 s41, s12
	s_cbranch_execz .LBB195_48
.LBB195_64:                             ;   in Loop: Header=BB195_35 Depth=1
	v_mov_b32_e32 v9, s38
	ds_load_b32 v9, v9
	s_waitcnt lgkmcnt(0)
	v_add_nc_u32_e32 v8, v9, v8
	s_or_b32 exec_lo, exec_lo, s41
	s_and_saveexec_b32 s41, s13
	s_cbranch_execz .LBB195_49
.LBB195_65:                             ;   in Loop: Header=BB195_35 Depth=1
	v_mov_b32_e32 v9, s39
	ds_load_b32 v9, v9
	s_waitcnt lgkmcnt(0)
	v_add_nc_u32_e32 v8, v9, v8
	s_or_b32 exec_lo, exec_lo, s41
	s_and_saveexec_b32 s41, s14
	s_cbranch_execz .LBB195_50
.LBB195_66:                             ;   in Loop: Header=BB195_35 Depth=1
	v_mov_b32_e32 v9, s40
	ds_load_b32 v9, v9
	s_waitcnt lgkmcnt(0)
	v_add_nc_u32_e32 v8, v9, v8
	s_or_b32 exec_lo, exec_lo, s41
	s_and_saveexec_b32 s41, s15
	s_cbranch_execz .LBB195_51
.LBB195_67:                             ;   in Loop: Header=BB195_35 Depth=1
	s_delay_alu instid0(VALU_DEP_1) | instskip(NEXT) | instid1(VALU_DEP_1)
	v_add3_u32 v9, v5, -1, v8
	v_lshlrev_b32_e32 v10, 3, v9
	v_lshl_add_u32 v9, v9, 2, 0
	s_delay_alu instid0(VALU_DEP_2)
	v_add3_u32 v10, 0, v10, 0x10000
	ds_store_b32 v9, v7
	ds_store_b64 v10, v[2:3]
	s_or_b32 exec_lo, exec_lo, s41
	s_and_saveexec_b32 s15, vcc_lo
	s_cbranch_execz .LBB195_34
.LBB195_68:                             ;   in Loop: Header=BB195_35 Depth=1
	v_mov_b32_e32 v2, s31
	ds_store_b32 v2, v8
	s_branch .LBB195_34
.LBB195_69:                             ;   in Loop: Header=BB195_70 Depth=1
	s_or_b32 exec_lo, exec_lo, s4
	v_add_co_u32 v3, vcc_lo, 0x400, v3
	v_add_co_ci_u32_e32 v4, vcc_lo, 0, v4, vcc_lo
	s_delay_alu instid0(VALU_DEP_1) | instskip(SKIP_1) | instid1(SALU_CYCLE_1)
	v_cmp_le_i64_e32 vcc_lo, s[0:1], v[3:4]
	s_or_b32 s3, vcc_lo, s3
	s_and_not1_b32 exec_lo, exec_lo, s3
	s_cbranch_execz .LBB195_32
.LBB195_70:                             ; =>This Loop Header: Depth=1
                                        ;     Child Loop BB195_72 Depth 2
                                        ;       Child Loop BB195_78 Depth 3
                                        ;       Child Loop BB195_84 Depth 3
	v_lshlrev_b64 v[5:6], 3, v[3:4]
	v_lshlrev_b64 v[7:8], 2, v[3:4]
	s_mov_b32 s4, 0
	s_delay_alu instid0(VALU_DEP_2) | instskip(NEXT) | instid1(VALU_DEP_3)
	v_add_co_u32 v5, vcc_lo, s20, v5
	v_add_co_ci_u32_e32 v6, vcc_lo, s21, v6, vcc_lo
	s_delay_alu instid0(VALU_DEP_3) | instskip(NEXT) | instid1(VALU_DEP_4)
	v_add_co_u32 v7, vcc_lo, s18, v7
	v_add_co_ci_u32_e32 v8, vcc_lo, s19, v8, vcc_lo
	global_load_b64 v[5:6], v[5:6], off
	global_load_b32 v7, v[7:8], off
	s_waitcnt vmcnt(1)
	v_mul_f64 v[5:6], v[1:2], v[5:6]
	s_waitcnt vmcnt(0)
	v_subrev_nc_u32_e32 v9, s27, v7
	s_delay_alu instid0(VALU_DEP_1) | instskip(NEXT) | instid1(VALU_DEP_1)
	v_mul_lo_u32 v7, 0x89, v9
	v_and_b32_e32 v10, 0x3fff, v7
	s_branch .LBB195_72
.LBB195_71:                             ;   in Loop: Header=BB195_72 Depth=2
	s_or_b32 exec_lo, exec_lo, s5
	s_xor_b32 s5, s6, -1
	s_delay_alu instid0(SALU_CYCLE_1) | instskip(NEXT) | instid1(SALU_CYCLE_1)
	s_and_b32 s5, exec_lo, s5
	s_or_b32 s4, s5, s4
	s_delay_alu instid0(SALU_CYCLE_1)
	s_and_not1_b32 exec_lo, exec_lo, s4
	s_cbranch_execz .LBB195_69
.LBB195_72:                             ;   Parent Loop BB195_70 Depth=1
                                        ; =>  This Loop Header: Depth=2
                                        ;       Child Loop BB195_78 Depth 3
                                        ;       Child Loop BB195_84 Depth 3
	s_delay_alu instid0(VALU_DEP_1)
	v_lshl_add_u32 v7, v10, 2, 0
	s_mov_b32 s5, exec_lo
                                        ; implicit-def: $sgpr6
	ds_load_b32 v8, v7
	s_waitcnt lgkmcnt(0)
	v_cmpx_ne_u32_e64 v8, v9
	s_xor_b32 s5, exec_lo, s5
	s_cbranch_execz .LBB195_82
; %bb.73:                               ;   in Loop: Header=BB195_72 Depth=2
	s_mov_b32 s7, exec_lo
                                        ; implicit-def: $sgpr6
	v_cmpx_ne_u32_e64 s33, v8
	s_xor_b32 s7, exec_lo, s7
; %bb.74:                               ;   in Loop: Header=BB195_72 Depth=2
	v_add_nc_u32_e32 v7, 1, v10
	s_mov_b32 s6, -1
	s_delay_alu instid0(VALU_DEP_1)
	v_and_b32_e32 v10, 0x3fff, v7
                                        ; implicit-def: $vgpr7
; %bb.75:                               ;   in Loop: Header=BB195_72 Depth=2
	s_and_not1_saveexec_b32 s7, s7
	s_cbranch_execz .LBB195_81
; %bb.76:                               ;   in Loop: Header=BB195_72 Depth=2
	v_mov_b32_e32 v8, s33
	s_mov_b32 s9, -1
	s_mov_b32 s8, exec_lo
	ds_cmpstore_rtn_b32 v7, v7, v9, v8
	s_waitcnt lgkmcnt(0)
	v_cmpx_eq_u32_e64 s33, v7
	s_cbranch_execz .LBB195_80
; %bb.77:                               ;   in Loop: Header=BB195_72 Depth=2
	v_lshlrev_b32_e32 v7, 3, v10
	s_mov_b32 s9, 0
	s_delay_alu instid0(VALU_DEP_1)
	v_add3_u32 v11, 0, v7, 0x10000
	ds_load_b64 v[7:8], v11
.LBB195_78:                             ;   Parent Loop BB195_70 Depth=1
                                        ;     Parent Loop BB195_72 Depth=2
                                        ; =>    This Inner Loop Header: Depth=3
	s_waitcnt lgkmcnt(0)
	v_add_f64 v[12:13], v[7:8], v[5:6]
	ds_cmpstore_rtn_b64 v[12:13], v11, v[12:13], v[7:8]
	s_waitcnt lgkmcnt(0)
	v_cmp_eq_u64_e32 vcc_lo, v[12:13], v[7:8]
	v_dual_mov_b32 v7, v12 :: v_dual_mov_b32 v8, v13
	s_or_b32 s9, vcc_lo, s9
	s_delay_alu instid0(SALU_CYCLE_1)
	s_and_not1_b32 exec_lo, exec_lo, s9
	s_cbranch_execnz .LBB195_78
; %bb.79:                               ;   in Loop: Header=BB195_72 Depth=2
	s_or_b32 exec_lo, exec_lo, s9
	s_delay_alu instid0(SALU_CYCLE_1)
	s_xor_b32 s9, exec_lo, -1
.LBB195_80:                             ;   in Loop: Header=BB195_72 Depth=2
	s_or_b32 exec_lo, exec_lo, s8
	s_delay_alu instid0(SALU_CYCLE_1) | instskip(SKIP_1) | instid1(SALU_CYCLE_1)
	s_and_not1_b32 s6, s6, exec_lo
	s_and_b32 s8, s9, exec_lo
	s_or_b32 s6, s6, s8
.LBB195_81:                             ;   in Loop: Header=BB195_72 Depth=2
	s_or_b32 exec_lo, exec_lo, s7
	s_delay_alu instid0(SALU_CYCLE_1)
	s_and_b32 s6, s6, exec_lo
.LBB195_82:                             ;   in Loop: Header=BB195_72 Depth=2
	s_and_not1_saveexec_b32 s5, s5
	s_cbranch_execz .LBB195_71
; %bb.83:                               ;   in Loop: Header=BB195_72 Depth=2
	v_lshlrev_b32_e32 v7, 3, v10
	s_mov_b32 s7, 0
	s_delay_alu instid0(VALU_DEP_1)
	v_add3_u32 v11, 0, v7, 0x10000
	ds_load_b64 v[7:8], v11
.LBB195_84:                             ;   Parent Loop BB195_70 Depth=1
                                        ;     Parent Loop BB195_72 Depth=2
                                        ; =>    This Inner Loop Header: Depth=3
	s_waitcnt lgkmcnt(0)
	v_add_f64 v[12:13], v[7:8], v[5:6]
	ds_cmpstore_rtn_b64 v[12:13], v11, v[12:13], v[7:8]
	s_waitcnt lgkmcnt(0)
	v_cmp_eq_u64_e32 vcc_lo, v[12:13], v[7:8]
	v_dual_mov_b32 v7, v12 :: v_dual_mov_b32 v8, v13
	s_or_b32 s7, vcc_lo, s7
	s_delay_alu instid0(SALU_CYCLE_1)
	s_and_not1_b32 exec_lo, exec_lo, s7
	s_cbranch_execnz .LBB195_84
; %bb.85:                               ;   in Loop: Header=BB195_72 Depth=2
	s_or_b32 exec_lo, exec_lo, s7
	s_delay_alu instid0(SALU_CYCLE_1)
	s_and_not1_b32 s6, s6, exec_lo
	s_branch .LBB195_71
.LBB195_86:
	s_or_b32 exec_lo, exec_lo, s16
	s_ashr_i32 s37, s36, 31
	s_mov_b32 s4, exec_lo
	s_lshl_b64 s[0:1], s[36:37], 3
	s_delay_alu instid0(SALU_CYCLE_1) | instskip(SKIP_4) | instid1(SALU_CYCLE_1)
	s_add_u32 s0, s22, s0
	s_addc_u32 s1, s23, s1
	s_load_b128 s[0:3], s[0:1], 0x0
	s_waitcnt lgkmcnt(0)
	s_sub_i32 s3, s2, s0
	v_cmpx_gt_i32_e64 s3, v0
	s_cbranch_execz .LBB195_96
; %bb.87:
	s_sub_u32 s4, s0, s26
	s_subb_u32 s5, s1, 0
	s_sub_i32 s0, s0, s2
	s_and_b32 s1, s3, 7
	s_cmp_lt_u32 s0, -7
	s_mov_b32 s8, 0
	s_cselect_b32 s2, -1, 0
	s_and_b32 s6, s3, -8
	s_cmp_lg_u32 s1, 0
	s_cselect_b32 s7, -1, 0
	s_branch .LBB195_89
.LBB195_88:                             ;   in Loop: Header=BB195_89 Depth=1
	s_delay_alu instid0(VALU_DEP_1) | instskip(SKIP_1) | instid1(VALU_DEP_1)
	v_lshlrev_b64 v[3:4], 3, v[3:4]
	v_add_nc_u32_e32 v0, 0x400, v0
	v_cmp_le_i32_e32 vcc_lo, s3, v0
	s_delay_alu instid0(VALU_DEP_3) | instskip(NEXT) | instid1(VALU_DEP_1)
	v_add_co_u32 v3, s0, s34, v3
	v_add_co_ci_u32_e64 v4, s0, s35, v4, s0
	s_or_b32 s8, vcc_lo, s8
	s_waitcnt lgkmcnt(0)
	global_store_b64 v[3:4], v[1:2], off
	s_and_not1_b32 exec_lo, exec_lo, s8
	s_cbranch_execz .LBB195_96
.LBB195_89:                             ; =>This Loop Header: Depth=1
                                        ;     Child Loop BB195_91 Depth 2
                                        ;     Child Loop BB195_95 Depth 2
	v_lshlrev_b32_e32 v1, 3, v0
	v_lshl_add_u32 v2, v0, 2, 0
	v_dual_mov_b32 v3, s4 :: v_dual_mov_b32 v4, s5
	s_and_not1_b32 vcc_lo, exec_lo, s2
	s_delay_alu instid0(VALU_DEP_3)
	v_add3_u32 v1, 0, v1, 0x10000
	s_mov_b32 s0, 0
	ds_load_b32 v5, v2
	ds_load_b64 v[1:2], v1
	s_cbranch_vccnz .LBB195_93
; %bb.90:                               ;   in Loop: Header=BB195_89 Depth=1
	v_dual_mov_b32 v3, s4 :: v_dual_mov_b32 v4, s5
	s_mov_b32 s9, 0
	s_mov_b32 s10, 0
.LBB195_91:                             ;   Parent Loop BB195_89 Depth=1
                                        ; =>  This Inner Loop Header: Depth=2
	s_delay_alu instid0(SALU_CYCLE_1)
	v_mov_b32_e32 v12, s10
	s_add_i32 s9, s9, 8
	s_add_i32 s10, s10, 32
	s_cmp_eq_u32 s6, s9
	ds_load_2addr_b32 v[6:7], v12 offset1:1
	ds_load_2addr_b32 v[8:9], v12 offset0:2 offset1:3
	ds_load_2addr_b32 v[10:11], v12 offset0:4 offset1:5
	;; [unrolled: 1-line block ×3, first 2 shown]
	s_waitcnt lgkmcnt(3)
	v_cmp_gt_i32_e32 vcc_lo, v5, v6
	v_cndmask_b32_e64 v6, 0, 1, vcc_lo
	v_cmp_gt_i32_e32 vcc_lo, v5, v7
	v_cndmask_b32_e64 v7, 0, 1, vcc_lo
	s_waitcnt lgkmcnt(2)
	v_cmp_gt_i32_e32 vcc_lo, v5, v8
	v_cndmask_b32_e64 v8, 0, 1, vcc_lo
	v_cmp_gt_i32_e32 vcc_lo, v5, v9
	v_cndmask_b32_e64 v9, 0, 1, vcc_lo
	s_waitcnt lgkmcnt(1)
	v_cmp_gt_i32_e32 vcc_lo, v5, v10
	v_cndmask_b32_e64 v10, 0, 1, vcc_lo
	v_add_co_u32 v3, vcc_lo, v3, v6
	v_add_co_ci_u32_e32 v4, vcc_lo, 0, v4, vcc_lo
	v_cmp_gt_i32_e32 vcc_lo, v5, v11
	s_delay_alu instid0(VALU_DEP_3) | instskip(NEXT) | instid1(VALU_DEP_1)
	v_add_co_u32 v3, s0, v3, v7
	v_add_co_ci_u32_e64 v4, s0, 0, v4, s0
	v_cndmask_b32_e64 v6, 0, 1, vcc_lo
	s_delay_alu instid0(VALU_DEP_3) | instskip(NEXT) | instid1(VALU_DEP_3)
	v_add_co_u32 v3, vcc_lo, v3, v8
	v_add_co_ci_u32_e32 v4, vcc_lo, 0, v4, vcc_lo
	s_waitcnt lgkmcnt(0)
	v_cmp_gt_i32_e32 vcc_lo, v5, v12
	s_delay_alu instid0(VALU_DEP_3) | instskip(NEXT) | instid1(VALU_DEP_1)
	v_add_co_u32 v3, s0, v3, v9
	v_add_co_ci_u32_e64 v4, s0, 0, v4, s0
	v_cndmask_b32_e64 v7, 0, 1, vcc_lo
	s_delay_alu instid0(VALU_DEP_3) | instskip(NEXT) | instid1(VALU_DEP_3)
	v_add_co_u32 v3, vcc_lo, v3, v10
	v_add_co_ci_u32_e32 v4, vcc_lo, 0, v4, vcc_lo
	v_cmp_gt_i32_e32 vcc_lo, v5, v13
	s_delay_alu instid0(VALU_DEP_3) | instskip(NEXT) | instid1(VALU_DEP_1)
	v_add_co_u32 v3, s0, v3, v6
	v_add_co_ci_u32_e64 v4, s0, 0, v4, s0
	v_cndmask_b32_e64 v6, 0, 1, vcc_lo
	s_delay_alu instid0(VALU_DEP_3) | instskip(NEXT) | instid1(VALU_DEP_3)
	v_add_co_u32 v3, vcc_lo, v3, v7
	v_add_co_ci_u32_e32 v4, vcc_lo, 0, v4, vcc_lo
	s_delay_alu instid0(VALU_DEP_2) | instskip(NEXT) | instid1(VALU_DEP_2)
	v_add_co_u32 v3, vcc_lo, v3, v6
	v_add_co_ci_u32_e32 v4, vcc_lo, 0, v4, vcc_lo
	s_cbranch_scc0 .LBB195_91
; %bb.92:                               ;   in Loop: Header=BB195_89 Depth=1
	s_mov_b32 s0, s6
.LBB195_93:                             ;   in Loop: Header=BB195_89 Depth=1
	s_and_not1_b32 vcc_lo, exec_lo, s7
	s_cbranch_vccnz .LBB195_88
; %bb.94:                               ;   in Loop: Header=BB195_89 Depth=1
	s_lshl_b32 s0, s0, 2
	s_mov_b32 s9, s1
	s_add_i32 s0, s0, 0
.LBB195_95:                             ;   Parent Loop BB195_89 Depth=1
                                        ; =>  This Inner Loop Header: Depth=2
	s_delay_alu instid0(SALU_CYCLE_1)
	v_mov_b32_e32 v6, s0
	s_add_i32 s9, s9, -1
	s_add_i32 s0, s0, 4
	s_cmp_lg_u32 s9, 0
	ds_load_b32 v6, v6
	s_waitcnt lgkmcnt(0)
	v_cmp_gt_i32_e32 vcc_lo, v5, v6
	v_cndmask_b32_e64 v6, 0, 1, vcc_lo
	s_delay_alu instid0(VALU_DEP_1)
	v_add_co_u32 v3, vcc_lo, v3, v6
	v_add_co_ci_u32_e32 v4, vcc_lo, 0, v4, vcc_lo
	s_cbranch_scc1 .LBB195_95
	s_branch .LBB195_88
.LBB195_96:
	s_nop 0
	s_sendmsg sendmsg(MSG_DEALLOC_VGPRS)
	s_endpgm
	.section	.rodata,"a",@progbits
	.p2align	6, 0x0
	.amdhsa_kernel _ZN9rocsparseL41csrgemm_numeric_fill_block_per_row_kernelILj1024ELj64ELj16384ELj137ELj64ElidEEvT5_PKS1_S3_NS_24const_host_device_scalarIT6_EEPKT4_S3_PKS5_S9_S3_SB_S6_S9_S3_SB_S9_S3_PS5_21rocsparse_index_base_SD_SD_SD_bbb
		.amdhsa_group_segment_fixed_size 0
		.amdhsa_private_segment_fixed_size 0
		.amdhsa_kernarg_size 156
		.amdhsa_user_sgpr_count 15
		.amdhsa_user_sgpr_dispatch_ptr 0
		.amdhsa_user_sgpr_queue_ptr 0
		.amdhsa_user_sgpr_kernarg_segment_ptr 1
		.amdhsa_user_sgpr_dispatch_id 0
		.amdhsa_user_sgpr_private_segment_size 0
		.amdhsa_wavefront_size32 1
		.amdhsa_uses_dynamic_stack 0
		.amdhsa_enable_private_segment 0
		.amdhsa_system_sgpr_workgroup_id_x 1
		.amdhsa_system_sgpr_workgroup_id_y 0
		.amdhsa_system_sgpr_workgroup_id_z 0
		.amdhsa_system_sgpr_workgroup_info 0
		.amdhsa_system_vgpr_workitem_id 0
		.amdhsa_next_free_vgpr 28
		.amdhsa_next_free_sgpr 42
		.amdhsa_reserve_vcc 1
		.amdhsa_float_round_mode_32 0
		.amdhsa_float_round_mode_16_64 0
		.amdhsa_float_denorm_mode_32 3
		.amdhsa_float_denorm_mode_16_64 3
		.amdhsa_dx10_clamp 1
		.amdhsa_ieee_mode 1
		.amdhsa_fp16_overflow 0
		.amdhsa_workgroup_processor_mode 1
		.amdhsa_memory_ordered 1
		.amdhsa_forward_progress 0
		.amdhsa_shared_vgpr_count 0
		.amdhsa_exception_fp_ieee_invalid_op 0
		.amdhsa_exception_fp_denorm_src 0
		.amdhsa_exception_fp_ieee_div_zero 0
		.amdhsa_exception_fp_ieee_overflow 0
		.amdhsa_exception_fp_ieee_underflow 0
		.amdhsa_exception_fp_ieee_inexact 0
		.amdhsa_exception_int_div_zero 0
	.end_amdhsa_kernel
	.section	.text._ZN9rocsparseL41csrgemm_numeric_fill_block_per_row_kernelILj1024ELj64ELj16384ELj137ELj64ElidEEvT5_PKS1_S3_NS_24const_host_device_scalarIT6_EEPKT4_S3_PKS5_S9_S3_SB_S6_S9_S3_SB_S9_S3_PS5_21rocsparse_index_base_SD_SD_SD_bbb,"axG",@progbits,_ZN9rocsparseL41csrgemm_numeric_fill_block_per_row_kernelILj1024ELj64ELj16384ELj137ELj64ElidEEvT5_PKS1_S3_NS_24const_host_device_scalarIT6_EEPKT4_S3_PKS5_S9_S3_SB_S6_S9_S3_SB_S9_S3_PS5_21rocsparse_index_base_SD_SD_SD_bbb,comdat
.Lfunc_end195:
	.size	_ZN9rocsparseL41csrgemm_numeric_fill_block_per_row_kernelILj1024ELj64ELj16384ELj137ELj64ElidEEvT5_PKS1_S3_NS_24const_host_device_scalarIT6_EEPKT4_S3_PKS5_S9_S3_SB_S6_S9_S3_SB_S9_S3_PS5_21rocsparse_index_base_SD_SD_SD_bbb, .Lfunc_end195-_ZN9rocsparseL41csrgemm_numeric_fill_block_per_row_kernelILj1024ELj64ELj16384ELj137ELj64ElidEEvT5_PKS1_S3_NS_24const_host_device_scalarIT6_EEPKT4_S3_PKS5_S9_S3_SB_S6_S9_S3_SB_S9_S3_PS5_21rocsparse_index_base_SD_SD_SD_bbb
                                        ; -- End function
	.section	.AMDGPU.csdata,"",@progbits
; Kernel info:
; codeLenInByte = 3992
; NumSgprs: 44
; NumVgprs: 28
; ScratchSize: 0
; MemoryBound: 0
; FloatMode: 240
; IeeeMode: 1
; LDSByteSize: 0 bytes/workgroup (compile time only)
; SGPRBlocks: 5
; VGPRBlocks: 3
; NumSGPRsForWavesPerEU: 44
; NumVGPRsForWavesPerEU: 28
; Occupancy: 16
; WaveLimiterHint : 1
; COMPUTE_PGM_RSRC2:SCRATCH_EN: 0
; COMPUTE_PGM_RSRC2:USER_SGPR: 15
; COMPUTE_PGM_RSRC2:TRAP_HANDLER: 0
; COMPUTE_PGM_RSRC2:TGID_X_EN: 1
; COMPUTE_PGM_RSRC2:TGID_Y_EN: 0
; COMPUTE_PGM_RSRC2:TGID_Z_EN: 0
; COMPUTE_PGM_RSRC2:TIDIG_COMP_CNT: 0
	.section	.text._ZN9rocsparseL41csrgemm_numeric_fill_block_per_row_kernelILj1024ELj64ELj32768ELj137ELj32ElidEEvT5_PKS1_S3_NS_24const_host_device_scalarIT6_EEPKT4_S3_PKS5_S9_S3_SB_S6_S9_S3_SB_S9_S3_PS5_21rocsparse_index_base_SD_SD_SD_bbb,"axG",@progbits,_ZN9rocsparseL41csrgemm_numeric_fill_block_per_row_kernelILj1024ELj64ELj32768ELj137ELj32ElidEEvT5_PKS1_S3_NS_24const_host_device_scalarIT6_EEPKT4_S3_PKS5_S9_S3_SB_S6_S9_S3_SB_S9_S3_PS5_21rocsparse_index_base_SD_SD_SD_bbb,comdat
	.globl	_ZN9rocsparseL41csrgemm_numeric_fill_block_per_row_kernelILj1024ELj64ELj32768ELj137ELj32ElidEEvT5_PKS1_S3_NS_24const_host_device_scalarIT6_EEPKT4_S3_PKS5_S9_S3_SB_S6_S9_S3_SB_S9_S3_PS5_21rocsparse_index_base_SD_SD_SD_bbb ; -- Begin function _ZN9rocsparseL41csrgemm_numeric_fill_block_per_row_kernelILj1024ELj64ELj32768ELj137ELj32ElidEEvT5_PKS1_S3_NS_24const_host_device_scalarIT6_EEPKT4_S3_PKS5_S9_S3_SB_S6_S9_S3_SB_S9_S3_PS5_21rocsparse_index_base_SD_SD_SD_bbb
	.p2align	8
	.type	_ZN9rocsparseL41csrgemm_numeric_fill_block_per_row_kernelILj1024ELj64ELj32768ELj137ELj32ElidEEvT5_PKS1_S3_NS_24const_host_device_scalarIT6_EEPKT4_S3_PKS5_S9_S3_SB_S6_S9_S3_SB_S9_S3_PS5_21rocsparse_index_base_SD_SD_SD_bbb,@function
_ZN9rocsparseL41csrgemm_numeric_fill_block_per_row_kernelILj1024ELj64ELj32768ELj137ELj32ElidEEvT5_PKS1_S3_NS_24const_host_device_scalarIT6_EEPKT4_S3_PKS5_S9_S3_SB_S6_S9_S3_SB_S9_S3_PS5_21rocsparse_index_base_SD_SD_SD_bbb: ; @_ZN9rocsparseL41csrgemm_numeric_fill_block_per_row_kernelILj1024ELj64ELj32768ELj137ELj32ElidEEvT5_PKS1_S3_NS_24const_host_device_scalarIT6_EEPKT4_S3_PKS5_S9_S3_SB_S6_S9_S3_SB_S9_S3_PS5_21rocsparse_index_base_SD_SD_SD_bbb
; %bb.0:
	s_clause 0x3
	s_load_b32 s12, s[0:1], 0x98
	s_load_b64 s[4:5], s[0:1], 0x18
	s_load_b128 s[44:47], s[0:1], 0x88
	s_load_b64 s[2:3], s[0:1], 0x50
	s_waitcnt lgkmcnt(0)
	s_and_b32 s6, 1, s12
	s_bitcmp1_b32 s12, 16
	s_cselect_b32 s14, -1, 0
	s_cmp_eq_u32 s6, 1
	s_cselect_b32 s13, -1, 0
	s_delay_alu instid0(SALU_CYCLE_1)
	s_and_b32 s6, s13, exec_lo
	s_cselect_b32 s7, s5, 0
	s_cselect_b32 s6, s4, 0
	s_xor_b32 s8, s13, -1
	v_dual_mov_b32 v3, s6 :: v_dual_mov_b32 v4, s7
	s_or_b32 s8, s8, s14
	s_delay_alu instid0(SALU_CYCLE_1)
	s_and_b32 vcc_lo, exec_lo, s8
	s_cbranch_vccnz .LBB196_2
; %bb.1:
	v_dual_mov_b32 v1, s4 :: v_dual_mov_b32 v2, s5
	flat_load_b64 v[3:4], v[1:2]
.LBB196_2:
	s_clause 0x4
	s_load_b64 s[34:35], s[0:1], 0x80
	s_load_b256 s[36:43], s[0:1], 0x58
	s_load_b128 s[16:19], s[0:1], 0x40
	s_load_b128 s[20:23], s[0:1], 0x8
	s_load_b256 s[4:11], s[0:1], 0x20
	s_bitcmp1_b32 s12, 8
	s_cselect_b32 s12, -1, 0
	s_delay_alu instid0(SALU_CYCLE_1)
	s_and_b32 s24, s12, exec_lo
	s_cselect_b32 s25, s3, 0
	s_cselect_b32 s24, s2, 0
	s_xor_b32 s26, s12, -1
	v_dual_mov_b32 v1, s24 :: v_dual_mov_b32 v2, s25
	s_or_b32 s14, s26, s14
	s_delay_alu instid0(SALU_CYCLE_1)
	s_and_b32 vcc_lo, exec_lo, s14
	s_cbranch_vccnz .LBB196_4
; %bb.3:
	v_dual_mov_b32 v1, s2 :: v_dual_mov_b32 v2, s3
	flat_load_b64 v[1:2], v[1:2]
.LBB196_4:
	s_load_b32 s33, s[0:1], 0x0
	v_dual_mov_b32 v5, 0 :: v_dual_lshlrev_b32 v6, 3, v0
	v_lshl_add_u32 v17, v0, 2, 0
	v_or_b32_e32 v19, 0xfffffc00, v0
	s_mov_b32 s0, 0
	s_delay_alu instid0(VALU_DEP_3) | instskip(SKIP_1) | instid1(VALU_DEP_3)
	v_add3_u32 v18, v6, 0, 0x20000
	v_mov_b32_e32 v6, v5
	v_dual_mov_b32 v7, v17 :: v_dual_mov_b32 v10, v19
	s_waitcnt lgkmcnt(0)
	s_delay_alu instid0(VALU_DEP_3)
	v_dual_mov_b32 v8, v18 :: v_dual_mov_b32 v9, s33
.LBB196_5:                              ; =>This Inner Loop Header: Depth=1
	s_delay_alu instid0(VALU_DEP_2)
	v_add_nc_u32_e32 v10, 0x400, v10
	ds_store_b32 v7, v9
	ds_store_b64 v8, v[5:6]
	v_add_nc_u32_e32 v8, 0x2000, v8
	v_add_nc_u32_e32 v7, 0x1000, v7
	v_cmp_lt_u32_e32 vcc_lo, 0x7bff, v10
	s_or_b32 s0, vcc_lo, s0
	s_delay_alu instid0(SALU_CYCLE_1)
	s_and_not1_b32 exec_lo, exec_lo, s0
	s_cbranch_execnz .LBB196_5
; %bb.6:
	s_or_b32 exec_lo, exec_lo, s0
	s_waitcnt vmcnt(0) lgkmcnt(0)
	s_barrier
	buffer_gl0_inv
	s_load_b32 s0, s[20:21], 0x0
	s_mov_b32 s1, 0
	s_waitcnt lgkmcnt(0)
	s_add_i32 s0, s0, s15
	s_delay_alu instid0(SALU_CYCLE_1) | instskip(NEXT) | instid1(SALU_CYCLE_1)
	s_lshl_b64 s[0:1], s[0:1], 2
	s_add_u32 s0, s22, s0
	s_addc_u32 s1, s23, s1
	s_and_b32 vcc_lo, exec_lo, s13
	s_load_b32 s48, s[0:1], 0x0
	s_cbranch_vccz .LBB196_30
; %bb.7:
	s_waitcnt lgkmcnt(0)
	s_ashr_i32 s49, s48, 31
	v_lshrrev_b32_e32 v5, 6, v0
	s_lshl_b64 s[0:1], s[48:49], 3
	s_delay_alu instid0(SALU_CYCLE_1) | instskip(SKIP_1) | instid1(VALU_DEP_1)
	s_add_u32 s0, s4, s0
	s_addc_u32 s1, s5, s1
	v_sub_co_u32 v5, s4, v5, s44
	s_load_b128 s[0:3], s[0:1], 0x0
	v_sub_co_ci_u32_e64 v6, null, 0, 0, s4
	s_waitcnt lgkmcnt(0)
	s_delay_alu instid0(VALU_DEP_2) | instskip(NEXT) | instid1(VALU_DEP_2)
	v_add_co_u32 v5, vcc_lo, s0, v5
	v_add_co_ci_u32_e32 v6, vcc_lo, s1, v6, vcc_lo
	s_sub_u32 s0, s2, s44
	s_subb_u32 s1, s3, 0
	s_mov_b32 s2, exec_lo
	s_delay_alu instid0(VALU_DEP_1)
	v_cmpx_gt_i64_e64 s[0:1], v[5:6]
	s_cbranch_execz .LBB196_29
; %bb.8:
	v_and_b32_e32 v7, 63, v0
	s_mov_b32 s4, s45
	s_delay_alu instid0(VALU_DEP_1) | instskip(NEXT) | instid1(VALU_DEP_1)
	v_sub_co_u32 v20, s3, v7, s45
	v_sub_co_ci_u32_e64 v21, null, 0, 0, s3
	s_mov_b32 s3, 0
	s_branch .LBB196_10
.LBB196_9:                              ;   in Loop: Header=BB196_10 Depth=1
	s_or_b32 exec_lo, exec_lo, s5
	v_add_co_u32 v5, vcc_lo, v5, 16
	v_add_co_ci_u32_e32 v6, vcc_lo, 0, v6, vcc_lo
	s_delay_alu instid0(VALU_DEP_1) | instskip(SKIP_1) | instid1(SALU_CYCLE_1)
	v_cmp_le_i64_e32 vcc_lo, s[0:1], v[5:6]
	s_or_b32 s3, vcc_lo, s3
	s_and_not1_b32 exec_lo, exec_lo, s3
	s_cbranch_execz .LBB196_29
.LBB196_10:                             ; =>This Loop Header: Depth=1
                                        ;     Child Loop BB196_13 Depth 2
                                        ;       Child Loop BB196_15 Depth 3
                                        ;         Child Loop BB196_21 Depth 4
                                        ;         Child Loop BB196_27 Depth 4
	v_lshlrev_b64 v[7:8], 2, v[5:6]
	s_mov_b32 s5, exec_lo
	s_delay_alu instid0(VALU_DEP_1) | instskip(NEXT) | instid1(VALU_DEP_2)
	v_add_co_u32 v7, vcc_lo, s6, v7
	v_add_co_ci_u32_e32 v8, vcc_lo, s7, v8, vcc_lo
	global_load_b32 v7, v[7:8], off
	s_waitcnt vmcnt(0)
	v_subrev_nc_u32_e32 v7, s44, v7
	s_delay_alu instid0(VALU_DEP_1) | instskip(NEXT) | instid1(VALU_DEP_1)
	v_ashrrev_i32_e32 v8, 31, v7
	v_lshlrev_b64 v[7:8], 3, v[7:8]
	s_delay_alu instid0(VALU_DEP_1) | instskip(NEXT) | instid1(VALU_DEP_2)
	v_add_co_u32 v7, vcc_lo, s10, v7
	v_add_co_ci_u32_e32 v8, vcc_lo, s11, v8, vcc_lo
	global_load_b128 v[9:12], v[7:8], off
	s_waitcnt vmcnt(0)
	v_sub_co_u32 v7, vcc_lo, v11, s4
	v_subrev_co_ci_u32_e32 v8, vcc_lo, 0, v12, vcc_lo
	v_add_co_u32 v9, vcc_lo, v9, v20
	v_add_co_ci_u32_e32 v10, vcc_lo, v10, v21, vcc_lo
	s_delay_alu instid0(VALU_DEP_1)
	v_cmpx_lt_i64_e64 v[9:10], v[7:8]
	s_cbranch_execz .LBB196_9
; %bb.11:                               ;   in Loop: Header=BB196_10 Depth=1
	v_lshlrev_b64 v[11:12], 3, v[5:6]
	s_mov_b32 s13, 0
	s_delay_alu instid0(VALU_DEP_1) | instskip(NEXT) | instid1(VALU_DEP_2)
	v_add_co_u32 v11, vcc_lo, s8, v11
	v_add_co_ci_u32_e32 v12, vcc_lo, s9, v12, vcc_lo
	global_load_b64 v[11:12], v[11:12], off
	s_waitcnt vmcnt(0)
	v_mul_f64 v[11:12], v[3:4], v[11:12]
	s_branch .LBB196_13
.LBB196_12:                             ;   in Loop: Header=BB196_13 Depth=2
	s_or_b32 exec_lo, exec_lo, s14
	v_add_co_u32 v9, vcc_lo, v9, 64
	v_add_co_ci_u32_e32 v10, vcc_lo, 0, v10, vcc_lo
	s_delay_alu instid0(VALU_DEP_1) | instskip(SKIP_1) | instid1(SALU_CYCLE_1)
	v_cmp_ge_i64_e32 vcc_lo, v[9:10], v[7:8]
	s_or_b32 s13, vcc_lo, s13
	s_and_not1_b32 exec_lo, exec_lo, s13
	s_cbranch_execz .LBB196_9
.LBB196_13:                             ;   Parent Loop BB196_10 Depth=1
                                        ; =>  This Loop Header: Depth=2
                                        ;       Child Loop BB196_15 Depth 3
                                        ;         Child Loop BB196_21 Depth 4
                                        ;         Child Loop BB196_27 Depth 4
	v_lshlrev_b64 v[13:14], 3, v[9:10]
	v_lshlrev_b64 v[15:16], 2, v[9:10]
	s_mov_b32 s14, 0
	s_delay_alu instid0(VALU_DEP_2) | instskip(NEXT) | instid1(VALU_DEP_3)
	v_add_co_u32 v13, vcc_lo, s18, v13
	v_add_co_ci_u32_e32 v14, vcc_lo, s19, v14, vcc_lo
	s_delay_alu instid0(VALU_DEP_3) | instskip(NEXT) | instid1(VALU_DEP_4)
	v_add_co_u32 v15, vcc_lo, s16, v15
	v_add_co_ci_u32_e32 v16, vcc_lo, s17, v16, vcc_lo
	global_load_b64 v[13:14], v[13:14], off
	global_load_b32 v15, v[15:16], off
	s_waitcnt vmcnt(1)
	v_mul_f64 v[13:14], v[11:12], v[13:14]
	s_waitcnt vmcnt(0)
	v_subrev_nc_u32_e32 v22, s45, v15
	s_delay_alu instid0(VALU_DEP_1) | instskip(NEXT) | instid1(VALU_DEP_1)
	v_mul_lo_u32 v15, 0x89, v22
	v_and_b32_e32 v23, 0x7fff, v15
	s_branch .LBB196_15
.LBB196_14:                             ;   in Loop: Header=BB196_15 Depth=3
	s_or_b32 exec_lo, exec_lo, s15
	s_xor_b32 s15, s20, -1
	s_delay_alu instid0(SALU_CYCLE_1) | instskip(NEXT) | instid1(SALU_CYCLE_1)
	s_and_b32 s15, exec_lo, s15
	s_or_b32 s14, s15, s14
	s_delay_alu instid0(SALU_CYCLE_1)
	s_and_not1_b32 exec_lo, exec_lo, s14
	s_cbranch_execz .LBB196_12
.LBB196_15:                             ;   Parent Loop BB196_10 Depth=1
                                        ;     Parent Loop BB196_13 Depth=2
                                        ; =>    This Loop Header: Depth=3
                                        ;         Child Loop BB196_21 Depth 4
                                        ;         Child Loop BB196_27 Depth 4
	s_delay_alu instid0(VALU_DEP_1)
	v_lshl_add_u32 v15, v23, 2, 0
	s_mov_b32 s15, exec_lo
                                        ; implicit-def: $sgpr20
	ds_load_b32 v16, v15
	s_waitcnt lgkmcnt(0)
	v_cmpx_ne_u32_e64 v16, v22
	s_xor_b32 s15, exec_lo, s15
	s_cbranch_execz .LBB196_25
; %bb.16:                               ;   in Loop: Header=BB196_15 Depth=3
	s_mov_b32 s21, exec_lo
                                        ; implicit-def: $sgpr20
	v_cmpx_ne_u32_e64 s33, v16
	s_xor_b32 s21, exec_lo, s21
; %bb.17:                               ;   in Loop: Header=BB196_15 Depth=3
	v_add_nc_u32_e32 v15, 1, v23
	s_mov_b32 s20, -1
	s_delay_alu instid0(VALU_DEP_1)
	v_and_b32_e32 v23, 0x7fff, v15
                                        ; implicit-def: $vgpr15
; %bb.18:                               ;   in Loop: Header=BB196_15 Depth=3
	s_and_not1_saveexec_b32 s21, s21
	s_cbranch_execz .LBB196_24
; %bb.19:                               ;   in Loop: Header=BB196_15 Depth=3
	v_mov_b32_e32 v16, s33
	s_mov_b32 s23, -1
	s_mov_b32 s22, exec_lo
	ds_cmpstore_rtn_b32 v15, v15, v22, v16
	s_waitcnt lgkmcnt(0)
	v_cmpx_eq_u32_e64 s33, v15
	s_cbranch_execz .LBB196_23
; %bb.20:                               ;   in Loop: Header=BB196_15 Depth=3
	v_lshlrev_b32_e32 v15, 3, v23
	s_mov_b32 s23, 0
	s_delay_alu instid0(VALU_DEP_1)
	v_add3_u32 v24, 0, v15, 0x20000
	ds_load_b64 v[15:16], v24
.LBB196_21:                             ;   Parent Loop BB196_10 Depth=1
                                        ;     Parent Loop BB196_13 Depth=2
                                        ;       Parent Loop BB196_15 Depth=3
                                        ; =>      This Inner Loop Header: Depth=4
	s_waitcnt lgkmcnt(0)
	v_add_f64 v[25:26], v[15:16], v[13:14]
	ds_cmpstore_rtn_b64 v[25:26], v24, v[25:26], v[15:16]
	s_waitcnt lgkmcnt(0)
	v_cmp_eq_u64_e32 vcc_lo, v[25:26], v[15:16]
	v_dual_mov_b32 v15, v25 :: v_dual_mov_b32 v16, v26
	s_or_b32 s23, vcc_lo, s23
	s_delay_alu instid0(SALU_CYCLE_1)
	s_and_not1_b32 exec_lo, exec_lo, s23
	s_cbranch_execnz .LBB196_21
; %bb.22:                               ;   in Loop: Header=BB196_15 Depth=3
	s_or_b32 exec_lo, exec_lo, s23
	s_delay_alu instid0(SALU_CYCLE_1)
	s_xor_b32 s23, exec_lo, -1
.LBB196_23:                             ;   in Loop: Header=BB196_15 Depth=3
	s_or_b32 exec_lo, exec_lo, s22
	s_delay_alu instid0(SALU_CYCLE_1) | instskip(SKIP_1) | instid1(SALU_CYCLE_1)
	s_and_not1_b32 s20, s20, exec_lo
	s_and_b32 s22, s23, exec_lo
	s_or_b32 s20, s20, s22
.LBB196_24:                             ;   in Loop: Header=BB196_15 Depth=3
	s_or_b32 exec_lo, exec_lo, s21
	s_delay_alu instid0(SALU_CYCLE_1)
	s_and_b32 s20, s20, exec_lo
.LBB196_25:                             ;   in Loop: Header=BB196_15 Depth=3
	s_and_not1_saveexec_b32 s15, s15
	s_cbranch_execz .LBB196_14
; %bb.26:                               ;   in Loop: Header=BB196_15 Depth=3
	v_lshlrev_b32_e32 v15, 3, v23
	s_mov_b32 s21, 0
	s_delay_alu instid0(VALU_DEP_1)
	v_add3_u32 v24, 0, v15, 0x20000
	ds_load_b64 v[15:16], v24
.LBB196_27:                             ;   Parent Loop BB196_10 Depth=1
                                        ;     Parent Loop BB196_13 Depth=2
                                        ;       Parent Loop BB196_15 Depth=3
                                        ; =>      This Inner Loop Header: Depth=4
	s_waitcnt lgkmcnt(0)
	v_add_f64 v[25:26], v[15:16], v[13:14]
	ds_cmpstore_rtn_b64 v[25:26], v24, v[25:26], v[15:16]
	s_waitcnt lgkmcnt(0)
	v_cmp_eq_u64_e32 vcc_lo, v[25:26], v[15:16]
	v_dual_mov_b32 v15, v25 :: v_dual_mov_b32 v16, v26
	s_or_b32 s21, vcc_lo, s21
	s_delay_alu instid0(SALU_CYCLE_1)
	s_and_not1_b32 exec_lo, exec_lo, s21
	s_cbranch_execnz .LBB196_27
; %bb.28:                               ;   in Loop: Header=BB196_15 Depth=3
	s_or_b32 exec_lo, exec_lo, s21
	s_delay_alu instid0(SALU_CYCLE_1)
	s_and_not1_b32 s20, s20, exec_lo
	s_branch .LBB196_14
.LBB196_29:
	s_or_b32 exec_lo, exec_lo, s2
.LBB196_30:
	s_delay_alu instid0(SALU_CYCLE_1)
	s_and_not1_b32 vcc_lo, exec_lo, s12
	s_cbranch_vccnz .LBB196_33
; %bb.31:
	s_waitcnt lgkmcnt(0)
	s_ashr_i32 s49, s48, 31
	v_sub_co_u32 v3, s4, v0, s47
	s_lshl_b64 s[0:1], s[48:49], 3
	v_sub_co_ci_u32_e64 v4, null, 0, 0, s4
	s_add_u32 s0, s36, s0
	s_addc_u32 s1, s37, s1
	s_load_b128 s[0:3], s[0:1], 0x0
	s_waitcnt lgkmcnt(0)
	v_add_co_u32 v3, vcc_lo, s0, v3
	v_add_co_ci_u32_e32 v4, vcc_lo, s1, v4, vcc_lo
	s_sub_u32 s0, s2, s47
	s_subb_u32 s1, s3, 0
	s_mov_b32 s3, 0
	s_mov_b32 s2, exec_lo
	v_cmpx_gt_i64_e64 s[0:1], v[3:4]
	s_cbranch_execnz .LBB196_102
.LBB196_32:
	s_or_b32 exec_lo, exec_lo, s2
.LBB196_33:
	v_mbcnt_lo_u32_b32 v1, -1, 0
	v_lshrrev_b32_e32 v2, 3, v0
	s_add_i32 s68, 0, 0x6007c
	v_cmp_eq_u32_e32 vcc_lo, 0x3ff, v0
	v_cmp_lt_u32_e64 s0, 31, v0
	v_xor_b32_e32 v1, 63, v1
	v_dual_mov_b32 v6, s68 :: v_dual_and_b32 v3, 0x7c, v2
	v_cmp_lt_u32_e64 s1, 63, v0
	v_cmp_lt_u32_e64 s2, 0x5f, v0
	s_delay_alu instid0(VALU_DEP_4) | instskip(NEXT) | instid1(VALU_DEP_4)
	v_lshrrev_b64 v[1:2], v1, -1
	v_add3_u32 v4, 0, 0x60000, v3
	v_cmp_lt_u32_e64 s3, 0x7f, v0
	v_cmp_lt_u32_e64 s4, 0x9f, v0
	;; [unrolled: 1-line block ×28, first 2 shown]
	v_mov_b32_e32 v5, 0
	s_mov_b32 s36, 0
	s_add_i32 s37, 0, 0x60000
	s_add_i32 s38, 0, 0x60004
	;; [unrolled: 1-line block ×31, first 2 shown]
	s_waitcnt lgkmcnt(0)
	s_barrier
	buffer_gl0_inv
	s_branch .LBB196_35
.LBB196_34:                             ;   in Loop: Header=BB196_35 Depth=1
	s_or_b32 exec_lo, exec_lo, s31
	s_waitcnt lgkmcnt(0)
	s_barrier
	buffer_gl0_inv
	ds_load_b32 v2, v6
	v_add_nc_u32_e32 v19, 0x400, v19
	v_add_nc_u32_e32 v18, 0x2000, v18
	;; [unrolled: 1-line block ×3, first 2 shown]
	s_delay_alu instid0(VALU_DEP_3) | instskip(NEXT) | instid1(VALU_DEP_1)
	v_cmp_lt_u32_e64 s31, 0x7bff, v19
	s_or_b32 s36, s31, s36
	s_waitcnt lgkmcnt(0)
	v_add_nc_u32_e32 v5, v2, v5
	s_and_not1_b32 exec_lo, exec_lo, s36
	s_cbranch_execz .LBB196_118
.LBB196_35:                             ; =>This Inner Loop Header: Depth=1
	ds_load_b32 v7, v17
	ds_load_b64 v[2:3], v18
	s_waitcnt lgkmcnt(0)
	s_barrier
	buffer_gl0_inv
	v_cmp_gt_i32_e64 s31, s33, v7
	s_delay_alu instid0(VALU_DEP_1) | instskip(NEXT) | instid1(SALU_CYCLE_1)
	s_bcnt1_i32_b32 s73, s31
	v_dual_mov_b32 v9, s73 :: v_dual_and_b32 v8, s31, v1
	s_delay_alu instid0(VALU_DEP_1)
	v_bcnt_u32_b32 v8, v8, 0
	ds_store_b32 v4, v9
	s_waitcnt lgkmcnt(0)
	s_barrier
	buffer_gl0_inv
	s_and_saveexec_b32 s73, s0
	s_cbranch_execnz .LBB196_68
; %bb.36:                               ;   in Loop: Header=BB196_35 Depth=1
	s_or_b32 exec_lo, exec_lo, s73
	s_and_saveexec_b32 s73, s1
	s_cbranch_execnz .LBB196_69
.LBB196_37:                             ;   in Loop: Header=BB196_35 Depth=1
	s_or_b32 exec_lo, exec_lo, s73
	s_and_saveexec_b32 s73, s2
	s_cbranch_execnz .LBB196_70
.LBB196_38:                             ;   in Loop: Header=BB196_35 Depth=1
	s_or_b32 exec_lo, exec_lo, s73
	s_and_saveexec_b32 s73, s3
	s_cbranch_execnz .LBB196_71
.LBB196_39:                             ;   in Loop: Header=BB196_35 Depth=1
	s_or_b32 exec_lo, exec_lo, s73
	s_and_saveexec_b32 s73, s4
	s_cbranch_execnz .LBB196_72
.LBB196_40:                             ;   in Loop: Header=BB196_35 Depth=1
	s_or_b32 exec_lo, exec_lo, s73
	s_and_saveexec_b32 s73, s5
	s_cbranch_execnz .LBB196_73
.LBB196_41:                             ;   in Loop: Header=BB196_35 Depth=1
	s_or_b32 exec_lo, exec_lo, s73
	s_and_saveexec_b32 s73, s6
	s_cbranch_execnz .LBB196_74
.LBB196_42:                             ;   in Loop: Header=BB196_35 Depth=1
	s_or_b32 exec_lo, exec_lo, s73
	s_and_saveexec_b32 s73, s7
	s_cbranch_execnz .LBB196_75
.LBB196_43:                             ;   in Loop: Header=BB196_35 Depth=1
	s_or_b32 exec_lo, exec_lo, s73
	s_and_saveexec_b32 s73, s8
	s_cbranch_execnz .LBB196_76
.LBB196_44:                             ;   in Loop: Header=BB196_35 Depth=1
	s_or_b32 exec_lo, exec_lo, s73
	s_and_saveexec_b32 s73, s9
	s_cbranch_execnz .LBB196_77
.LBB196_45:                             ;   in Loop: Header=BB196_35 Depth=1
	s_or_b32 exec_lo, exec_lo, s73
	s_and_saveexec_b32 s73, s10
	s_cbranch_execnz .LBB196_78
.LBB196_46:                             ;   in Loop: Header=BB196_35 Depth=1
	s_or_b32 exec_lo, exec_lo, s73
	s_and_saveexec_b32 s73, s11
	s_cbranch_execnz .LBB196_79
.LBB196_47:                             ;   in Loop: Header=BB196_35 Depth=1
	s_or_b32 exec_lo, exec_lo, s73
	s_and_saveexec_b32 s73, s12
	s_cbranch_execnz .LBB196_80
.LBB196_48:                             ;   in Loop: Header=BB196_35 Depth=1
	s_or_b32 exec_lo, exec_lo, s73
	s_and_saveexec_b32 s73, s13
	s_cbranch_execnz .LBB196_81
.LBB196_49:                             ;   in Loop: Header=BB196_35 Depth=1
	s_or_b32 exec_lo, exec_lo, s73
	s_and_saveexec_b32 s73, s14
	s_cbranch_execnz .LBB196_82
.LBB196_50:                             ;   in Loop: Header=BB196_35 Depth=1
	s_or_b32 exec_lo, exec_lo, s73
	s_and_saveexec_b32 s73, s15
	s_cbranch_execnz .LBB196_83
.LBB196_51:                             ;   in Loop: Header=BB196_35 Depth=1
	s_or_b32 exec_lo, exec_lo, s73
	s_and_saveexec_b32 s73, s16
	s_cbranch_execnz .LBB196_84
.LBB196_52:                             ;   in Loop: Header=BB196_35 Depth=1
	s_or_b32 exec_lo, exec_lo, s73
	s_and_saveexec_b32 s73, s17
	s_cbranch_execnz .LBB196_85
.LBB196_53:                             ;   in Loop: Header=BB196_35 Depth=1
	s_or_b32 exec_lo, exec_lo, s73
	s_and_saveexec_b32 s73, s18
	s_cbranch_execnz .LBB196_86
.LBB196_54:                             ;   in Loop: Header=BB196_35 Depth=1
	s_or_b32 exec_lo, exec_lo, s73
	s_and_saveexec_b32 s73, s19
	s_cbranch_execnz .LBB196_87
.LBB196_55:                             ;   in Loop: Header=BB196_35 Depth=1
	s_or_b32 exec_lo, exec_lo, s73
	s_and_saveexec_b32 s73, s20
	s_cbranch_execnz .LBB196_88
.LBB196_56:                             ;   in Loop: Header=BB196_35 Depth=1
	s_or_b32 exec_lo, exec_lo, s73
	s_and_saveexec_b32 s73, s21
	s_cbranch_execnz .LBB196_89
.LBB196_57:                             ;   in Loop: Header=BB196_35 Depth=1
	s_or_b32 exec_lo, exec_lo, s73
	s_and_saveexec_b32 s73, s22
	s_cbranch_execnz .LBB196_90
.LBB196_58:                             ;   in Loop: Header=BB196_35 Depth=1
	s_or_b32 exec_lo, exec_lo, s73
	s_and_saveexec_b32 s73, s23
	s_cbranch_execnz .LBB196_91
.LBB196_59:                             ;   in Loop: Header=BB196_35 Depth=1
	s_or_b32 exec_lo, exec_lo, s73
	s_and_saveexec_b32 s73, s24
	s_cbranch_execnz .LBB196_92
.LBB196_60:                             ;   in Loop: Header=BB196_35 Depth=1
	s_or_b32 exec_lo, exec_lo, s73
	s_and_saveexec_b32 s73, s25
	s_cbranch_execnz .LBB196_93
.LBB196_61:                             ;   in Loop: Header=BB196_35 Depth=1
	s_or_b32 exec_lo, exec_lo, s73
	s_and_saveexec_b32 s73, s26
	s_cbranch_execnz .LBB196_94
.LBB196_62:                             ;   in Loop: Header=BB196_35 Depth=1
	s_or_b32 exec_lo, exec_lo, s73
	s_and_saveexec_b32 s73, s27
	s_cbranch_execnz .LBB196_95
.LBB196_63:                             ;   in Loop: Header=BB196_35 Depth=1
	s_or_b32 exec_lo, exec_lo, s73
	s_and_saveexec_b32 s73, s28
	s_cbranch_execnz .LBB196_96
.LBB196_64:                             ;   in Loop: Header=BB196_35 Depth=1
	s_or_b32 exec_lo, exec_lo, s73
	s_and_saveexec_b32 s73, s29
	s_cbranch_execnz .LBB196_97
.LBB196_65:                             ;   in Loop: Header=BB196_35 Depth=1
	s_or_b32 exec_lo, exec_lo, s73
	s_and_saveexec_b32 s73, s30
	s_cbranch_execnz .LBB196_98
.LBB196_66:                             ;   in Loop: Header=BB196_35 Depth=1
	s_or_b32 exec_lo, exec_lo, s73
	s_and_saveexec_b32 s73, s31
	s_cbranch_execnz .LBB196_99
.LBB196_67:                             ;   in Loop: Header=BB196_35 Depth=1
	s_or_b32 exec_lo, exec_lo, s73
	s_and_saveexec_b32 s31, vcc_lo
	s_cbranch_execz .LBB196_34
	s_branch .LBB196_100
.LBB196_68:                             ;   in Loop: Header=BB196_35 Depth=1
	v_mov_b32_e32 v9, s37
	ds_load_b32 v9, v9
	s_waitcnt lgkmcnt(0)
	v_add_nc_u32_e32 v8, v9, v8
	s_or_b32 exec_lo, exec_lo, s73
	s_and_saveexec_b32 s73, s1
	s_cbranch_execz .LBB196_37
.LBB196_69:                             ;   in Loop: Header=BB196_35 Depth=1
	v_mov_b32_e32 v9, s38
	ds_load_b32 v9, v9
	s_waitcnt lgkmcnt(0)
	v_add_nc_u32_e32 v8, v9, v8
	s_or_b32 exec_lo, exec_lo, s73
	s_and_saveexec_b32 s73, s2
	s_cbranch_execz .LBB196_38
.LBB196_70:                             ;   in Loop: Header=BB196_35 Depth=1
	v_mov_b32_e32 v9, s39
	ds_load_b32 v9, v9
	s_waitcnt lgkmcnt(0)
	v_add_nc_u32_e32 v8, v9, v8
	s_or_b32 exec_lo, exec_lo, s73
	s_and_saveexec_b32 s73, s3
	s_cbranch_execz .LBB196_39
.LBB196_71:                             ;   in Loop: Header=BB196_35 Depth=1
	v_mov_b32_e32 v9, s40
	ds_load_b32 v9, v9
	s_waitcnt lgkmcnt(0)
	v_add_nc_u32_e32 v8, v9, v8
	s_or_b32 exec_lo, exec_lo, s73
	s_and_saveexec_b32 s73, s4
	s_cbranch_execz .LBB196_40
.LBB196_72:                             ;   in Loop: Header=BB196_35 Depth=1
	v_mov_b32_e32 v9, s41
	ds_load_b32 v9, v9
	s_waitcnt lgkmcnt(0)
	v_add_nc_u32_e32 v8, v9, v8
	s_or_b32 exec_lo, exec_lo, s73
	s_and_saveexec_b32 s73, s5
	s_cbranch_execz .LBB196_41
.LBB196_73:                             ;   in Loop: Header=BB196_35 Depth=1
	v_mov_b32_e32 v9, s44
	ds_load_b32 v9, v9
	s_waitcnt lgkmcnt(0)
	v_add_nc_u32_e32 v8, v9, v8
	s_or_b32 exec_lo, exec_lo, s73
	s_and_saveexec_b32 s73, s6
	s_cbranch_execz .LBB196_42
.LBB196_74:                             ;   in Loop: Header=BB196_35 Depth=1
	v_mov_b32_e32 v9, s45
	ds_load_b32 v9, v9
	s_waitcnt lgkmcnt(0)
	v_add_nc_u32_e32 v8, v9, v8
	s_or_b32 exec_lo, exec_lo, s73
	s_and_saveexec_b32 s73, s7
	s_cbranch_execz .LBB196_43
.LBB196_75:                             ;   in Loop: Header=BB196_35 Depth=1
	v_mov_b32_e32 v9, s47
	ds_load_b32 v9, v9
	s_waitcnt lgkmcnt(0)
	v_add_nc_u32_e32 v8, v9, v8
	s_or_b32 exec_lo, exec_lo, s73
	s_and_saveexec_b32 s73, s8
	s_cbranch_execz .LBB196_44
.LBB196_76:                             ;   in Loop: Header=BB196_35 Depth=1
	v_mov_b32_e32 v9, s49
	ds_load_b32 v9, v9
	s_waitcnt lgkmcnt(0)
	v_add_nc_u32_e32 v8, v9, v8
	s_or_b32 exec_lo, exec_lo, s73
	s_and_saveexec_b32 s73, s9
	s_cbranch_execz .LBB196_45
.LBB196_77:                             ;   in Loop: Header=BB196_35 Depth=1
	v_mov_b32_e32 v9, s50
	ds_load_b32 v9, v9
	s_waitcnt lgkmcnt(0)
	v_add_nc_u32_e32 v8, v9, v8
	s_or_b32 exec_lo, exec_lo, s73
	s_and_saveexec_b32 s73, s10
	s_cbranch_execz .LBB196_46
.LBB196_78:                             ;   in Loop: Header=BB196_35 Depth=1
	v_mov_b32_e32 v9, s51
	ds_load_b32 v9, v9
	s_waitcnt lgkmcnt(0)
	v_add_nc_u32_e32 v8, v9, v8
	s_or_b32 exec_lo, exec_lo, s73
	s_and_saveexec_b32 s73, s11
	s_cbranch_execz .LBB196_47
.LBB196_79:                             ;   in Loop: Header=BB196_35 Depth=1
	v_mov_b32_e32 v9, s52
	ds_load_b32 v9, v9
	s_waitcnt lgkmcnt(0)
	v_add_nc_u32_e32 v8, v9, v8
	s_or_b32 exec_lo, exec_lo, s73
	s_and_saveexec_b32 s73, s12
	s_cbranch_execz .LBB196_48
.LBB196_80:                             ;   in Loop: Header=BB196_35 Depth=1
	v_mov_b32_e32 v9, s53
	ds_load_b32 v9, v9
	s_waitcnt lgkmcnt(0)
	v_add_nc_u32_e32 v8, v9, v8
	s_or_b32 exec_lo, exec_lo, s73
	s_and_saveexec_b32 s73, s13
	s_cbranch_execz .LBB196_49
.LBB196_81:                             ;   in Loop: Header=BB196_35 Depth=1
	v_mov_b32_e32 v9, s54
	ds_load_b32 v9, v9
	s_waitcnt lgkmcnt(0)
	v_add_nc_u32_e32 v8, v9, v8
	s_or_b32 exec_lo, exec_lo, s73
	s_and_saveexec_b32 s73, s14
	s_cbranch_execz .LBB196_50
.LBB196_82:                             ;   in Loop: Header=BB196_35 Depth=1
	v_mov_b32_e32 v9, s55
	ds_load_b32 v9, v9
	s_waitcnt lgkmcnt(0)
	v_add_nc_u32_e32 v8, v9, v8
	s_or_b32 exec_lo, exec_lo, s73
	s_and_saveexec_b32 s73, s15
	s_cbranch_execz .LBB196_51
.LBB196_83:                             ;   in Loop: Header=BB196_35 Depth=1
	v_mov_b32_e32 v9, s56
	ds_load_b32 v9, v9
	s_waitcnt lgkmcnt(0)
	v_add_nc_u32_e32 v8, v9, v8
	s_or_b32 exec_lo, exec_lo, s73
	s_and_saveexec_b32 s73, s16
	s_cbranch_execz .LBB196_52
.LBB196_84:                             ;   in Loop: Header=BB196_35 Depth=1
	v_mov_b32_e32 v9, s57
	ds_load_b32 v9, v9
	s_waitcnt lgkmcnt(0)
	v_add_nc_u32_e32 v8, v9, v8
	s_or_b32 exec_lo, exec_lo, s73
	s_and_saveexec_b32 s73, s17
	s_cbranch_execz .LBB196_53
.LBB196_85:                             ;   in Loop: Header=BB196_35 Depth=1
	v_mov_b32_e32 v9, s58
	ds_load_b32 v9, v9
	s_waitcnt lgkmcnt(0)
	v_add_nc_u32_e32 v8, v9, v8
	s_or_b32 exec_lo, exec_lo, s73
	s_and_saveexec_b32 s73, s18
	s_cbranch_execz .LBB196_54
.LBB196_86:                             ;   in Loop: Header=BB196_35 Depth=1
	v_mov_b32_e32 v9, s59
	ds_load_b32 v9, v9
	s_waitcnt lgkmcnt(0)
	v_add_nc_u32_e32 v8, v9, v8
	s_or_b32 exec_lo, exec_lo, s73
	s_and_saveexec_b32 s73, s19
	s_cbranch_execz .LBB196_55
.LBB196_87:                             ;   in Loop: Header=BB196_35 Depth=1
	v_mov_b32_e32 v9, s60
	ds_load_b32 v9, v9
	s_waitcnt lgkmcnt(0)
	v_add_nc_u32_e32 v8, v9, v8
	s_or_b32 exec_lo, exec_lo, s73
	s_and_saveexec_b32 s73, s20
	s_cbranch_execz .LBB196_56
.LBB196_88:                             ;   in Loop: Header=BB196_35 Depth=1
	v_mov_b32_e32 v9, s61
	ds_load_b32 v9, v9
	s_waitcnt lgkmcnt(0)
	v_add_nc_u32_e32 v8, v9, v8
	s_or_b32 exec_lo, exec_lo, s73
	s_and_saveexec_b32 s73, s21
	s_cbranch_execz .LBB196_57
.LBB196_89:                             ;   in Loop: Header=BB196_35 Depth=1
	v_mov_b32_e32 v9, s62
	ds_load_b32 v9, v9
	s_waitcnt lgkmcnt(0)
	v_add_nc_u32_e32 v8, v9, v8
	s_or_b32 exec_lo, exec_lo, s73
	s_and_saveexec_b32 s73, s22
	s_cbranch_execz .LBB196_58
.LBB196_90:                             ;   in Loop: Header=BB196_35 Depth=1
	v_mov_b32_e32 v9, s63
	ds_load_b32 v9, v9
	s_waitcnt lgkmcnt(0)
	v_add_nc_u32_e32 v8, v9, v8
	s_or_b32 exec_lo, exec_lo, s73
	s_and_saveexec_b32 s73, s23
	s_cbranch_execz .LBB196_59
.LBB196_91:                             ;   in Loop: Header=BB196_35 Depth=1
	v_mov_b32_e32 v9, s64
	ds_load_b32 v9, v9
	s_waitcnt lgkmcnt(0)
	v_add_nc_u32_e32 v8, v9, v8
	s_or_b32 exec_lo, exec_lo, s73
	s_and_saveexec_b32 s73, s24
	s_cbranch_execz .LBB196_60
.LBB196_92:                             ;   in Loop: Header=BB196_35 Depth=1
	v_mov_b32_e32 v9, s65
	ds_load_b32 v9, v9
	s_waitcnt lgkmcnt(0)
	v_add_nc_u32_e32 v8, v9, v8
	s_or_b32 exec_lo, exec_lo, s73
	s_and_saveexec_b32 s73, s25
	s_cbranch_execz .LBB196_61
.LBB196_93:                             ;   in Loop: Header=BB196_35 Depth=1
	v_mov_b32_e32 v9, s66
	ds_load_b32 v9, v9
	s_waitcnt lgkmcnt(0)
	v_add_nc_u32_e32 v8, v9, v8
	s_or_b32 exec_lo, exec_lo, s73
	s_and_saveexec_b32 s73, s26
	s_cbranch_execz .LBB196_62
.LBB196_94:                             ;   in Loop: Header=BB196_35 Depth=1
	v_mov_b32_e32 v9, s67
	ds_load_b32 v9, v9
	s_waitcnt lgkmcnt(0)
	v_add_nc_u32_e32 v8, v9, v8
	s_or_b32 exec_lo, exec_lo, s73
	s_and_saveexec_b32 s73, s27
	s_cbranch_execz .LBB196_63
.LBB196_95:                             ;   in Loop: Header=BB196_35 Depth=1
	v_mov_b32_e32 v9, s69
	ds_load_b32 v9, v9
	s_waitcnt lgkmcnt(0)
	v_add_nc_u32_e32 v8, v9, v8
	s_or_b32 exec_lo, exec_lo, s73
	s_and_saveexec_b32 s73, s28
	s_cbranch_execz .LBB196_64
.LBB196_96:                             ;   in Loop: Header=BB196_35 Depth=1
	v_mov_b32_e32 v9, s70
	ds_load_b32 v9, v9
	s_waitcnt lgkmcnt(0)
	v_add_nc_u32_e32 v8, v9, v8
	s_or_b32 exec_lo, exec_lo, s73
	s_and_saveexec_b32 s73, s29
	s_cbranch_execz .LBB196_65
.LBB196_97:                             ;   in Loop: Header=BB196_35 Depth=1
	v_mov_b32_e32 v9, s71
	ds_load_b32 v9, v9
	s_waitcnt lgkmcnt(0)
	v_add_nc_u32_e32 v8, v9, v8
	s_or_b32 exec_lo, exec_lo, s73
	s_and_saveexec_b32 s73, s30
	s_cbranch_execz .LBB196_66
.LBB196_98:                             ;   in Loop: Header=BB196_35 Depth=1
	v_mov_b32_e32 v9, s72
	ds_load_b32 v9, v9
	s_waitcnt lgkmcnt(0)
	v_add_nc_u32_e32 v8, v9, v8
	s_or_b32 exec_lo, exec_lo, s73
	s_and_saveexec_b32 s73, s31
	s_cbranch_execz .LBB196_67
.LBB196_99:                             ;   in Loop: Header=BB196_35 Depth=1
	s_delay_alu instid0(VALU_DEP_1) | instskip(NEXT) | instid1(VALU_DEP_1)
	v_add3_u32 v9, v5, -1, v8
	v_lshlrev_b32_e32 v10, 3, v9
	v_lshl_add_u32 v9, v9, 2, 0
	s_delay_alu instid0(VALU_DEP_2)
	v_add3_u32 v10, 0, v10, 0x20000
	ds_store_b32 v9, v7
	ds_store_b64 v10, v[2:3]
	s_or_b32 exec_lo, exec_lo, s73
	s_and_saveexec_b32 s31, vcc_lo
	s_cbranch_execz .LBB196_34
.LBB196_100:                            ;   in Loop: Header=BB196_35 Depth=1
	v_mov_b32_e32 v2, s68
	ds_store_b32 v2, v8
	s_branch .LBB196_34
.LBB196_101:                            ;   in Loop: Header=BB196_102 Depth=1
	s_or_b32 exec_lo, exec_lo, s4
	v_add_co_u32 v3, vcc_lo, 0x400, v3
	v_add_co_ci_u32_e32 v4, vcc_lo, 0, v4, vcc_lo
	s_delay_alu instid0(VALU_DEP_1) | instskip(SKIP_1) | instid1(SALU_CYCLE_1)
	v_cmp_le_i64_e32 vcc_lo, s[0:1], v[3:4]
	s_or_b32 s3, vcc_lo, s3
	s_and_not1_b32 exec_lo, exec_lo, s3
	s_cbranch_execz .LBB196_32
.LBB196_102:                            ; =>This Loop Header: Depth=1
                                        ;     Child Loop BB196_104 Depth 2
                                        ;       Child Loop BB196_110 Depth 3
                                        ;       Child Loop BB196_116 Depth 3
	v_lshlrev_b64 v[5:6], 3, v[3:4]
	v_lshlrev_b64 v[7:8], 2, v[3:4]
	s_mov_b32 s4, 0
	s_delay_alu instid0(VALU_DEP_2) | instskip(NEXT) | instid1(VALU_DEP_3)
	v_add_co_u32 v5, vcc_lo, s40, v5
	v_add_co_ci_u32_e32 v6, vcc_lo, s41, v6, vcc_lo
	s_delay_alu instid0(VALU_DEP_3) | instskip(NEXT) | instid1(VALU_DEP_4)
	v_add_co_u32 v7, vcc_lo, s38, v7
	v_add_co_ci_u32_e32 v8, vcc_lo, s39, v8, vcc_lo
	global_load_b64 v[5:6], v[5:6], off
	global_load_b32 v7, v[7:8], off
	s_waitcnt vmcnt(1)
	v_mul_f64 v[5:6], v[1:2], v[5:6]
	s_waitcnt vmcnt(0)
	v_subrev_nc_u32_e32 v9, s47, v7
	s_delay_alu instid0(VALU_DEP_1) | instskip(NEXT) | instid1(VALU_DEP_1)
	v_mul_lo_u32 v7, 0x89, v9
	v_and_b32_e32 v10, 0x7fff, v7
	s_branch .LBB196_104
.LBB196_103:                            ;   in Loop: Header=BB196_104 Depth=2
	s_or_b32 exec_lo, exec_lo, s5
	s_xor_b32 s5, s6, -1
	s_delay_alu instid0(SALU_CYCLE_1) | instskip(NEXT) | instid1(SALU_CYCLE_1)
	s_and_b32 s5, exec_lo, s5
	s_or_b32 s4, s5, s4
	s_delay_alu instid0(SALU_CYCLE_1)
	s_and_not1_b32 exec_lo, exec_lo, s4
	s_cbranch_execz .LBB196_101
.LBB196_104:                            ;   Parent Loop BB196_102 Depth=1
                                        ; =>  This Loop Header: Depth=2
                                        ;       Child Loop BB196_110 Depth 3
                                        ;       Child Loop BB196_116 Depth 3
	s_delay_alu instid0(VALU_DEP_1)
	v_lshl_add_u32 v7, v10, 2, 0
	s_mov_b32 s5, exec_lo
                                        ; implicit-def: $sgpr6
	ds_load_b32 v8, v7
	s_waitcnt lgkmcnt(0)
	v_cmpx_ne_u32_e64 v8, v9
	s_xor_b32 s5, exec_lo, s5
	s_cbranch_execz .LBB196_114
; %bb.105:                              ;   in Loop: Header=BB196_104 Depth=2
	s_mov_b32 s7, exec_lo
                                        ; implicit-def: $sgpr6
	v_cmpx_ne_u32_e64 s33, v8
	s_xor_b32 s7, exec_lo, s7
; %bb.106:                              ;   in Loop: Header=BB196_104 Depth=2
	v_add_nc_u32_e32 v7, 1, v10
	s_mov_b32 s6, -1
	s_delay_alu instid0(VALU_DEP_1)
	v_and_b32_e32 v10, 0x7fff, v7
                                        ; implicit-def: $vgpr7
; %bb.107:                              ;   in Loop: Header=BB196_104 Depth=2
	s_and_not1_saveexec_b32 s7, s7
	s_cbranch_execz .LBB196_113
; %bb.108:                              ;   in Loop: Header=BB196_104 Depth=2
	v_mov_b32_e32 v8, s33
	s_mov_b32 s9, -1
	s_mov_b32 s8, exec_lo
	ds_cmpstore_rtn_b32 v7, v7, v9, v8
	s_waitcnt lgkmcnt(0)
	v_cmpx_eq_u32_e64 s33, v7
	s_cbranch_execz .LBB196_112
; %bb.109:                              ;   in Loop: Header=BB196_104 Depth=2
	v_lshlrev_b32_e32 v7, 3, v10
	s_mov_b32 s9, 0
	s_delay_alu instid0(VALU_DEP_1)
	v_add3_u32 v11, 0, v7, 0x20000
	ds_load_b64 v[7:8], v11
.LBB196_110:                            ;   Parent Loop BB196_102 Depth=1
                                        ;     Parent Loop BB196_104 Depth=2
                                        ; =>    This Inner Loop Header: Depth=3
	s_waitcnt lgkmcnt(0)
	v_add_f64 v[12:13], v[7:8], v[5:6]
	ds_cmpstore_rtn_b64 v[12:13], v11, v[12:13], v[7:8]
	s_waitcnt lgkmcnt(0)
	v_cmp_eq_u64_e32 vcc_lo, v[12:13], v[7:8]
	v_dual_mov_b32 v7, v12 :: v_dual_mov_b32 v8, v13
	s_or_b32 s9, vcc_lo, s9
	s_delay_alu instid0(SALU_CYCLE_1)
	s_and_not1_b32 exec_lo, exec_lo, s9
	s_cbranch_execnz .LBB196_110
; %bb.111:                              ;   in Loop: Header=BB196_104 Depth=2
	s_or_b32 exec_lo, exec_lo, s9
	s_delay_alu instid0(SALU_CYCLE_1)
	s_xor_b32 s9, exec_lo, -1
.LBB196_112:                            ;   in Loop: Header=BB196_104 Depth=2
	s_or_b32 exec_lo, exec_lo, s8
	s_delay_alu instid0(SALU_CYCLE_1) | instskip(SKIP_1) | instid1(SALU_CYCLE_1)
	s_and_not1_b32 s6, s6, exec_lo
	s_and_b32 s8, s9, exec_lo
	s_or_b32 s6, s6, s8
.LBB196_113:                            ;   in Loop: Header=BB196_104 Depth=2
	s_or_b32 exec_lo, exec_lo, s7
	s_delay_alu instid0(SALU_CYCLE_1)
	s_and_b32 s6, s6, exec_lo
.LBB196_114:                            ;   in Loop: Header=BB196_104 Depth=2
	s_and_not1_saveexec_b32 s5, s5
	s_cbranch_execz .LBB196_103
; %bb.115:                              ;   in Loop: Header=BB196_104 Depth=2
	v_lshlrev_b32_e32 v7, 3, v10
	s_mov_b32 s7, 0
	s_delay_alu instid0(VALU_DEP_1)
	v_add3_u32 v11, 0, v7, 0x20000
	ds_load_b64 v[7:8], v11
.LBB196_116:                            ;   Parent Loop BB196_102 Depth=1
                                        ;     Parent Loop BB196_104 Depth=2
                                        ; =>    This Inner Loop Header: Depth=3
	s_waitcnt lgkmcnt(0)
	v_add_f64 v[12:13], v[7:8], v[5:6]
	ds_cmpstore_rtn_b64 v[12:13], v11, v[12:13], v[7:8]
	s_waitcnt lgkmcnt(0)
	v_cmp_eq_u64_e32 vcc_lo, v[12:13], v[7:8]
	v_dual_mov_b32 v7, v12 :: v_dual_mov_b32 v8, v13
	s_or_b32 s7, vcc_lo, s7
	s_delay_alu instid0(SALU_CYCLE_1)
	s_and_not1_b32 exec_lo, exec_lo, s7
	s_cbranch_execnz .LBB196_116
; %bb.117:                              ;   in Loop: Header=BB196_104 Depth=2
	s_or_b32 exec_lo, exec_lo, s7
	s_delay_alu instid0(SALU_CYCLE_1)
	s_and_not1_b32 s6, s6, exec_lo
	s_branch .LBB196_103
.LBB196_118:
	s_or_b32 exec_lo, exec_lo, s36
	s_ashr_i32 s49, s48, 31
	s_mov_b32 s4, exec_lo
	s_lshl_b64 s[0:1], s[48:49], 3
	s_delay_alu instid0(SALU_CYCLE_1) | instskip(SKIP_4) | instid1(SALU_CYCLE_1)
	s_add_u32 s0, s42, s0
	s_addc_u32 s1, s43, s1
	s_load_b128 s[0:3], s[0:1], 0x0
	s_waitcnt lgkmcnt(0)
	s_sub_i32 s3, s2, s0
	v_cmpx_gt_i32_e64 s3, v0
	s_cbranch_execz .LBB196_128
; %bb.119:
	s_sub_u32 s4, s0, s46
	s_subb_u32 s5, s1, 0
	s_sub_i32 s0, s0, s2
	s_and_b32 s1, s3, 7
	s_cmp_lt_u32 s0, -7
	s_mov_b32 s8, 0
	s_cselect_b32 s2, -1, 0
	s_and_b32 s6, s3, -8
	s_cmp_lg_u32 s1, 0
	s_cselect_b32 s7, -1, 0
	s_branch .LBB196_121
.LBB196_120:                            ;   in Loop: Header=BB196_121 Depth=1
	s_delay_alu instid0(VALU_DEP_1) | instskip(SKIP_1) | instid1(VALU_DEP_1)
	v_lshlrev_b64 v[3:4], 3, v[3:4]
	v_add_nc_u32_e32 v0, 0x400, v0
	v_cmp_le_i32_e32 vcc_lo, s3, v0
	s_delay_alu instid0(VALU_DEP_3) | instskip(NEXT) | instid1(VALU_DEP_1)
	v_add_co_u32 v3, s0, s34, v3
	v_add_co_ci_u32_e64 v4, s0, s35, v4, s0
	s_or_b32 s8, vcc_lo, s8
	s_waitcnt lgkmcnt(0)
	global_store_b64 v[3:4], v[1:2], off
	s_and_not1_b32 exec_lo, exec_lo, s8
	s_cbranch_execz .LBB196_128
.LBB196_121:                            ; =>This Loop Header: Depth=1
                                        ;     Child Loop BB196_123 Depth 2
                                        ;     Child Loop BB196_127 Depth 2
	v_lshlrev_b32_e32 v1, 3, v0
	v_lshl_add_u32 v2, v0, 2, 0
	v_dual_mov_b32 v3, s4 :: v_dual_mov_b32 v4, s5
	s_and_not1_b32 vcc_lo, exec_lo, s2
	s_delay_alu instid0(VALU_DEP_3)
	v_add3_u32 v1, 0, v1, 0x20000
	s_mov_b32 s0, 0
	ds_load_b32 v5, v2
	ds_load_b64 v[1:2], v1
	s_cbranch_vccnz .LBB196_125
; %bb.122:                              ;   in Loop: Header=BB196_121 Depth=1
	v_dual_mov_b32 v3, s4 :: v_dual_mov_b32 v4, s5
	s_mov_b32 s9, 0
	s_mov_b32 s10, 0
.LBB196_123:                            ;   Parent Loop BB196_121 Depth=1
                                        ; =>  This Inner Loop Header: Depth=2
	s_delay_alu instid0(SALU_CYCLE_1)
	v_mov_b32_e32 v12, s10
	s_add_i32 s9, s9, 8
	s_add_i32 s10, s10, 32
	s_cmp_eq_u32 s6, s9
	ds_load_2addr_b32 v[6:7], v12 offset1:1
	ds_load_2addr_b32 v[8:9], v12 offset0:2 offset1:3
	ds_load_2addr_b32 v[10:11], v12 offset0:4 offset1:5
	;; [unrolled: 1-line block ×3, first 2 shown]
	s_waitcnt lgkmcnt(3)
	v_cmp_gt_i32_e32 vcc_lo, v5, v6
	v_cndmask_b32_e64 v6, 0, 1, vcc_lo
	v_cmp_gt_i32_e32 vcc_lo, v5, v7
	v_cndmask_b32_e64 v7, 0, 1, vcc_lo
	s_waitcnt lgkmcnt(2)
	v_cmp_gt_i32_e32 vcc_lo, v5, v8
	v_cndmask_b32_e64 v8, 0, 1, vcc_lo
	v_cmp_gt_i32_e32 vcc_lo, v5, v9
	v_cndmask_b32_e64 v9, 0, 1, vcc_lo
	s_waitcnt lgkmcnt(1)
	v_cmp_gt_i32_e32 vcc_lo, v5, v10
	v_cndmask_b32_e64 v10, 0, 1, vcc_lo
	v_add_co_u32 v3, vcc_lo, v3, v6
	v_add_co_ci_u32_e32 v4, vcc_lo, 0, v4, vcc_lo
	v_cmp_gt_i32_e32 vcc_lo, v5, v11
	s_delay_alu instid0(VALU_DEP_3) | instskip(NEXT) | instid1(VALU_DEP_1)
	v_add_co_u32 v3, s0, v3, v7
	v_add_co_ci_u32_e64 v4, s0, 0, v4, s0
	v_cndmask_b32_e64 v6, 0, 1, vcc_lo
	s_delay_alu instid0(VALU_DEP_3) | instskip(NEXT) | instid1(VALU_DEP_3)
	v_add_co_u32 v3, vcc_lo, v3, v8
	v_add_co_ci_u32_e32 v4, vcc_lo, 0, v4, vcc_lo
	s_waitcnt lgkmcnt(0)
	v_cmp_gt_i32_e32 vcc_lo, v5, v12
	s_delay_alu instid0(VALU_DEP_3) | instskip(NEXT) | instid1(VALU_DEP_1)
	v_add_co_u32 v3, s0, v3, v9
	v_add_co_ci_u32_e64 v4, s0, 0, v4, s0
	v_cndmask_b32_e64 v7, 0, 1, vcc_lo
	s_delay_alu instid0(VALU_DEP_3) | instskip(NEXT) | instid1(VALU_DEP_3)
	v_add_co_u32 v3, vcc_lo, v3, v10
	v_add_co_ci_u32_e32 v4, vcc_lo, 0, v4, vcc_lo
	v_cmp_gt_i32_e32 vcc_lo, v5, v13
	s_delay_alu instid0(VALU_DEP_3) | instskip(NEXT) | instid1(VALU_DEP_1)
	v_add_co_u32 v3, s0, v3, v6
	v_add_co_ci_u32_e64 v4, s0, 0, v4, s0
	v_cndmask_b32_e64 v6, 0, 1, vcc_lo
	s_delay_alu instid0(VALU_DEP_3) | instskip(NEXT) | instid1(VALU_DEP_3)
	v_add_co_u32 v3, vcc_lo, v3, v7
	v_add_co_ci_u32_e32 v4, vcc_lo, 0, v4, vcc_lo
	s_delay_alu instid0(VALU_DEP_2) | instskip(NEXT) | instid1(VALU_DEP_2)
	v_add_co_u32 v3, vcc_lo, v3, v6
	v_add_co_ci_u32_e32 v4, vcc_lo, 0, v4, vcc_lo
	s_cbranch_scc0 .LBB196_123
; %bb.124:                              ;   in Loop: Header=BB196_121 Depth=1
	s_mov_b32 s0, s6
.LBB196_125:                            ;   in Loop: Header=BB196_121 Depth=1
	s_and_not1_b32 vcc_lo, exec_lo, s7
	s_cbranch_vccnz .LBB196_120
; %bb.126:                              ;   in Loop: Header=BB196_121 Depth=1
	s_lshl_b32 s0, s0, 2
	s_mov_b32 s9, s1
	s_add_i32 s0, s0, 0
.LBB196_127:                            ;   Parent Loop BB196_121 Depth=1
                                        ; =>  This Inner Loop Header: Depth=2
	s_delay_alu instid0(SALU_CYCLE_1)
	v_mov_b32_e32 v6, s0
	s_add_i32 s9, s9, -1
	s_add_i32 s0, s0, 4
	s_cmp_lg_u32 s9, 0
	ds_load_b32 v6, v6
	s_waitcnt lgkmcnt(0)
	v_cmp_gt_i32_e32 vcc_lo, v5, v6
	v_cndmask_b32_e64 v6, 0, 1, vcc_lo
	s_delay_alu instid0(VALU_DEP_1)
	v_add_co_u32 v3, vcc_lo, v3, v6
	v_add_co_ci_u32_e32 v4, vcc_lo, 0, v4, vcc_lo
	s_cbranch_scc1 .LBB196_127
	s_branch .LBB196_120
.LBB196_128:
	s_nop 0
	s_sendmsg sendmsg(MSG_DEALLOC_VGPRS)
	s_endpgm
	.section	.rodata,"a",@progbits
	.p2align	6, 0x0
	.amdhsa_kernel _ZN9rocsparseL41csrgemm_numeric_fill_block_per_row_kernelILj1024ELj64ELj32768ELj137ELj32ElidEEvT5_PKS1_S3_NS_24const_host_device_scalarIT6_EEPKT4_S3_PKS5_S9_S3_SB_S6_S9_S3_SB_S9_S3_PS5_21rocsparse_index_base_SD_SD_SD_bbb
		.amdhsa_group_segment_fixed_size 0
		.amdhsa_private_segment_fixed_size 0
		.amdhsa_kernarg_size 156
		.amdhsa_user_sgpr_count 15
		.amdhsa_user_sgpr_dispatch_ptr 0
		.amdhsa_user_sgpr_queue_ptr 0
		.amdhsa_user_sgpr_kernarg_segment_ptr 1
		.amdhsa_user_sgpr_dispatch_id 0
		.amdhsa_user_sgpr_private_segment_size 0
		.amdhsa_wavefront_size32 1
		.amdhsa_uses_dynamic_stack 0
		.amdhsa_enable_private_segment 0
		.amdhsa_system_sgpr_workgroup_id_x 1
		.amdhsa_system_sgpr_workgroup_id_y 0
		.amdhsa_system_sgpr_workgroup_id_z 0
		.amdhsa_system_sgpr_workgroup_info 0
		.amdhsa_system_vgpr_workitem_id 0
		.amdhsa_next_free_vgpr 27
		.amdhsa_next_free_sgpr 74
		.amdhsa_reserve_vcc 1
		.amdhsa_float_round_mode_32 0
		.amdhsa_float_round_mode_16_64 0
		.amdhsa_float_denorm_mode_32 3
		.amdhsa_float_denorm_mode_16_64 3
		.amdhsa_dx10_clamp 1
		.amdhsa_ieee_mode 1
		.amdhsa_fp16_overflow 0
		.amdhsa_workgroup_processor_mode 1
		.amdhsa_memory_ordered 1
		.amdhsa_forward_progress 0
		.amdhsa_shared_vgpr_count 0
		.amdhsa_exception_fp_ieee_invalid_op 0
		.amdhsa_exception_fp_denorm_src 0
		.amdhsa_exception_fp_ieee_div_zero 0
		.amdhsa_exception_fp_ieee_overflow 0
		.amdhsa_exception_fp_ieee_underflow 0
		.amdhsa_exception_fp_ieee_inexact 0
		.amdhsa_exception_int_div_zero 0
	.end_amdhsa_kernel
	.section	.text._ZN9rocsparseL41csrgemm_numeric_fill_block_per_row_kernelILj1024ELj64ELj32768ELj137ELj32ElidEEvT5_PKS1_S3_NS_24const_host_device_scalarIT6_EEPKT4_S3_PKS5_S9_S3_SB_S6_S9_S3_SB_S9_S3_PS5_21rocsparse_index_base_SD_SD_SD_bbb,"axG",@progbits,_ZN9rocsparseL41csrgemm_numeric_fill_block_per_row_kernelILj1024ELj64ELj32768ELj137ELj32ElidEEvT5_PKS1_S3_NS_24const_host_device_scalarIT6_EEPKT4_S3_PKS5_S9_S3_SB_S6_S9_S3_SB_S9_S3_PS5_21rocsparse_index_base_SD_SD_SD_bbb,comdat
.Lfunc_end196:
	.size	_ZN9rocsparseL41csrgemm_numeric_fill_block_per_row_kernelILj1024ELj64ELj32768ELj137ELj32ElidEEvT5_PKS1_S3_NS_24const_host_device_scalarIT6_EEPKT4_S3_PKS5_S9_S3_SB_S6_S9_S3_SB_S9_S3_PS5_21rocsparse_index_base_SD_SD_SD_bbb, .Lfunc_end196-_ZN9rocsparseL41csrgemm_numeric_fill_block_per_row_kernelILj1024ELj64ELj32768ELj137ELj32ElidEEvT5_PKS1_S3_NS_24const_host_device_scalarIT6_EEPKT4_S3_PKS5_S9_S3_SB_S6_S9_S3_SB_S9_S3_PS5_21rocsparse_index_base_SD_SD_SD_bbb
                                        ; -- End function
	.section	.AMDGPU.csdata,"",@progbits
; Kernel info:
; codeLenInByte = 5020
; NumSgprs: 76
; NumVgprs: 27
; ScratchSize: 0
; MemoryBound: 0
; FloatMode: 240
; IeeeMode: 1
; LDSByteSize: 0 bytes/workgroup (compile time only)
; SGPRBlocks: 9
; VGPRBlocks: 3
; NumSGPRsForWavesPerEU: 76
; NumVGPRsForWavesPerEU: 27
; Occupancy: 16
; WaveLimiterHint : 1
; COMPUTE_PGM_RSRC2:SCRATCH_EN: 0
; COMPUTE_PGM_RSRC2:USER_SGPR: 15
; COMPUTE_PGM_RSRC2:TRAP_HANDLER: 0
; COMPUTE_PGM_RSRC2:TGID_X_EN: 1
; COMPUTE_PGM_RSRC2:TGID_Y_EN: 0
; COMPUTE_PGM_RSRC2:TGID_Z_EN: 0
; COMPUTE_PGM_RSRC2:TIDIG_COMP_CNT: 0
	.section	.text._ZN9rocsparseL41csrgemm_numeric_fill_block_per_row_kernelILj1024ELj64ELj32768ELj137ELj64ElidEEvT5_PKS1_S3_NS_24const_host_device_scalarIT6_EEPKT4_S3_PKS5_S9_S3_SB_S6_S9_S3_SB_S9_S3_PS5_21rocsparse_index_base_SD_SD_SD_bbb,"axG",@progbits,_ZN9rocsparseL41csrgemm_numeric_fill_block_per_row_kernelILj1024ELj64ELj32768ELj137ELj64ElidEEvT5_PKS1_S3_NS_24const_host_device_scalarIT6_EEPKT4_S3_PKS5_S9_S3_SB_S6_S9_S3_SB_S9_S3_PS5_21rocsparse_index_base_SD_SD_SD_bbb,comdat
	.globl	_ZN9rocsparseL41csrgemm_numeric_fill_block_per_row_kernelILj1024ELj64ELj32768ELj137ELj64ElidEEvT5_PKS1_S3_NS_24const_host_device_scalarIT6_EEPKT4_S3_PKS5_S9_S3_SB_S6_S9_S3_SB_S9_S3_PS5_21rocsparse_index_base_SD_SD_SD_bbb ; -- Begin function _ZN9rocsparseL41csrgemm_numeric_fill_block_per_row_kernelILj1024ELj64ELj32768ELj137ELj64ElidEEvT5_PKS1_S3_NS_24const_host_device_scalarIT6_EEPKT4_S3_PKS5_S9_S3_SB_S6_S9_S3_SB_S9_S3_PS5_21rocsparse_index_base_SD_SD_SD_bbb
	.p2align	8
	.type	_ZN9rocsparseL41csrgemm_numeric_fill_block_per_row_kernelILj1024ELj64ELj32768ELj137ELj64ElidEEvT5_PKS1_S3_NS_24const_host_device_scalarIT6_EEPKT4_S3_PKS5_S9_S3_SB_S6_S9_S3_SB_S9_S3_PS5_21rocsparse_index_base_SD_SD_SD_bbb,@function
_ZN9rocsparseL41csrgemm_numeric_fill_block_per_row_kernelILj1024ELj64ELj32768ELj137ELj64ElidEEvT5_PKS1_S3_NS_24const_host_device_scalarIT6_EEPKT4_S3_PKS5_S9_S3_SB_S6_S9_S3_SB_S9_S3_PS5_21rocsparse_index_base_SD_SD_SD_bbb: ; @_ZN9rocsparseL41csrgemm_numeric_fill_block_per_row_kernelILj1024ELj64ELj32768ELj137ELj64ElidEEvT5_PKS1_S3_NS_24const_host_device_scalarIT6_EEPKT4_S3_PKS5_S9_S3_SB_S6_S9_S3_SB_S9_S3_PS5_21rocsparse_index_base_SD_SD_SD_bbb
; %bb.0:
	s_clause 0x3
	s_load_b32 s12, s[0:1], 0x98
	s_load_b64 s[4:5], s[0:1], 0x18
	s_load_b128 s[24:27], s[0:1], 0x88
	s_load_b64 s[2:3], s[0:1], 0x50
	s_waitcnt lgkmcnt(0)
	s_and_b32 s6, 1, s12
	s_bitcmp1_b32 s12, 16
	s_cselect_b32 s14, -1, 0
	s_cmp_eq_u32 s6, 1
	s_cselect_b32 s13, -1, 0
	s_delay_alu instid0(SALU_CYCLE_1)
	s_and_b32 s6, s13, exec_lo
	s_cselect_b32 s7, s5, 0
	s_cselect_b32 s6, s4, 0
	s_xor_b32 s8, s13, -1
	v_dual_mov_b32 v3, s6 :: v_dual_mov_b32 v4, s7
	s_or_b32 s8, s8, s14
	s_delay_alu instid0(SALU_CYCLE_1)
	s_and_b32 vcc_lo, exec_lo, s8
	s_cbranch_vccnz .LBB197_2
; %bb.1:
	v_dual_mov_b32 v1, s4 :: v_dual_mov_b32 v2, s5
	flat_load_b64 v[3:4], v[1:2]
.LBB197_2:
	s_clause 0x4
	s_load_b64 s[34:35], s[0:1], 0x80
	s_load_b256 s[16:23], s[0:1], 0x58
	s_load_b128 s[28:31], s[0:1], 0x40
	s_load_b128 s[36:39], s[0:1], 0x8
	s_load_b256 s[4:11], s[0:1], 0x20
	s_bitcmp1_b32 s12, 8
	s_cselect_b32 s12, -1, 0
	s_delay_alu instid0(SALU_CYCLE_1)
	s_and_b32 s33, s12, exec_lo
	s_cselect_b32 s41, s3, 0
	s_cselect_b32 s40, s2, 0
	s_xor_b32 s33, s12, -1
	v_dual_mov_b32 v1, s40 :: v_dual_mov_b32 v2, s41
	s_or_b32 s14, s33, s14
	s_delay_alu instid0(SALU_CYCLE_1)
	s_and_b32 vcc_lo, exec_lo, s14
	s_cbranch_vccnz .LBB197_4
; %bb.3:
	v_dual_mov_b32 v1, s2 :: v_dual_mov_b32 v2, s3
	flat_load_b64 v[1:2], v[1:2]
.LBB197_4:
	s_load_b32 s33, s[0:1], 0x0
	v_dual_mov_b32 v5, 0 :: v_dual_lshlrev_b32 v6, 3, v0
	v_lshl_add_u32 v17, v0, 2, 0
	v_or_b32_e32 v19, 0xfffffc00, v0
	s_mov_b32 s0, 0
	s_delay_alu instid0(VALU_DEP_3) | instskip(SKIP_1) | instid1(VALU_DEP_3)
	v_add3_u32 v18, v6, 0, 0x20000
	v_mov_b32_e32 v6, v5
	v_dual_mov_b32 v7, v17 :: v_dual_mov_b32 v10, v19
	s_waitcnt lgkmcnt(0)
	s_delay_alu instid0(VALU_DEP_3)
	v_dual_mov_b32 v8, v18 :: v_dual_mov_b32 v9, s33
.LBB197_5:                              ; =>This Inner Loop Header: Depth=1
	s_delay_alu instid0(VALU_DEP_2)
	v_add_nc_u32_e32 v10, 0x400, v10
	ds_store_b32 v7, v9
	ds_store_b64 v8, v[5:6]
	v_add_nc_u32_e32 v8, 0x2000, v8
	v_add_nc_u32_e32 v7, 0x1000, v7
	v_cmp_lt_u32_e32 vcc_lo, 0x7bff, v10
	s_or_b32 s0, vcc_lo, s0
	s_delay_alu instid0(SALU_CYCLE_1)
	s_and_not1_b32 exec_lo, exec_lo, s0
	s_cbranch_execnz .LBB197_5
; %bb.6:
	s_or_b32 exec_lo, exec_lo, s0
	s_waitcnt vmcnt(0) lgkmcnt(0)
	s_barrier
	buffer_gl0_inv
	s_load_b32 s0, s[36:37], 0x0
	s_mov_b32 s1, 0
	v_lshrrev_b32_e32 v20, 6, v0
	s_waitcnt lgkmcnt(0)
	s_add_i32 s0, s0, s15
	s_delay_alu instid0(SALU_CYCLE_1) | instskip(NEXT) | instid1(SALU_CYCLE_1)
	s_lshl_b64 s[0:1], s[0:1], 2
	s_add_u32 s0, s38, s0
	s_addc_u32 s1, s39, s1
	s_and_b32 vcc_lo, exec_lo, s13
	s_load_b32 s36, s[0:1], 0x0
	s_cbranch_vccz .LBB197_30
; %bb.7:
	s_waitcnt lgkmcnt(0)
	s_ashr_i32 s37, s36, 31
	s_delay_alu instid0(SALU_CYCLE_1) | instskip(NEXT) | instid1(SALU_CYCLE_1)
	s_lshl_b64 s[0:1], s[36:37], 3
	s_add_u32 s0, s4, s0
	s_addc_u32 s1, s5, s1
	v_sub_co_u32 v5, s4, v20, s24
	s_load_b128 s[0:3], s[0:1], 0x0
	v_sub_co_ci_u32_e64 v6, null, 0, 0, s4
	s_waitcnt lgkmcnt(0)
	s_delay_alu instid0(VALU_DEP_2) | instskip(NEXT) | instid1(VALU_DEP_2)
	v_add_co_u32 v5, vcc_lo, s0, v5
	v_add_co_ci_u32_e32 v6, vcc_lo, s1, v6, vcc_lo
	s_sub_u32 s0, s2, s24
	s_subb_u32 s1, s3, 0
	s_mov_b32 s2, exec_lo
	s_delay_alu instid0(VALU_DEP_1)
	v_cmpx_gt_i64_e64 s[0:1], v[5:6]
	s_cbranch_execz .LBB197_29
; %bb.8:
	v_and_b32_e32 v7, 63, v0
	s_mov_b32 s4, s25
	s_delay_alu instid0(VALU_DEP_1) | instskip(NEXT) | instid1(VALU_DEP_1)
	v_sub_co_u32 v21, s3, v7, s25
	v_sub_co_ci_u32_e64 v22, null, 0, 0, s3
	s_mov_b32 s3, 0
	s_branch .LBB197_10
.LBB197_9:                              ;   in Loop: Header=BB197_10 Depth=1
	s_or_b32 exec_lo, exec_lo, s5
	v_add_co_u32 v5, vcc_lo, v5, 16
	v_add_co_ci_u32_e32 v6, vcc_lo, 0, v6, vcc_lo
	s_delay_alu instid0(VALU_DEP_1) | instskip(SKIP_1) | instid1(SALU_CYCLE_1)
	v_cmp_le_i64_e32 vcc_lo, s[0:1], v[5:6]
	s_or_b32 s3, vcc_lo, s3
	s_and_not1_b32 exec_lo, exec_lo, s3
	s_cbranch_execz .LBB197_29
.LBB197_10:                             ; =>This Loop Header: Depth=1
                                        ;     Child Loop BB197_13 Depth 2
                                        ;       Child Loop BB197_15 Depth 3
                                        ;         Child Loop BB197_21 Depth 4
                                        ;         Child Loop BB197_27 Depth 4
	v_lshlrev_b64 v[7:8], 2, v[5:6]
	s_mov_b32 s5, exec_lo
	s_delay_alu instid0(VALU_DEP_1) | instskip(NEXT) | instid1(VALU_DEP_2)
	v_add_co_u32 v7, vcc_lo, s6, v7
	v_add_co_ci_u32_e32 v8, vcc_lo, s7, v8, vcc_lo
	global_load_b32 v7, v[7:8], off
	s_waitcnt vmcnt(0)
	v_subrev_nc_u32_e32 v7, s24, v7
	s_delay_alu instid0(VALU_DEP_1) | instskip(NEXT) | instid1(VALU_DEP_1)
	v_ashrrev_i32_e32 v8, 31, v7
	v_lshlrev_b64 v[7:8], 3, v[7:8]
	s_delay_alu instid0(VALU_DEP_1) | instskip(NEXT) | instid1(VALU_DEP_2)
	v_add_co_u32 v7, vcc_lo, s10, v7
	v_add_co_ci_u32_e32 v8, vcc_lo, s11, v8, vcc_lo
	global_load_b128 v[9:12], v[7:8], off
	s_waitcnt vmcnt(0)
	v_sub_co_u32 v7, vcc_lo, v11, s4
	v_subrev_co_ci_u32_e32 v8, vcc_lo, 0, v12, vcc_lo
	v_add_co_u32 v9, vcc_lo, v9, v21
	v_add_co_ci_u32_e32 v10, vcc_lo, v10, v22, vcc_lo
	s_delay_alu instid0(VALU_DEP_1)
	v_cmpx_lt_i64_e64 v[9:10], v[7:8]
	s_cbranch_execz .LBB197_9
; %bb.11:                               ;   in Loop: Header=BB197_10 Depth=1
	v_lshlrev_b64 v[11:12], 3, v[5:6]
	s_mov_b32 s13, 0
	s_delay_alu instid0(VALU_DEP_1) | instskip(NEXT) | instid1(VALU_DEP_2)
	v_add_co_u32 v11, vcc_lo, s8, v11
	v_add_co_ci_u32_e32 v12, vcc_lo, s9, v12, vcc_lo
	global_load_b64 v[11:12], v[11:12], off
	s_waitcnt vmcnt(0)
	v_mul_f64 v[11:12], v[3:4], v[11:12]
	s_branch .LBB197_13
.LBB197_12:                             ;   in Loop: Header=BB197_13 Depth=2
	s_or_b32 exec_lo, exec_lo, s14
	v_add_co_u32 v9, vcc_lo, v9, 64
	v_add_co_ci_u32_e32 v10, vcc_lo, 0, v10, vcc_lo
	s_delay_alu instid0(VALU_DEP_1) | instskip(SKIP_1) | instid1(SALU_CYCLE_1)
	v_cmp_ge_i64_e32 vcc_lo, v[9:10], v[7:8]
	s_or_b32 s13, vcc_lo, s13
	s_and_not1_b32 exec_lo, exec_lo, s13
	s_cbranch_execz .LBB197_9
.LBB197_13:                             ;   Parent Loop BB197_10 Depth=1
                                        ; =>  This Loop Header: Depth=2
                                        ;       Child Loop BB197_15 Depth 3
                                        ;         Child Loop BB197_21 Depth 4
                                        ;         Child Loop BB197_27 Depth 4
	v_lshlrev_b64 v[13:14], 3, v[9:10]
	v_lshlrev_b64 v[15:16], 2, v[9:10]
	s_mov_b32 s14, 0
	s_delay_alu instid0(VALU_DEP_2) | instskip(NEXT) | instid1(VALU_DEP_3)
	v_add_co_u32 v13, vcc_lo, s30, v13
	v_add_co_ci_u32_e32 v14, vcc_lo, s31, v14, vcc_lo
	s_delay_alu instid0(VALU_DEP_3) | instskip(NEXT) | instid1(VALU_DEP_4)
	v_add_co_u32 v15, vcc_lo, s28, v15
	v_add_co_ci_u32_e32 v16, vcc_lo, s29, v16, vcc_lo
	global_load_b64 v[13:14], v[13:14], off
	global_load_b32 v15, v[15:16], off
	s_waitcnt vmcnt(1)
	v_mul_f64 v[13:14], v[11:12], v[13:14]
	s_waitcnt vmcnt(0)
	v_subrev_nc_u32_e32 v23, s25, v15
	s_delay_alu instid0(VALU_DEP_1) | instskip(NEXT) | instid1(VALU_DEP_1)
	v_mul_lo_u32 v15, 0x89, v23
	v_and_b32_e32 v24, 0x7fff, v15
	s_branch .LBB197_15
.LBB197_14:                             ;   in Loop: Header=BB197_15 Depth=3
	s_or_b32 exec_lo, exec_lo, s15
	s_xor_b32 s15, s37, -1
	s_delay_alu instid0(SALU_CYCLE_1) | instskip(NEXT) | instid1(SALU_CYCLE_1)
	s_and_b32 s15, exec_lo, s15
	s_or_b32 s14, s15, s14
	s_delay_alu instid0(SALU_CYCLE_1)
	s_and_not1_b32 exec_lo, exec_lo, s14
	s_cbranch_execz .LBB197_12
.LBB197_15:                             ;   Parent Loop BB197_10 Depth=1
                                        ;     Parent Loop BB197_13 Depth=2
                                        ; =>    This Loop Header: Depth=3
                                        ;         Child Loop BB197_21 Depth 4
                                        ;         Child Loop BB197_27 Depth 4
	s_delay_alu instid0(VALU_DEP_1)
	v_lshl_add_u32 v15, v24, 2, 0
	s_mov_b32 s15, exec_lo
                                        ; implicit-def: $sgpr37
	ds_load_b32 v16, v15
	s_waitcnt lgkmcnt(0)
	v_cmpx_ne_u32_e64 v16, v23
	s_xor_b32 s15, exec_lo, s15
	s_cbranch_execz .LBB197_25
; %bb.16:                               ;   in Loop: Header=BB197_15 Depth=3
	s_mov_b32 s38, exec_lo
                                        ; implicit-def: $sgpr37
	v_cmpx_ne_u32_e64 s33, v16
	s_xor_b32 s38, exec_lo, s38
; %bb.17:                               ;   in Loop: Header=BB197_15 Depth=3
	v_add_nc_u32_e32 v15, 1, v24
	s_mov_b32 s37, -1
	s_delay_alu instid0(VALU_DEP_1)
	v_and_b32_e32 v24, 0x7fff, v15
                                        ; implicit-def: $vgpr15
; %bb.18:                               ;   in Loop: Header=BB197_15 Depth=3
	s_and_not1_saveexec_b32 s38, s38
	s_cbranch_execz .LBB197_24
; %bb.19:                               ;   in Loop: Header=BB197_15 Depth=3
	v_mov_b32_e32 v16, s33
	s_mov_b32 s40, -1
	s_mov_b32 s39, exec_lo
	ds_cmpstore_rtn_b32 v15, v15, v23, v16
	s_waitcnt lgkmcnt(0)
	v_cmpx_eq_u32_e64 s33, v15
	s_cbranch_execz .LBB197_23
; %bb.20:                               ;   in Loop: Header=BB197_15 Depth=3
	v_lshlrev_b32_e32 v15, 3, v24
	s_mov_b32 s40, 0
	s_delay_alu instid0(VALU_DEP_1)
	v_add3_u32 v25, 0, v15, 0x20000
	ds_load_b64 v[15:16], v25
.LBB197_21:                             ;   Parent Loop BB197_10 Depth=1
                                        ;     Parent Loop BB197_13 Depth=2
                                        ;       Parent Loop BB197_15 Depth=3
                                        ; =>      This Inner Loop Header: Depth=4
	s_waitcnt lgkmcnt(0)
	v_add_f64 v[26:27], v[15:16], v[13:14]
	ds_cmpstore_rtn_b64 v[26:27], v25, v[26:27], v[15:16]
	s_waitcnt lgkmcnt(0)
	v_cmp_eq_u64_e32 vcc_lo, v[26:27], v[15:16]
	v_dual_mov_b32 v15, v26 :: v_dual_mov_b32 v16, v27
	s_or_b32 s40, vcc_lo, s40
	s_delay_alu instid0(SALU_CYCLE_1)
	s_and_not1_b32 exec_lo, exec_lo, s40
	s_cbranch_execnz .LBB197_21
; %bb.22:                               ;   in Loop: Header=BB197_15 Depth=3
	s_or_b32 exec_lo, exec_lo, s40
	s_delay_alu instid0(SALU_CYCLE_1)
	s_xor_b32 s40, exec_lo, -1
.LBB197_23:                             ;   in Loop: Header=BB197_15 Depth=3
	s_or_b32 exec_lo, exec_lo, s39
	s_delay_alu instid0(SALU_CYCLE_1) | instskip(SKIP_1) | instid1(SALU_CYCLE_1)
	s_and_not1_b32 s37, s37, exec_lo
	s_and_b32 s39, s40, exec_lo
	s_or_b32 s37, s37, s39
.LBB197_24:                             ;   in Loop: Header=BB197_15 Depth=3
	s_or_b32 exec_lo, exec_lo, s38
	s_delay_alu instid0(SALU_CYCLE_1)
	s_and_b32 s37, s37, exec_lo
.LBB197_25:                             ;   in Loop: Header=BB197_15 Depth=3
	s_and_not1_saveexec_b32 s15, s15
	s_cbranch_execz .LBB197_14
; %bb.26:                               ;   in Loop: Header=BB197_15 Depth=3
	v_lshlrev_b32_e32 v15, 3, v24
	s_mov_b32 s38, 0
	s_delay_alu instid0(VALU_DEP_1)
	v_add3_u32 v25, 0, v15, 0x20000
	ds_load_b64 v[15:16], v25
.LBB197_27:                             ;   Parent Loop BB197_10 Depth=1
                                        ;     Parent Loop BB197_13 Depth=2
                                        ;       Parent Loop BB197_15 Depth=3
                                        ; =>      This Inner Loop Header: Depth=4
	s_waitcnt lgkmcnt(0)
	v_add_f64 v[26:27], v[15:16], v[13:14]
	ds_cmpstore_rtn_b64 v[26:27], v25, v[26:27], v[15:16]
	s_waitcnt lgkmcnt(0)
	v_cmp_eq_u64_e32 vcc_lo, v[26:27], v[15:16]
	v_dual_mov_b32 v15, v26 :: v_dual_mov_b32 v16, v27
	s_or_b32 s38, vcc_lo, s38
	s_delay_alu instid0(SALU_CYCLE_1)
	s_and_not1_b32 exec_lo, exec_lo, s38
	s_cbranch_execnz .LBB197_27
; %bb.28:                               ;   in Loop: Header=BB197_15 Depth=3
	s_or_b32 exec_lo, exec_lo, s38
	s_delay_alu instid0(SALU_CYCLE_1)
	s_and_not1_b32 s37, s37, exec_lo
	s_branch .LBB197_14
.LBB197_29:
	s_or_b32 exec_lo, exec_lo, s2
.LBB197_30:
	s_delay_alu instid0(SALU_CYCLE_1)
	s_and_not1_b32 vcc_lo, exec_lo, s12
	s_cbranch_vccnz .LBB197_33
; %bb.31:
	s_waitcnt lgkmcnt(0)
	s_ashr_i32 s37, s36, 31
	v_sub_co_u32 v3, s4, v0, s27
	s_lshl_b64 s[0:1], s[36:37], 3
	v_sub_co_ci_u32_e64 v4, null, 0, 0, s4
	s_add_u32 s0, s16, s0
	s_addc_u32 s1, s17, s1
	s_load_b128 s[0:3], s[0:1], 0x0
	s_waitcnt lgkmcnt(0)
	v_add_co_u32 v3, vcc_lo, s0, v3
	v_add_co_ci_u32_e32 v4, vcc_lo, s1, v4, vcc_lo
	s_sub_u32 s0, s2, s27
	s_subb_u32 s1, s3, 0
	s_mov_b32 s3, 0
	s_mov_b32 s2, exec_lo
	v_cmpx_gt_i64_e64 s[0:1], v[3:4]
	s_cbranch_execnz .LBB197_70
.LBB197_32:
	s_or_b32 exec_lo, exec_lo, s2
.LBB197_33:
	v_mbcnt_lo_u32_b32 v1, -1, 0
	v_dual_mov_b32 v5, 0 :: v_dual_lshlrev_b32 v2, 2, v20
	s_add_i32 s31, 0, 0x6003c
	v_cmp_eq_u32_e32 vcc_lo, 0x3ff, v0
	s_delay_alu instid0(VALU_DEP_3) | instskip(NEXT) | instid1(VALU_DEP_3)
	v_xor_b32_e32 v1, 63, v1
	v_add3_u32 v4, 0, 0x60000, v2
	v_cmp_lt_u32_e64 s0, 63, v0
	v_cmp_lt_u32_e64 s1, 0x7f, v0
	v_cmp_lt_u32_e64 s2, 0xbf, v0
	v_lshrrev_b64 v[1:2], v1, -1
	v_cmp_lt_u32_e64 s3, 0xff, v0
	v_cmp_lt_u32_e64 s4, 0x13f, v0
	;; [unrolled: 1-line block ×12, first 2 shown]
	v_mov_b32_e32 v6, s31
	s_mov_b32 s16, 0
	s_add_i32 s17, 0, 0x60000
	s_add_i32 s18, 0, 0x60004
	;; [unrolled: 1-line block ×15, first 2 shown]
	s_waitcnt lgkmcnt(0)
	s_barrier
	buffer_gl0_inv
	s_branch .LBB197_35
.LBB197_34:                             ;   in Loop: Header=BB197_35 Depth=1
	s_or_b32 exec_lo, exec_lo, s15
	s_waitcnt lgkmcnt(0)
	s_barrier
	buffer_gl0_inv
	ds_load_b32 v2, v6
	v_add_nc_u32_e32 v19, 0x400, v19
	v_add_nc_u32_e32 v18, 0x2000, v18
	;; [unrolled: 1-line block ×3, first 2 shown]
	s_delay_alu instid0(VALU_DEP_3) | instskip(NEXT) | instid1(VALU_DEP_1)
	v_cmp_lt_u32_e64 s15, 0x7bff, v19
	s_or_b32 s16, s15, s16
	s_waitcnt lgkmcnt(0)
	v_add_nc_u32_e32 v5, v2, v5
	s_and_not1_b32 exec_lo, exec_lo, s16
	s_cbranch_execz .LBB197_86
.LBB197_35:                             ; =>This Inner Loop Header: Depth=1
	ds_load_b32 v7, v17
	ds_load_b64 v[2:3], v18
	s_waitcnt lgkmcnt(0)
	s_barrier
	buffer_gl0_inv
	v_cmp_gt_i32_e64 s15, s33, v7
	s_delay_alu instid0(VALU_DEP_1) | instskip(NEXT) | instid1(SALU_CYCLE_1)
	s_bcnt1_i32_b32 s41, s15
	v_dual_mov_b32 v9, s41 :: v_dual_and_b32 v8, s15, v1
	s_delay_alu instid0(VALU_DEP_1)
	v_bcnt_u32_b32 v8, v8, 0
	ds_store_b32 v4, v9
	s_waitcnt lgkmcnt(0)
	s_barrier
	buffer_gl0_inv
	s_and_saveexec_b32 s41, s0
	s_cbranch_execnz .LBB197_52
; %bb.36:                               ;   in Loop: Header=BB197_35 Depth=1
	s_or_b32 exec_lo, exec_lo, s41
	s_and_saveexec_b32 s41, s1
	s_cbranch_execnz .LBB197_53
.LBB197_37:                             ;   in Loop: Header=BB197_35 Depth=1
	s_or_b32 exec_lo, exec_lo, s41
	s_and_saveexec_b32 s41, s2
	s_cbranch_execnz .LBB197_54
.LBB197_38:                             ;   in Loop: Header=BB197_35 Depth=1
	s_or_b32 exec_lo, exec_lo, s41
	s_and_saveexec_b32 s41, s3
	s_cbranch_execnz .LBB197_55
.LBB197_39:                             ;   in Loop: Header=BB197_35 Depth=1
	s_or_b32 exec_lo, exec_lo, s41
	s_and_saveexec_b32 s41, s4
	s_cbranch_execnz .LBB197_56
.LBB197_40:                             ;   in Loop: Header=BB197_35 Depth=1
	s_or_b32 exec_lo, exec_lo, s41
	s_and_saveexec_b32 s41, s5
	s_cbranch_execnz .LBB197_57
.LBB197_41:                             ;   in Loop: Header=BB197_35 Depth=1
	s_or_b32 exec_lo, exec_lo, s41
	s_and_saveexec_b32 s41, s6
	s_cbranch_execnz .LBB197_58
.LBB197_42:                             ;   in Loop: Header=BB197_35 Depth=1
	s_or_b32 exec_lo, exec_lo, s41
	s_and_saveexec_b32 s41, s7
	s_cbranch_execnz .LBB197_59
.LBB197_43:                             ;   in Loop: Header=BB197_35 Depth=1
	s_or_b32 exec_lo, exec_lo, s41
	s_and_saveexec_b32 s41, s8
	s_cbranch_execnz .LBB197_60
.LBB197_44:                             ;   in Loop: Header=BB197_35 Depth=1
	s_or_b32 exec_lo, exec_lo, s41
	s_and_saveexec_b32 s41, s9
	s_cbranch_execnz .LBB197_61
.LBB197_45:                             ;   in Loop: Header=BB197_35 Depth=1
	s_or_b32 exec_lo, exec_lo, s41
	s_and_saveexec_b32 s41, s10
	s_cbranch_execnz .LBB197_62
.LBB197_46:                             ;   in Loop: Header=BB197_35 Depth=1
	s_or_b32 exec_lo, exec_lo, s41
	s_and_saveexec_b32 s41, s11
	s_cbranch_execnz .LBB197_63
.LBB197_47:                             ;   in Loop: Header=BB197_35 Depth=1
	s_or_b32 exec_lo, exec_lo, s41
	s_and_saveexec_b32 s41, s12
	s_cbranch_execnz .LBB197_64
.LBB197_48:                             ;   in Loop: Header=BB197_35 Depth=1
	s_or_b32 exec_lo, exec_lo, s41
	s_and_saveexec_b32 s41, s13
	s_cbranch_execnz .LBB197_65
.LBB197_49:                             ;   in Loop: Header=BB197_35 Depth=1
	s_or_b32 exec_lo, exec_lo, s41
	s_and_saveexec_b32 s41, s14
	s_cbranch_execnz .LBB197_66
.LBB197_50:                             ;   in Loop: Header=BB197_35 Depth=1
	s_or_b32 exec_lo, exec_lo, s41
	s_and_saveexec_b32 s41, s15
	s_cbranch_execnz .LBB197_67
.LBB197_51:                             ;   in Loop: Header=BB197_35 Depth=1
	s_or_b32 exec_lo, exec_lo, s41
	s_and_saveexec_b32 s15, vcc_lo
	s_cbranch_execz .LBB197_34
	s_branch .LBB197_68
.LBB197_52:                             ;   in Loop: Header=BB197_35 Depth=1
	v_mov_b32_e32 v9, s17
	ds_load_b32 v9, v9
	s_waitcnt lgkmcnt(0)
	v_add_nc_u32_e32 v8, v9, v8
	s_or_b32 exec_lo, exec_lo, s41
	s_and_saveexec_b32 s41, s1
	s_cbranch_execz .LBB197_37
.LBB197_53:                             ;   in Loop: Header=BB197_35 Depth=1
	v_mov_b32_e32 v9, s18
	ds_load_b32 v9, v9
	s_waitcnt lgkmcnt(0)
	v_add_nc_u32_e32 v8, v9, v8
	s_or_b32 exec_lo, exec_lo, s41
	s_and_saveexec_b32 s41, s2
	s_cbranch_execz .LBB197_38
.LBB197_54:                             ;   in Loop: Header=BB197_35 Depth=1
	v_mov_b32_e32 v9, s19
	ds_load_b32 v9, v9
	s_waitcnt lgkmcnt(0)
	v_add_nc_u32_e32 v8, v9, v8
	s_or_b32 exec_lo, exec_lo, s41
	s_and_saveexec_b32 s41, s3
	s_cbranch_execz .LBB197_39
.LBB197_55:                             ;   in Loop: Header=BB197_35 Depth=1
	v_mov_b32_e32 v9, s20
	ds_load_b32 v9, v9
	s_waitcnt lgkmcnt(0)
	v_add_nc_u32_e32 v8, v9, v8
	s_or_b32 exec_lo, exec_lo, s41
	s_and_saveexec_b32 s41, s4
	s_cbranch_execz .LBB197_40
.LBB197_56:                             ;   in Loop: Header=BB197_35 Depth=1
	v_mov_b32_e32 v9, s21
	ds_load_b32 v9, v9
	s_waitcnt lgkmcnt(0)
	v_add_nc_u32_e32 v8, v9, v8
	s_or_b32 exec_lo, exec_lo, s41
	s_and_saveexec_b32 s41, s5
	s_cbranch_execz .LBB197_41
.LBB197_57:                             ;   in Loop: Header=BB197_35 Depth=1
	v_mov_b32_e32 v9, s24
	ds_load_b32 v9, v9
	s_waitcnt lgkmcnt(0)
	v_add_nc_u32_e32 v8, v9, v8
	s_or_b32 exec_lo, exec_lo, s41
	s_and_saveexec_b32 s41, s6
	s_cbranch_execz .LBB197_42
.LBB197_58:                             ;   in Loop: Header=BB197_35 Depth=1
	v_mov_b32_e32 v9, s25
	ds_load_b32 v9, v9
	s_waitcnt lgkmcnt(0)
	v_add_nc_u32_e32 v8, v9, v8
	s_or_b32 exec_lo, exec_lo, s41
	s_and_saveexec_b32 s41, s7
	s_cbranch_execz .LBB197_43
.LBB197_59:                             ;   in Loop: Header=BB197_35 Depth=1
	v_mov_b32_e32 v9, s27
	ds_load_b32 v9, v9
	s_waitcnt lgkmcnt(0)
	v_add_nc_u32_e32 v8, v9, v8
	s_or_b32 exec_lo, exec_lo, s41
	s_and_saveexec_b32 s41, s8
	s_cbranch_execz .LBB197_44
.LBB197_60:                             ;   in Loop: Header=BB197_35 Depth=1
	v_mov_b32_e32 v9, s28
	ds_load_b32 v9, v9
	s_waitcnt lgkmcnt(0)
	v_add_nc_u32_e32 v8, v9, v8
	s_or_b32 exec_lo, exec_lo, s41
	s_and_saveexec_b32 s41, s9
	s_cbranch_execz .LBB197_45
.LBB197_61:                             ;   in Loop: Header=BB197_35 Depth=1
	v_mov_b32_e32 v9, s29
	ds_load_b32 v9, v9
	s_waitcnt lgkmcnt(0)
	v_add_nc_u32_e32 v8, v9, v8
	s_or_b32 exec_lo, exec_lo, s41
	s_and_saveexec_b32 s41, s10
	s_cbranch_execz .LBB197_46
.LBB197_62:                             ;   in Loop: Header=BB197_35 Depth=1
	v_mov_b32_e32 v9, s30
	ds_load_b32 v9, v9
	s_waitcnt lgkmcnt(0)
	v_add_nc_u32_e32 v8, v9, v8
	s_or_b32 exec_lo, exec_lo, s41
	s_and_saveexec_b32 s41, s11
	s_cbranch_execz .LBB197_47
.LBB197_63:                             ;   in Loop: Header=BB197_35 Depth=1
	v_mov_b32_e32 v9, s37
	ds_load_b32 v9, v9
	s_waitcnt lgkmcnt(0)
	v_add_nc_u32_e32 v8, v9, v8
	s_or_b32 exec_lo, exec_lo, s41
	s_and_saveexec_b32 s41, s12
	s_cbranch_execz .LBB197_48
.LBB197_64:                             ;   in Loop: Header=BB197_35 Depth=1
	v_mov_b32_e32 v9, s38
	ds_load_b32 v9, v9
	s_waitcnt lgkmcnt(0)
	v_add_nc_u32_e32 v8, v9, v8
	s_or_b32 exec_lo, exec_lo, s41
	s_and_saveexec_b32 s41, s13
	s_cbranch_execz .LBB197_49
.LBB197_65:                             ;   in Loop: Header=BB197_35 Depth=1
	v_mov_b32_e32 v9, s39
	ds_load_b32 v9, v9
	s_waitcnt lgkmcnt(0)
	v_add_nc_u32_e32 v8, v9, v8
	s_or_b32 exec_lo, exec_lo, s41
	s_and_saveexec_b32 s41, s14
	s_cbranch_execz .LBB197_50
.LBB197_66:                             ;   in Loop: Header=BB197_35 Depth=1
	v_mov_b32_e32 v9, s40
	ds_load_b32 v9, v9
	s_waitcnt lgkmcnt(0)
	v_add_nc_u32_e32 v8, v9, v8
	s_or_b32 exec_lo, exec_lo, s41
	s_and_saveexec_b32 s41, s15
	s_cbranch_execz .LBB197_51
.LBB197_67:                             ;   in Loop: Header=BB197_35 Depth=1
	s_delay_alu instid0(VALU_DEP_1) | instskip(NEXT) | instid1(VALU_DEP_1)
	v_add3_u32 v9, v5, -1, v8
	v_lshlrev_b32_e32 v10, 3, v9
	v_lshl_add_u32 v9, v9, 2, 0
	s_delay_alu instid0(VALU_DEP_2)
	v_add3_u32 v10, 0, v10, 0x20000
	ds_store_b32 v9, v7
	ds_store_b64 v10, v[2:3]
	s_or_b32 exec_lo, exec_lo, s41
	s_and_saveexec_b32 s15, vcc_lo
	s_cbranch_execz .LBB197_34
.LBB197_68:                             ;   in Loop: Header=BB197_35 Depth=1
	v_mov_b32_e32 v2, s31
	ds_store_b32 v2, v8
	s_branch .LBB197_34
.LBB197_69:                             ;   in Loop: Header=BB197_70 Depth=1
	s_or_b32 exec_lo, exec_lo, s4
	v_add_co_u32 v3, vcc_lo, 0x400, v3
	v_add_co_ci_u32_e32 v4, vcc_lo, 0, v4, vcc_lo
	s_delay_alu instid0(VALU_DEP_1) | instskip(SKIP_1) | instid1(SALU_CYCLE_1)
	v_cmp_le_i64_e32 vcc_lo, s[0:1], v[3:4]
	s_or_b32 s3, vcc_lo, s3
	s_and_not1_b32 exec_lo, exec_lo, s3
	s_cbranch_execz .LBB197_32
.LBB197_70:                             ; =>This Loop Header: Depth=1
                                        ;     Child Loop BB197_72 Depth 2
                                        ;       Child Loop BB197_78 Depth 3
                                        ;       Child Loop BB197_84 Depth 3
	v_lshlrev_b64 v[5:6], 3, v[3:4]
	v_lshlrev_b64 v[7:8], 2, v[3:4]
	s_mov_b32 s4, 0
	s_delay_alu instid0(VALU_DEP_2) | instskip(NEXT) | instid1(VALU_DEP_3)
	v_add_co_u32 v5, vcc_lo, s20, v5
	v_add_co_ci_u32_e32 v6, vcc_lo, s21, v6, vcc_lo
	s_delay_alu instid0(VALU_DEP_3) | instskip(NEXT) | instid1(VALU_DEP_4)
	v_add_co_u32 v7, vcc_lo, s18, v7
	v_add_co_ci_u32_e32 v8, vcc_lo, s19, v8, vcc_lo
	global_load_b64 v[5:6], v[5:6], off
	global_load_b32 v7, v[7:8], off
	s_waitcnt vmcnt(1)
	v_mul_f64 v[5:6], v[1:2], v[5:6]
	s_waitcnt vmcnt(0)
	v_subrev_nc_u32_e32 v9, s27, v7
	s_delay_alu instid0(VALU_DEP_1) | instskip(NEXT) | instid1(VALU_DEP_1)
	v_mul_lo_u32 v7, 0x89, v9
	v_and_b32_e32 v10, 0x7fff, v7
	s_branch .LBB197_72
.LBB197_71:                             ;   in Loop: Header=BB197_72 Depth=2
	s_or_b32 exec_lo, exec_lo, s5
	s_xor_b32 s5, s6, -1
	s_delay_alu instid0(SALU_CYCLE_1) | instskip(NEXT) | instid1(SALU_CYCLE_1)
	s_and_b32 s5, exec_lo, s5
	s_or_b32 s4, s5, s4
	s_delay_alu instid0(SALU_CYCLE_1)
	s_and_not1_b32 exec_lo, exec_lo, s4
	s_cbranch_execz .LBB197_69
.LBB197_72:                             ;   Parent Loop BB197_70 Depth=1
                                        ; =>  This Loop Header: Depth=2
                                        ;       Child Loop BB197_78 Depth 3
                                        ;       Child Loop BB197_84 Depth 3
	s_delay_alu instid0(VALU_DEP_1)
	v_lshl_add_u32 v7, v10, 2, 0
	s_mov_b32 s5, exec_lo
                                        ; implicit-def: $sgpr6
	ds_load_b32 v8, v7
	s_waitcnt lgkmcnt(0)
	v_cmpx_ne_u32_e64 v8, v9
	s_xor_b32 s5, exec_lo, s5
	s_cbranch_execz .LBB197_82
; %bb.73:                               ;   in Loop: Header=BB197_72 Depth=2
	s_mov_b32 s7, exec_lo
                                        ; implicit-def: $sgpr6
	v_cmpx_ne_u32_e64 s33, v8
	s_xor_b32 s7, exec_lo, s7
; %bb.74:                               ;   in Loop: Header=BB197_72 Depth=2
	v_add_nc_u32_e32 v7, 1, v10
	s_mov_b32 s6, -1
	s_delay_alu instid0(VALU_DEP_1)
	v_and_b32_e32 v10, 0x7fff, v7
                                        ; implicit-def: $vgpr7
; %bb.75:                               ;   in Loop: Header=BB197_72 Depth=2
	s_and_not1_saveexec_b32 s7, s7
	s_cbranch_execz .LBB197_81
; %bb.76:                               ;   in Loop: Header=BB197_72 Depth=2
	v_mov_b32_e32 v8, s33
	s_mov_b32 s9, -1
	s_mov_b32 s8, exec_lo
	ds_cmpstore_rtn_b32 v7, v7, v9, v8
	s_waitcnt lgkmcnt(0)
	v_cmpx_eq_u32_e64 s33, v7
	s_cbranch_execz .LBB197_80
; %bb.77:                               ;   in Loop: Header=BB197_72 Depth=2
	v_lshlrev_b32_e32 v7, 3, v10
	s_mov_b32 s9, 0
	s_delay_alu instid0(VALU_DEP_1)
	v_add3_u32 v11, 0, v7, 0x20000
	ds_load_b64 v[7:8], v11
.LBB197_78:                             ;   Parent Loop BB197_70 Depth=1
                                        ;     Parent Loop BB197_72 Depth=2
                                        ; =>    This Inner Loop Header: Depth=3
	s_waitcnt lgkmcnt(0)
	v_add_f64 v[12:13], v[7:8], v[5:6]
	ds_cmpstore_rtn_b64 v[12:13], v11, v[12:13], v[7:8]
	s_waitcnt lgkmcnt(0)
	v_cmp_eq_u64_e32 vcc_lo, v[12:13], v[7:8]
	v_dual_mov_b32 v7, v12 :: v_dual_mov_b32 v8, v13
	s_or_b32 s9, vcc_lo, s9
	s_delay_alu instid0(SALU_CYCLE_1)
	s_and_not1_b32 exec_lo, exec_lo, s9
	s_cbranch_execnz .LBB197_78
; %bb.79:                               ;   in Loop: Header=BB197_72 Depth=2
	s_or_b32 exec_lo, exec_lo, s9
	s_delay_alu instid0(SALU_CYCLE_1)
	s_xor_b32 s9, exec_lo, -1
.LBB197_80:                             ;   in Loop: Header=BB197_72 Depth=2
	s_or_b32 exec_lo, exec_lo, s8
	s_delay_alu instid0(SALU_CYCLE_1) | instskip(SKIP_1) | instid1(SALU_CYCLE_1)
	s_and_not1_b32 s6, s6, exec_lo
	s_and_b32 s8, s9, exec_lo
	s_or_b32 s6, s6, s8
.LBB197_81:                             ;   in Loop: Header=BB197_72 Depth=2
	s_or_b32 exec_lo, exec_lo, s7
	s_delay_alu instid0(SALU_CYCLE_1)
	s_and_b32 s6, s6, exec_lo
.LBB197_82:                             ;   in Loop: Header=BB197_72 Depth=2
	s_and_not1_saveexec_b32 s5, s5
	s_cbranch_execz .LBB197_71
; %bb.83:                               ;   in Loop: Header=BB197_72 Depth=2
	v_lshlrev_b32_e32 v7, 3, v10
	s_mov_b32 s7, 0
	s_delay_alu instid0(VALU_DEP_1)
	v_add3_u32 v11, 0, v7, 0x20000
	ds_load_b64 v[7:8], v11
.LBB197_84:                             ;   Parent Loop BB197_70 Depth=1
                                        ;     Parent Loop BB197_72 Depth=2
                                        ; =>    This Inner Loop Header: Depth=3
	s_waitcnt lgkmcnt(0)
	v_add_f64 v[12:13], v[7:8], v[5:6]
	ds_cmpstore_rtn_b64 v[12:13], v11, v[12:13], v[7:8]
	s_waitcnt lgkmcnt(0)
	v_cmp_eq_u64_e32 vcc_lo, v[12:13], v[7:8]
	v_dual_mov_b32 v7, v12 :: v_dual_mov_b32 v8, v13
	s_or_b32 s7, vcc_lo, s7
	s_delay_alu instid0(SALU_CYCLE_1)
	s_and_not1_b32 exec_lo, exec_lo, s7
	s_cbranch_execnz .LBB197_84
; %bb.85:                               ;   in Loop: Header=BB197_72 Depth=2
	s_or_b32 exec_lo, exec_lo, s7
	s_delay_alu instid0(SALU_CYCLE_1)
	s_and_not1_b32 s6, s6, exec_lo
	s_branch .LBB197_71
.LBB197_86:
	s_or_b32 exec_lo, exec_lo, s16
	s_ashr_i32 s37, s36, 31
	s_mov_b32 s4, exec_lo
	s_lshl_b64 s[0:1], s[36:37], 3
	s_delay_alu instid0(SALU_CYCLE_1) | instskip(SKIP_4) | instid1(SALU_CYCLE_1)
	s_add_u32 s0, s22, s0
	s_addc_u32 s1, s23, s1
	s_load_b128 s[0:3], s[0:1], 0x0
	s_waitcnt lgkmcnt(0)
	s_sub_i32 s3, s2, s0
	v_cmpx_gt_i32_e64 s3, v0
	s_cbranch_execz .LBB197_96
; %bb.87:
	s_sub_u32 s4, s0, s26
	s_subb_u32 s5, s1, 0
	s_sub_i32 s0, s0, s2
	s_and_b32 s1, s3, 7
	s_cmp_lt_u32 s0, -7
	s_mov_b32 s8, 0
	s_cselect_b32 s2, -1, 0
	s_and_b32 s6, s3, -8
	s_cmp_lg_u32 s1, 0
	s_cselect_b32 s7, -1, 0
	s_branch .LBB197_89
.LBB197_88:                             ;   in Loop: Header=BB197_89 Depth=1
	s_delay_alu instid0(VALU_DEP_1) | instskip(SKIP_1) | instid1(VALU_DEP_1)
	v_lshlrev_b64 v[3:4], 3, v[3:4]
	v_add_nc_u32_e32 v0, 0x400, v0
	v_cmp_le_i32_e32 vcc_lo, s3, v0
	s_delay_alu instid0(VALU_DEP_3) | instskip(NEXT) | instid1(VALU_DEP_1)
	v_add_co_u32 v3, s0, s34, v3
	v_add_co_ci_u32_e64 v4, s0, s35, v4, s0
	s_or_b32 s8, vcc_lo, s8
	s_waitcnt lgkmcnt(0)
	global_store_b64 v[3:4], v[1:2], off
	s_and_not1_b32 exec_lo, exec_lo, s8
	s_cbranch_execz .LBB197_96
.LBB197_89:                             ; =>This Loop Header: Depth=1
                                        ;     Child Loop BB197_91 Depth 2
                                        ;     Child Loop BB197_95 Depth 2
	v_lshlrev_b32_e32 v1, 3, v0
	v_lshl_add_u32 v2, v0, 2, 0
	v_dual_mov_b32 v3, s4 :: v_dual_mov_b32 v4, s5
	s_and_not1_b32 vcc_lo, exec_lo, s2
	s_delay_alu instid0(VALU_DEP_3)
	v_add3_u32 v1, 0, v1, 0x20000
	s_mov_b32 s0, 0
	ds_load_b32 v5, v2
	ds_load_b64 v[1:2], v1
	s_cbranch_vccnz .LBB197_93
; %bb.90:                               ;   in Loop: Header=BB197_89 Depth=1
	v_dual_mov_b32 v3, s4 :: v_dual_mov_b32 v4, s5
	s_mov_b32 s9, 0
	s_mov_b32 s10, 0
.LBB197_91:                             ;   Parent Loop BB197_89 Depth=1
                                        ; =>  This Inner Loop Header: Depth=2
	s_delay_alu instid0(SALU_CYCLE_1)
	v_mov_b32_e32 v12, s10
	s_add_i32 s9, s9, 8
	s_add_i32 s10, s10, 32
	s_cmp_eq_u32 s6, s9
	ds_load_2addr_b32 v[6:7], v12 offset1:1
	ds_load_2addr_b32 v[8:9], v12 offset0:2 offset1:3
	ds_load_2addr_b32 v[10:11], v12 offset0:4 offset1:5
	;; [unrolled: 1-line block ×3, first 2 shown]
	s_waitcnt lgkmcnt(3)
	v_cmp_gt_i32_e32 vcc_lo, v5, v6
	v_cndmask_b32_e64 v6, 0, 1, vcc_lo
	v_cmp_gt_i32_e32 vcc_lo, v5, v7
	v_cndmask_b32_e64 v7, 0, 1, vcc_lo
	s_waitcnt lgkmcnt(2)
	v_cmp_gt_i32_e32 vcc_lo, v5, v8
	v_cndmask_b32_e64 v8, 0, 1, vcc_lo
	v_cmp_gt_i32_e32 vcc_lo, v5, v9
	v_cndmask_b32_e64 v9, 0, 1, vcc_lo
	s_waitcnt lgkmcnt(1)
	v_cmp_gt_i32_e32 vcc_lo, v5, v10
	v_cndmask_b32_e64 v10, 0, 1, vcc_lo
	v_add_co_u32 v3, vcc_lo, v3, v6
	v_add_co_ci_u32_e32 v4, vcc_lo, 0, v4, vcc_lo
	v_cmp_gt_i32_e32 vcc_lo, v5, v11
	s_delay_alu instid0(VALU_DEP_3) | instskip(NEXT) | instid1(VALU_DEP_1)
	v_add_co_u32 v3, s0, v3, v7
	v_add_co_ci_u32_e64 v4, s0, 0, v4, s0
	v_cndmask_b32_e64 v6, 0, 1, vcc_lo
	s_delay_alu instid0(VALU_DEP_3) | instskip(NEXT) | instid1(VALU_DEP_3)
	v_add_co_u32 v3, vcc_lo, v3, v8
	v_add_co_ci_u32_e32 v4, vcc_lo, 0, v4, vcc_lo
	s_waitcnt lgkmcnt(0)
	v_cmp_gt_i32_e32 vcc_lo, v5, v12
	s_delay_alu instid0(VALU_DEP_3) | instskip(NEXT) | instid1(VALU_DEP_1)
	v_add_co_u32 v3, s0, v3, v9
	v_add_co_ci_u32_e64 v4, s0, 0, v4, s0
	v_cndmask_b32_e64 v7, 0, 1, vcc_lo
	s_delay_alu instid0(VALU_DEP_3) | instskip(NEXT) | instid1(VALU_DEP_3)
	v_add_co_u32 v3, vcc_lo, v3, v10
	v_add_co_ci_u32_e32 v4, vcc_lo, 0, v4, vcc_lo
	v_cmp_gt_i32_e32 vcc_lo, v5, v13
	s_delay_alu instid0(VALU_DEP_3) | instskip(NEXT) | instid1(VALU_DEP_1)
	v_add_co_u32 v3, s0, v3, v6
	v_add_co_ci_u32_e64 v4, s0, 0, v4, s0
	v_cndmask_b32_e64 v6, 0, 1, vcc_lo
	s_delay_alu instid0(VALU_DEP_3) | instskip(NEXT) | instid1(VALU_DEP_3)
	v_add_co_u32 v3, vcc_lo, v3, v7
	v_add_co_ci_u32_e32 v4, vcc_lo, 0, v4, vcc_lo
	s_delay_alu instid0(VALU_DEP_2) | instskip(NEXT) | instid1(VALU_DEP_2)
	v_add_co_u32 v3, vcc_lo, v3, v6
	v_add_co_ci_u32_e32 v4, vcc_lo, 0, v4, vcc_lo
	s_cbranch_scc0 .LBB197_91
; %bb.92:                               ;   in Loop: Header=BB197_89 Depth=1
	s_mov_b32 s0, s6
.LBB197_93:                             ;   in Loop: Header=BB197_89 Depth=1
	s_and_not1_b32 vcc_lo, exec_lo, s7
	s_cbranch_vccnz .LBB197_88
; %bb.94:                               ;   in Loop: Header=BB197_89 Depth=1
	s_lshl_b32 s0, s0, 2
	s_mov_b32 s9, s1
	s_add_i32 s0, s0, 0
.LBB197_95:                             ;   Parent Loop BB197_89 Depth=1
                                        ; =>  This Inner Loop Header: Depth=2
	s_delay_alu instid0(SALU_CYCLE_1)
	v_mov_b32_e32 v6, s0
	s_add_i32 s9, s9, -1
	s_add_i32 s0, s0, 4
	s_cmp_lg_u32 s9, 0
	ds_load_b32 v6, v6
	s_waitcnt lgkmcnt(0)
	v_cmp_gt_i32_e32 vcc_lo, v5, v6
	v_cndmask_b32_e64 v6, 0, 1, vcc_lo
	s_delay_alu instid0(VALU_DEP_1)
	v_add_co_u32 v3, vcc_lo, v3, v6
	v_add_co_ci_u32_e32 v4, vcc_lo, 0, v4, vcc_lo
	s_cbranch_scc1 .LBB197_95
	s_branch .LBB197_88
.LBB197_96:
	s_nop 0
	s_sendmsg sendmsg(MSG_DEALLOC_VGPRS)
	s_endpgm
	.section	.rodata,"a",@progbits
	.p2align	6, 0x0
	.amdhsa_kernel _ZN9rocsparseL41csrgemm_numeric_fill_block_per_row_kernelILj1024ELj64ELj32768ELj137ELj64ElidEEvT5_PKS1_S3_NS_24const_host_device_scalarIT6_EEPKT4_S3_PKS5_S9_S3_SB_S6_S9_S3_SB_S9_S3_PS5_21rocsparse_index_base_SD_SD_SD_bbb
		.amdhsa_group_segment_fixed_size 0
		.amdhsa_private_segment_fixed_size 0
		.amdhsa_kernarg_size 156
		.amdhsa_user_sgpr_count 15
		.amdhsa_user_sgpr_dispatch_ptr 0
		.amdhsa_user_sgpr_queue_ptr 0
		.amdhsa_user_sgpr_kernarg_segment_ptr 1
		.amdhsa_user_sgpr_dispatch_id 0
		.amdhsa_user_sgpr_private_segment_size 0
		.amdhsa_wavefront_size32 1
		.amdhsa_uses_dynamic_stack 0
		.amdhsa_enable_private_segment 0
		.amdhsa_system_sgpr_workgroup_id_x 1
		.amdhsa_system_sgpr_workgroup_id_y 0
		.amdhsa_system_sgpr_workgroup_id_z 0
		.amdhsa_system_sgpr_workgroup_info 0
		.amdhsa_system_vgpr_workitem_id 0
		.amdhsa_next_free_vgpr 28
		.amdhsa_next_free_sgpr 42
		.amdhsa_reserve_vcc 1
		.amdhsa_float_round_mode_32 0
		.amdhsa_float_round_mode_16_64 0
		.amdhsa_float_denorm_mode_32 3
		.amdhsa_float_denorm_mode_16_64 3
		.amdhsa_dx10_clamp 1
		.amdhsa_ieee_mode 1
		.amdhsa_fp16_overflow 0
		.amdhsa_workgroup_processor_mode 1
		.amdhsa_memory_ordered 1
		.amdhsa_forward_progress 0
		.amdhsa_shared_vgpr_count 0
		.amdhsa_exception_fp_ieee_invalid_op 0
		.amdhsa_exception_fp_denorm_src 0
		.amdhsa_exception_fp_ieee_div_zero 0
		.amdhsa_exception_fp_ieee_overflow 0
		.amdhsa_exception_fp_ieee_underflow 0
		.amdhsa_exception_fp_ieee_inexact 0
		.amdhsa_exception_int_div_zero 0
	.end_amdhsa_kernel
	.section	.text._ZN9rocsparseL41csrgemm_numeric_fill_block_per_row_kernelILj1024ELj64ELj32768ELj137ELj64ElidEEvT5_PKS1_S3_NS_24const_host_device_scalarIT6_EEPKT4_S3_PKS5_S9_S3_SB_S6_S9_S3_SB_S9_S3_PS5_21rocsparse_index_base_SD_SD_SD_bbb,"axG",@progbits,_ZN9rocsparseL41csrgemm_numeric_fill_block_per_row_kernelILj1024ELj64ELj32768ELj137ELj64ElidEEvT5_PKS1_S3_NS_24const_host_device_scalarIT6_EEPKT4_S3_PKS5_S9_S3_SB_S6_S9_S3_SB_S9_S3_PS5_21rocsparse_index_base_SD_SD_SD_bbb,comdat
.Lfunc_end197:
	.size	_ZN9rocsparseL41csrgemm_numeric_fill_block_per_row_kernelILj1024ELj64ELj32768ELj137ELj64ElidEEvT5_PKS1_S3_NS_24const_host_device_scalarIT6_EEPKT4_S3_PKS5_S9_S3_SB_S6_S9_S3_SB_S9_S3_PS5_21rocsparse_index_base_SD_SD_SD_bbb, .Lfunc_end197-_ZN9rocsparseL41csrgemm_numeric_fill_block_per_row_kernelILj1024ELj64ELj32768ELj137ELj64ElidEEvT5_PKS1_S3_NS_24const_host_device_scalarIT6_EEPKT4_S3_PKS5_S9_S3_SB_S6_S9_S3_SB_S9_S3_PS5_21rocsparse_index_base_SD_SD_SD_bbb
                                        ; -- End function
	.section	.AMDGPU.csdata,"",@progbits
; Kernel info:
; codeLenInByte = 3992
; NumSgprs: 44
; NumVgprs: 28
; ScratchSize: 0
; MemoryBound: 0
; FloatMode: 240
; IeeeMode: 1
; LDSByteSize: 0 bytes/workgroup (compile time only)
; SGPRBlocks: 5
; VGPRBlocks: 3
; NumSGPRsForWavesPerEU: 44
; NumVGPRsForWavesPerEU: 28
; Occupancy: 16
; WaveLimiterHint : 1
; COMPUTE_PGM_RSRC2:SCRATCH_EN: 0
; COMPUTE_PGM_RSRC2:USER_SGPR: 15
; COMPUTE_PGM_RSRC2:TRAP_HANDLER: 0
; COMPUTE_PGM_RSRC2:TGID_X_EN: 1
; COMPUTE_PGM_RSRC2:TGID_Y_EN: 0
; COMPUTE_PGM_RSRC2:TGID_Z_EN: 0
; COMPUTE_PGM_RSRC2:TIDIG_COMP_CNT: 0
	.section	.text._ZN9rocsparseL51csrgemm_numeric_fill_block_per_row_multipass_kernelILj512ELj16ELj2048ELj32ElidEEvT4_PKS1_S3_NS_24const_host_device_scalarIT5_EEPKT3_S3_PKS5_S9_S3_SB_S6_S9_S3_SB_S9_S3_PS5_PS7_21rocsparse_index_base_SE_SE_SE_bbb,"axG",@progbits,_ZN9rocsparseL51csrgemm_numeric_fill_block_per_row_multipass_kernelILj512ELj16ELj2048ELj32ElidEEvT4_PKS1_S3_NS_24const_host_device_scalarIT5_EEPKT3_S3_PKS5_S9_S3_SB_S6_S9_S3_SB_S9_S3_PS5_PS7_21rocsparse_index_base_SE_SE_SE_bbb,comdat
	.globl	_ZN9rocsparseL51csrgemm_numeric_fill_block_per_row_multipass_kernelILj512ELj16ELj2048ELj32ElidEEvT4_PKS1_S3_NS_24const_host_device_scalarIT5_EEPKT3_S3_PKS5_S9_S3_SB_S6_S9_S3_SB_S9_S3_PS5_PS7_21rocsparse_index_base_SE_SE_SE_bbb ; -- Begin function _ZN9rocsparseL51csrgemm_numeric_fill_block_per_row_multipass_kernelILj512ELj16ELj2048ELj32ElidEEvT4_PKS1_S3_NS_24const_host_device_scalarIT5_EEPKT3_S3_PKS5_S9_S3_SB_S6_S9_S3_SB_S9_S3_PS5_PS7_21rocsparse_index_base_SE_SE_SE_bbb
	.p2align	8
	.type	_ZN9rocsparseL51csrgemm_numeric_fill_block_per_row_multipass_kernelILj512ELj16ELj2048ELj32ElidEEvT4_PKS1_S3_NS_24const_host_device_scalarIT5_EEPKT3_S3_PKS5_S9_S3_SB_S6_S9_S3_SB_S9_S3_PS5_PS7_21rocsparse_index_base_SE_SE_SE_bbb,@function
_ZN9rocsparseL51csrgemm_numeric_fill_block_per_row_multipass_kernelILj512ELj16ELj2048ELj32ElidEEvT4_PKS1_S3_NS_24const_host_device_scalarIT5_EEPKT3_S3_PKS5_S9_S3_SB_S6_S9_S3_SB_S9_S3_PS5_PS7_21rocsparse_index_base_SE_SE_SE_bbb: ; @_ZN9rocsparseL51csrgemm_numeric_fill_block_per_row_multipass_kernelILj512ELj16ELj2048ELj32ElidEEvT4_PKS1_S3_NS_24const_host_device_scalarIT5_EEPKT3_S3_PKS5_S9_S3_SB_S6_S9_S3_SB_S9_S3_PS5_PS7_21rocsparse_index_base_SE_SE_SE_bbb
; %bb.0:
	s_clause 0x4
	s_load_b32 s10, s[0:1], 0xa0
	s_load_b64 s[8:9], s[0:1], 0x18
	s_load_b128 s[4:7], s[0:1], 0x8
	s_load_b128 s[28:31], s[0:1], 0x90
	s_load_b64 s[2:3], s[0:1], 0x50
	s_waitcnt lgkmcnt(0)
	s_and_b32 s12, 1, s10
	s_bitcmp1_b32 s10, 16
	s_cselect_b32 s11, -1, 0
	s_cmp_eq_u32 s12, 1
	s_cselect_b32 s18, -1, 0
	s_delay_alu instid0(SALU_CYCLE_1)
	s_and_b32 s12, s18, exec_lo
	s_cselect_b32 s13, s9, 0
	s_cselect_b32 s12, s8, 0
	s_xor_b32 s14, s18, -1
	v_dual_mov_b32 v1, s12 :: v_dual_mov_b32 v2, s13
	s_or_b32 s14, s14, s11
	s_delay_alu instid0(SALU_CYCLE_1)
	s_and_b32 vcc_lo, exec_lo, s14
	s_cbranch_vccnz .LBB198_2
; %bb.1:
	v_dual_mov_b32 v1, s8 :: v_dual_mov_b32 v2, s9
	flat_load_b64 v[1:2], v[1:2]
.LBB198_2:
	s_load_b64 s[8:9], s[0:1], 0x20
	s_bitcmp1_b32 s10, 8
	s_cselect_b32 s33, -1, 0
	s_delay_alu instid0(SALU_CYCLE_1)
	s_and_b32 s10, s33, exec_lo
	s_cselect_b32 s13, s3, 0
	s_cselect_b32 s12, s2, 0
	s_xor_b32 s10, s33, -1
	v_dual_mov_b32 v3, s12 :: v_dual_mov_b32 v4, s13
	s_or_b32 s10, s10, s11
	s_delay_alu instid0(SALU_CYCLE_1)
	s_and_b32 vcc_lo, exec_lo, s10
	s_cbranch_vccnz .LBB198_4
; %bb.3:
	v_dual_mov_b32 v4, s3 :: v_dual_mov_b32 v3, s2
	flat_load_b64 v[3:4], v[3:4]
.LBB198_4:
	s_load_b32 s2, s[4:5], 0x0
	s_mov_b32 s3, 0
	s_mov_b64 s[34:35], 0
	s_waitcnt lgkmcnt(0)
	s_add_i32 s2, s2, s15
	s_delay_alu instid0(SALU_CYCLE_1) | instskip(NEXT) | instid1(SALU_CYCLE_1)
	s_lshl_b64 s[2:3], s[2:3], 2
	s_add_u32 s2, s6, s2
	s_addc_u32 s3, s7, s3
	s_and_not1_b32 vcc_lo, exec_lo, s18
	s_load_b32 s4, s[2:3], 0x0
	s_mov_b64 s[2:3], 0
	s_cbranch_vccz .LBB198_7
; %bb.5:
	s_and_not1_b32 vcc_lo, exec_lo, s18
	s_cbranch_vccz .LBB198_8
.LBB198_6:
	s_load_b32 s50, s[0:1], 0x0
	s_waitcnt lgkmcnt(0)
	s_cmp_lt_i32 s50, 1
	s_cbranch_scc0 .LBB198_9
	s_branch .LBB198_66
.LBB198_7:
	s_waitcnt lgkmcnt(0)
	s_ashr_i32 s5, s4, 31
	s_delay_alu instid0(SALU_CYCLE_1) | instskip(NEXT) | instid1(SALU_CYCLE_1)
	s_lshl_b64 s[2:3], s[4:5], 3
	s_add_u32 s2, s8, s2
	s_addc_u32 s3, s9, s3
	s_load_b64 s[2:3], s[2:3], 0x0
	s_waitcnt lgkmcnt(0)
	s_sub_u32 s2, s2, s28
	s_subb_u32 s3, s3, 0
	s_and_not1_b32 vcc_lo, exec_lo, s18
	s_cbranch_vccnz .LBB198_6
.LBB198_8:
	s_waitcnt lgkmcnt(0)
	s_ashr_i32 s5, s4, 31
	s_delay_alu instid0(SALU_CYCLE_1) | instskip(NEXT) | instid1(SALU_CYCLE_1)
	s_lshl_b64 s[6:7], s[4:5], 3
	s_add_u32 s6, s8, s6
	s_addc_u32 s7, s9, s7
	s_load_b64 s[6:7], s[6:7], 0x8
	s_waitcnt lgkmcnt(0)
	s_sub_u32 s34, s6, s28
	s_subb_u32 s35, s7, 0
	s_load_b32 s50, s[0:1], 0x0
	s_waitcnt lgkmcnt(0)
	s_cmp_lt_i32 s50, 1
	s_cbranch_scc1 .LBB198_66
.LBB198_9:
	s_clause 0x3
	s_load_b256 s[20:27], s[0:1], 0x58
	s_load_b128 s[44:47], s[0:1], 0x80
	s_load_b64 s[48:49], s[0:1], 0x48
	s_load_b256 s[36:43], s[0:1], 0x28
	v_lshrrev_b32_e32 v6, 4, v0
	v_mbcnt_lo_u32_b32 v9, -1, 0
	v_sub_co_u32 v29, s1, v0, s31
	s_delay_alu instid0(VALU_DEP_1) | instskip(NEXT) | instid1(VALU_DEP_4)
	v_sub_co_ci_u32_e64 v30, null, 0, 0, s1
	v_add_co_u32 v7, s1, s2, v6
	s_delay_alu instid0(VALU_DEP_4)
	v_xor_b32_e32 v6, 8, v9
	s_ashr_i32 s5, s4, 31
	v_xor_b32_e32 v10, 4, v9
	s_lshl_b64 s[4:5], s[4:5], 3
	v_xor_b32_e32 v12, 2, v9
	v_cmp_gt_i32_e64 s2, 32, v6
	v_xor_b32_e32 v13, 1, v9
	v_add_co_ci_u32_e64 v8, null, s3, 0, s1
	s_waitcnt lgkmcnt(0)
	s_add_u32 s6, s26, s4
	s_addc_u32 s7, s27, s5
	v_cndmask_b32_e64 v6, v9, v6, s2
	s_load_b64 s[6:7], s[6:7], 0x0
	v_cmp_gt_i32_e64 s2, 32, v10
	v_xor_b32_e32 v14, 63, v9
	v_lshrrev_b32_e32 v11, 3, v0
	v_dual_mov_b32 v5, 0 :: v_dual_and_b32 v28, 15, v0
	s_delay_alu instid0(VALU_DEP_4) | instskip(SKIP_2) | instid1(VALU_DEP_4)
	v_cndmask_b32_e64 v10, v9, v10, s2
	v_cmp_gt_i32_e64 s2, 32, v12
	v_cmp_gt_i64_e32 vcc_lo, s[34:35], v[7:8]
	v_dual_mov_b32 v38, v5 :: v_dual_and_b32 v35, 60, v11
	s_delay_alu instid0(VALU_DEP_4) | instskip(NEXT) | instid1(VALU_DEP_4)
	v_dual_mov_b32 v39, 0x800 :: v_dual_lshlrev_b32 v32, 2, v10
	v_cndmask_b32_e64 v12, v9, v12, s2
	v_cmp_gt_i32_e64 s2, 32, v13
	v_cmp_eq_u32_e64 s0, 0, v0
	v_cmp_eq_u32_e64 s1, 15, v28
	v_cmp_gt_u32_e64 s3, 32, v0
	v_lshlrev_b32_e32 v33, 2, v12
	v_cndmask_b32_e64 v9, v9, v13, s2
	s_waitcnt lgkmcnt(0)
	s_sub_u32 s54, s6, s30
	s_subb_u32 s55, s7, 0
	v_lshlrev_b32_e32 v31, 2, v6
	s_add_u32 s26, s20, s4
	v_lshlrev_b32_e32 v34, 2, v9
	v_lshrrev_b64 v[9:10], v14, -1
	v_dual_mov_b32 v10, s54 :: v_dual_mov_b32 v11, s55
	s_addc_u32 s27, s21, s5
	v_cmp_eq_u32_e64 s2, 0x1ff, v0
	v_cmp_gt_u32_e64 s4, 64, v0
	v_cmp_gt_u32_e64 s5, 0x60, v0
	;; [unrolled: 1-line block ×14, first 2 shown]
	v_or_b32_e32 v36, 0xfffffe00, v0
	v_dual_mov_b32 v37, 1 :: v_dual_lshlrev_b32 v0, 3, v0
	v_mov_b32_e32 v6, v5
	s_and_b32 s30, s18, vcc_lo
	s_add_u32 s53, s40, 8
	s_mov_b32 s51, s29
	s_mov_b32 s52, s31
	s_addc_u32 s54, s41, 0
	s_branch .LBB198_11
.LBB198_10:                             ;   in Loop: Header=BB198_11 Depth=1
	s_or_b32 exec_lo, exec_lo, s19
	ds_load_b32 v38, v5 offset:18432
	s_waitcnt lgkmcnt(0)
	s_barrier
	buffer_gl0_inv
	v_cmp_le_i32_e32 vcc_lo, s50, v38
	v_add_nc_u32_e32 v39, 0x800, v38
	s_cbranch_vccnz .LBB198_66
.LBB198_11:                             ; =>This Loop Header: Depth=1
                                        ;     Child Loop BB198_12 Depth 2
                                        ;     Child Loop BB198_18 Depth 2
                                        ;       Child Loop BB198_24 Depth 3
                                        ;         Child Loop BB198_28 Depth 4
                                        ;     Child Loop BB198_43 Depth 2
                                        ;       Child Loop BB198_47 Depth 3
                                        ;     Child Loop BB198_57 Depth 2
                                        ;     Child Loop BB198_62 Depth 2
	v_mov_b32_e32 v12, v0
	v_mov_b32_e32 v13, v36
	s_mov_b32 s18, 0
.LBB198_12:                             ;   Parent Loop BB198_11 Depth=1
                                        ; =>  This Inner Loop Header: Depth=2
	ds_store_b8 v13, v5 offset:16896
	v_add_nc_u32_e32 v13, 0x200, v13
	ds_store_b64 v12, v[5:6]
	v_add_nc_u32_e32 v12, 0x1000, v12
	v_cmp_lt_u32_e32 vcc_lo, 0x5ff, v13
	s_or_b32 s18, vcc_lo, s18
	s_delay_alu instid0(SALU_CYCLE_1)
	s_and_not1_b32 exec_lo, exec_lo, s18
	s_cbranch_execnz .LBB198_12
; %bb.13:                               ;   in Loop: Header=BB198_11 Depth=1
	s_or_b32 exec_lo, exec_lo, s18
	s_and_saveexec_b32 s18, s0
	s_cbranch_execz .LBB198_15
; %bb.14:                               ;   in Loop: Header=BB198_11 Depth=1
	v_mov_b32_e32 v12, s50
	ds_store_b32 v5, v12 offset:18432
.LBB198_15:                             ;   in Loop: Header=BB198_11 Depth=1
	s_or_b32 exec_lo, exec_lo, s18
	v_mov_b32_e32 v40, s50
	s_waitcnt vmcnt(0) lgkmcnt(0)
	s_barrier
	buffer_gl0_inv
	s_and_saveexec_b32 s21, s30
	s_cbranch_execz .LBB198_39
; %bb.16:                               ;   in Loop: Header=BB198_11 Depth=1
	v_dual_mov_b32 v40, s50 :: v_dual_mov_b32 v13, v8
	v_cmp_ne_u32_e64 s18, 0, v38
	v_mov_b32_e32 v12, v7
	s_mov_b32 s55, 0
	s_branch .LBB198_18
.LBB198_17:                             ;   in Loop: Header=BB198_18 Depth=2
	s_or_b32 exec_lo, exec_lo, s20
	v_add_co_u32 v12, vcc_lo, v12, 32
	v_add_co_ci_u32_e32 v13, vcc_lo, 0, v13, vcc_lo
	s_delay_alu instid0(VALU_DEP_1) | instskip(SKIP_1) | instid1(SALU_CYCLE_1)
	v_cmp_le_i64_e32 vcc_lo, s[34:35], v[12:13]
	s_or_b32 s55, vcc_lo, s55
	s_and_not1_b32 exec_lo, exec_lo, s55
	s_cbranch_execz .LBB198_38
.LBB198_18:                             ;   Parent Loop BB198_11 Depth=1
                                        ; =>  This Loop Header: Depth=2
                                        ;       Child Loop BB198_24 Depth 3
                                        ;         Child Loop BB198_28 Depth 4
	s_delay_alu instid0(VALU_DEP_1) | instskip(NEXT) | instid1(VALU_DEP_1)
	v_lshlrev_b64 v[14:15], 2, v[12:13]
	v_add_co_u32 v16, vcc_lo, s36, v14
	s_delay_alu instid0(VALU_DEP_2)
	v_add_co_ci_u32_e32 v17, vcc_lo, s37, v15, vcc_lo
	v_lshlrev_b64 v[14:15], 3, v[12:13]
	s_waitcnt lgkmcnt(0)
	global_load_b32 v18, v[16:17], off
	v_add_co_u32 v16, vcc_lo, s38, v14
	v_add_co_ci_u32_e32 v17, vcc_lo, s39, v15, vcc_lo
	s_and_b32 vcc_lo, exec_lo, s18
	global_load_b64 v[20:21], v[16:17], off
	s_waitcnt vmcnt(1)
	v_subrev_nc_u32_e32 v16, s28, v18
	s_delay_alu instid0(VALU_DEP_1)
	v_ashrrev_i32_e32 v17, 31, v16
	s_cbranch_vccz .LBB198_37
; %bb.19:                               ;   in Loop: Header=BB198_18 Depth=2
	v_add_co_u32 v18, vcc_lo, s46, v14
	v_add_co_ci_u32_e32 v19, vcc_lo, s47, v15, vcc_lo
	global_load_b64 v[22:23], v[18:19], off
	s_cbranch_execnz .LBB198_21
.LBB198_20:                             ;   in Loop: Header=BB198_18 Depth=2
	s_delay_alu instid0(VALU_DEP_1) | instskip(NEXT) | instid1(VALU_DEP_1)
	v_lshlrev_b64 v[18:19], 3, v[16:17]
	v_add_co_u32 v18, vcc_lo, s40, v18
	s_delay_alu instid0(VALU_DEP_2)
	v_add_co_ci_u32_e32 v19, vcc_lo, s41, v19, vcc_lo
	global_load_b64 v[18:19], v[18:19], off
	s_waitcnt vmcnt(0)
	v_sub_co_u32 v22, vcc_lo, v18, s51
	v_subrev_co_ci_u32_e32 v23, vcc_lo, 0, v19, vcc_lo
.LBB198_21:                             ;   in Loop: Header=BB198_18 Depth=2
	v_lshlrev_b64 v[16:17], 3, v[16:17]
	s_mov_b32 s56, exec_lo
	s_delay_alu instid0(VALU_DEP_1) | instskip(NEXT) | instid1(VALU_DEP_2)
	v_add_co_u32 v16, vcc_lo, s53, v16
	v_add_co_ci_u32_e32 v17, vcc_lo, s54, v17, vcc_lo
	global_load_b64 v[16:17], v[16:17], off
	s_waitcnt vmcnt(0)
	v_sub_co_u32 v18, vcc_lo, v16, s51
	v_subrev_co_ci_u32_e32 v19, vcc_lo, 0, v17, vcc_lo
	v_add_co_u32 v16, vcc_lo, v22, v28
	v_add_co_ci_u32_e32 v17, vcc_lo, 0, v23, vcc_lo
	s_delay_alu instid0(VALU_DEP_1)
	v_cmpx_lt_i64_e64 v[16:17], v[18:19]
	s_cbranch_execz .LBB198_35
; %bb.22:                               ;   in Loop: Header=BB198_18 Depth=2
	v_mul_f64 v[20:21], v[1:2], v[20:21]
	v_dual_mov_b32 v23, v17 :: v_dual_mov_b32 v22, v16
	s_mov_b32 s58, 0
                                        ; implicit-def: $sgpr57
                                        ; implicit-def: $sgpr59
	s_branch .LBB198_24
.LBB198_23:                             ;   in Loop: Header=BB198_24 Depth=3
	s_or_b32 exec_lo, exec_lo, s20
	s_delay_alu instid0(SALU_CYCLE_1) | instskip(SKIP_4) | instid1(SALU_CYCLE_1)
	s_and_b32 s19, exec_lo, s60
	v_dual_mov_b32 v22, v26 :: v_dual_mov_b32 v23, v27
	s_or_b32 s58, s19, s58
	s_and_not1_b32 s19, s57, exec_lo
	s_and_b32 s20, s59, exec_lo
	s_or_b32 s57, s19, s20
	s_and_not1_b32 exec_lo, exec_lo, s58
	s_cbranch_execz .LBB198_32
.LBB198_24:                             ;   Parent Loop BB198_11 Depth=1
                                        ;     Parent Loop BB198_18 Depth=2
                                        ; =>    This Loop Header: Depth=3
                                        ;         Child Loop BB198_28 Depth 4
	s_delay_alu instid0(VALU_DEP_1) | instskip(NEXT) | instid1(VALU_DEP_1)
	v_lshlrev_b64 v[24:25], 2, v[22:23]
	v_add_co_u32 v24, vcc_lo, s42, v24
	s_delay_alu instid0(VALU_DEP_2) | instskip(SKIP_3) | instid1(VALU_DEP_1)
	v_add_co_ci_u32_e32 v25, vcc_lo, s43, v25, vcc_lo
	global_load_b32 v24, v[24:25], off
	s_waitcnt vmcnt(0)
	v_subrev_nc_u32_e32 v41, s29, v24
	v_cmp_lt_i32_e64 s19, v41, v38
	v_cmp_ge_i32_e64 s20, v41, v39
	v_cmp_lt_i32_e32 vcc_lo, v41, v39
	s_delay_alu instid0(VALU_DEP_2) | instskip(SKIP_2) | instid1(SALU_CYCLE_1)
	s_or_b32 s60, s19, s20
	s_mov_b32 s19, 0
                                        ; implicit-def: $sgpr20
	s_and_saveexec_b32 s61, s60
	s_xor_b32 s60, exec_lo, s61
; %bb.25:                               ;   in Loop: Header=BB198_24 Depth=3
	s_mov_b32 s20, -1
	s_and_b32 s19, vcc_lo, exec_lo
; %bb.26:                               ;   in Loop: Header=BB198_24 Depth=3
	s_and_not1_saveexec_b32 s60, s60
	s_cbranch_execz .LBB198_30
; %bb.27:                               ;   in Loop: Header=BB198_24 Depth=3
	v_lshlrev_b64 v[24:25], 3, v[22:23]
	v_sub_nc_u32_e32 v26, v41, v38
	s_mov_b32 s61, 0
	s_delay_alu instid0(VALU_DEP_1) | instskip(NEXT) | instid1(VALU_DEP_3)
	v_lshlrev_b32_e32 v42, 3, v26
	v_add_co_u32 v24, vcc_lo, s48, v24
	s_delay_alu instid0(VALU_DEP_4)
	v_add_co_ci_u32_e32 v25, vcc_lo, s49, v25, vcc_lo
	ds_store_b8 v26, v37 offset:16384
	ds_load_b64 v[26:27], v42
	global_load_b64 v[24:25], v[24:25], off
	s_waitcnt vmcnt(0)
	v_mul_f64 v[24:25], v[20:21], v[24:25]
.LBB198_28:                             ;   Parent Loop BB198_11 Depth=1
                                        ;     Parent Loop BB198_18 Depth=2
                                        ;       Parent Loop BB198_24 Depth=3
                                        ; =>      This Inner Loop Header: Depth=4
	s_waitcnt lgkmcnt(0)
	s_delay_alu instid0(VALU_DEP_1)
	v_add_f64 v[43:44], v[26:27], v[24:25]
	ds_cmpstore_rtn_b64 v[43:44], v42, v[43:44], v[26:27]
	s_waitcnt lgkmcnt(0)
	v_cmp_eq_u64_e32 vcc_lo, v[43:44], v[26:27]
	v_dual_mov_b32 v26, v43 :: v_dual_mov_b32 v27, v44
	s_or_b32 s61, vcc_lo, s61
	s_delay_alu instid0(SALU_CYCLE_1)
	s_and_not1_b32 exec_lo, exec_lo, s61
	s_cbranch_execnz .LBB198_28
; %bb.29:                               ;   in Loop: Header=BB198_24 Depth=3
	s_or_b32 exec_lo, exec_lo, s61
	s_delay_alu instid0(SALU_CYCLE_1)
	s_or_b32 s19, s19, exec_lo
.LBB198_30:                             ;   in Loop: Header=BB198_24 Depth=3
	s_or_b32 exec_lo, exec_lo, s60
	v_dual_mov_b32 v25, v23 :: v_dual_mov_b32 v24, v22
	s_and_not1_b32 s59, s59, exec_lo
	s_and_b32 s20, s20, exec_lo
	s_mov_b32 s60, -1
	s_or_b32 s59, s59, s20
                                        ; implicit-def: $vgpr26_vgpr27
	s_and_saveexec_b32 s20, s19
	s_cbranch_execz .LBB198_23
; %bb.31:                               ;   in Loop: Header=BB198_24 Depth=3
	v_add_co_u32 v26, vcc_lo, v22, 16
	v_add_co_ci_u32_e32 v27, vcc_lo, 0, v23, vcc_lo
	v_dual_mov_b32 v25, v23 :: v_dual_mov_b32 v24, v22
	s_and_not1_b32 s59, s59, exec_lo
	s_delay_alu instid0(VALU_DEP_2)
	v_cmp_ge_i64_e32 vcc_lo, v[26:27], v[18:19]
	s_or_not1_b32 s60, vcc_lo, exec_lo
	s_branch .LBB198_23
.LBB198_32:                             ;   in Loop: Header=BB198_18 Depth=2
	s_or_b32 exec_lo, exec_lo, s58
	s_and_saveexec_b32 s19, s57
	s_delay_alu instid0(SALU_CYCLE_1)
	s_xor_b32 s19, exec_lo, s19
; %bb.33:                               ;   in Loop: Header=BB198_18 Depth=2
	v_min_i32_e32 v40, v41, v40
	v_dual_mov_b32 v16, v24 :: v_dual_mov_b32 v17, v25
; %bb.34:                               ;   in Loop: Header=BB198_18 Depth=2
	s_or_b32 exec_lo, exec_lo, s19
.LBB198_35:                             ;   in Loop: Header=BB198_18 Depth=2
	s_delay_alu instid0(SALU_CYCLE_1)
	s_or_b32 exec_lo, exec_lo, s56
	ds_bpermute_b32 v18, v31, v16
	ds_bpermute_b32 v19, v31, v17
	s_waitcnt lgkmcnt(0)
	v_cmp_lt_i64_e32 vcc_lo, v[18:19], v[16:17]
	v_dual_cndmask_b32 v17, v17, v19 :: v_dual_cndmask_b32 v16, v16, v18
	ds_bpermute_b32 v19, v32, v17
	ds_bpermute_b32 v18, v32, v16
	s_waitcnt lgkmcnt(0)
	v_cmp_lt_i64_e32 vcc_lo, v[18:19], v[16:17]
	v_dual_cndmask_b32 v17, v17, v19 :: v_dual_cndmask_b32 v16, v16, v18
	;; [unrolled: 5-line block ×3, first 2 shown]
	ds_bpermute_b32 v19, v34, v17
	ds_bpermute_b32 v18, v34, v16
	s_and_saveexec_b32 s20, s1
	s_cbranch_execz .LBB198_17
; %bb.36:                               ;   in Loop: Header=BB198_18 Depth=2
	s_waitcnt lgkmcnt(0)
	v_cmp_lt_i64_e32 vcc_lo, v[18:19], v[16:17]
	v_add_co_u32 v14, s19, s46, v14
	s_delay_alu instid0(VALU_DEP_1)
	v_add_co_ci_u32_e64 v15, s19, s47, v15, s19
	v_dual_cndmask_b32 v17, v17, v19 :: v_dual_cndmask_b32 v16, v16, v18
	global_store_b64 v[14:15], v[16:17], off
	s_branch .LBB198_17
.LBB198_37:                             ;   in Loop: Header=BB198_18 Depth=2
                                        ; implicit-def: $vgpr22_vgpr23
	s_branch .LBB198_20
.LBB198_38:                             ;   in Loop: Header=BB198_11 Depth=1
	s_or_b32 exec_lo, exec_lo, s55
.LBB198_39:                             ;   in Loop: Header=BB198_11 Depth=1
	s_delay_alu instid0(SALU_CYCLE_1) | instskip(NEXT) | instid1(SALU_CYCLE_1)
	s_or_b32 exec_lo, exec_lo, s21
	s_and_not1_b32 vcc_lo, exec_lo, s33
	s_cbranch_vccnz .LBB198_55
; %bb.40:                               ;   in Loop: Header=BB198_11 Depth=1
	s_load_b128 s[56:59], s[26:27], 0x0
	s_mov_b32 s55, exec_lo
	s_waitcnt lgkmcnt(0)
	v_add_co_u32 v12, vcc_lo, s56, v29
	v_add_co_ci_u32_e32 v13, vcc_lo, s57, v30, vcc_lo
	s_sub_u32 s20, s58, s52
	s_subb_u32 s21, s59, 0
	s_delay_alu instid0(VALU_DEP_1) | instid1(SALU_CYCLE_1)
	v_cmpx_gt_i64_e64 s[20:21], v[12:13]
	s_cbranch_execz .LBB198_54
; %bb.41:                               ;   in Loop: Header=BB198_11 Depth=1
	s_mov_b32 s56, 0
                                        ; implicit-def: $sgpr57
                                        ; implicit-def: $sgpr58
	s_branch .LBB198_43
.LBB198_42:                             ;   in Loop: Header=BB198_43 Depth=2
	s_or_b32 exec_lo, exec_lo, s59
	s_delay_alu instid0(SALU_CYCLE_1) | instskip(NEXT) | instid1(SALU_CYCLE_1)
	s_and_b32 s18, exec_lo, s19
	s_or_b32 s56, s18, s56
	s_and_not1_b32 s18, s57, exec_lo
	s_and_b32 s19, s58, exec_lo
	s_delay_alu instid0(SALU_CYCLE_1)
	s_or_b32 s57, s18, s19
	s_and_not1_b32 exec_lo, exec_lo, s56
	s_cbranch_execz .LBB198_51
.LBB198_43:                             ;   Parent Loop BB198_11 Depth=1
                                        ; =>  This Loop Header: Depth=2
                                        ;       Child Loop BB198_47 Depth 3
	v_lshlrev_b64 v[14:15], 2, v[12:13]
	s_delay_alu instid0(VALU_DEP_1) | instskip(NEXT) | instid1(VALU_DEP_2)
	v_add_co_u32 v14, vcc_lo, s22, v14
	v_add_co_ci_u32_e32 v15, vcc_lo, s23, v15, vcc_lo
	global_load_b32 v14, v[14:15], off
	s_waitcnt vmcnt(0)
	v_subrev_nc_u32_e32 v18, s31, v14
	s_delay_alu instid0(VALU_DEP_1) | instskip(SKIP_2) | instid1(VALU_DEP_2)
	v_cmp_lt_i32_e64 s18, v18, v38
	v_cmp_ge_i32_e64 s19, v18, v39
	v_cmp_lt_i32_e32 vcc_lo, v18, v39
	s_or_b32 s59, s18, s19
	s_mov_b32 s18, 0
                                        ; implicit-def: $sgpr19
	s_and_saveexec_b32 s60, s59
	s_delay_alu instid0(SALU_CYCLE_1)
	s_xor_b32 s59, exec_lo, s60
; %bb.44:                               ;   in Loop: Header=BB198_43 Depth=2
	s_mov_b32 s19, -1
	s_and_b32 s18, vcc_lo, exec_lo
; %bb.45:                               ;   in Loop: Header=BB198_43 Depth=2
	s_and_not1_saveexec_b32 s59, s59
	s_cbranch_execz .LBB198_49
; %bb.46:                               ;   in Loop: Header=BB198_43 Depth=2
	v_lshlrev_b64 v[14:15], 3, v[12:13]
	v_sub_nc_u32_e32 v16, v18, v38
	s_mov_b32 s60, 0
	s_delay_alu instid0(VALU_DEP_1) | instskip(NEXT) | instid1(VALU_DEP_3)
	v_lshlrev_b32_e32 v19, 3, v16
	v_add_co_u32 v14, vcc_lo, s24, v14
	s_delay_alu instid0(VALU_DEP_4)
	v_add_co_ci_u32_e32 v15, vcc_lo, s25, v15, vcc_lo
	ds_store_b8 v16, v37 offset:16384
	ds_load_b64 v[16:17], v19
	global_load_b64 v[14:15], v[14:15], off
	s_waitcnt vmcnt(0)
	v_mul_f64 v[14:15], v[3:4], v[14:15]
.LBB198_47:                             ;   Parent Loop BB198_11 Depth=1
                                        ;     Parent Loop BB198_43 Depth=2
                                        ; =>    This Inner Loop Header: Depth=3
	s_waitcnt lgkmcnt(0)
	s_delay_alu instid0(VALU_DEP_1)
	v_add_f64 v[20:21], v[16:17], v[14:15]
	ds_cmpstore_rtn_b64 v[20:21], v19, v[20:21], v[16:17]
	s_waitcnt lgkmcnt(0)
	v_cmp_eq_u64_e32 vcc_lo, v[20:21], v[16:17]
	v_dual_mov_b32 v16, v20 :: v_dual_mov_b32 v17, v21
	s_or_b32 s60, vcc_lo, s60
	s_delay_alu instid0(SALU_CYCLE_1)
	s_and_not1_b32 exec_lo, exec_lo, s60
	s_cbranch_execnz .LBB198_47
; %bb.48:                               ;   in Loop: Header=BB198_43 Depth=2
	s_or_b32 exec_lo, exec_lo, s60
	s_delay_alu instid0(SALU_CYCLE_1)
	s_or_b32 s18, s18, exec_lo
.LBB198_49:                             ;   in Loop: Header=BB198_43 Depth=2
	s_or_b32 exec_lo, exec_lo, s59
	s_delay_alu instid0(SALU_CYCLE_1)
	s_and_not1_b32 s58, s58, exec_lo
	s_and_b32 s59, s19, exec_lo
	s_mov_b32 s19, -1
	s_or_b32 s58, s58, s59
	s_and_saveexec_b32 s59, s18
	s_cbranch_execz .LBB198_42
; %bb.50:                               ;   in Loop: Header=BB198_43 Depth=2
	v_add_co_u32 v12, vcc_lo, 0x200, v12
	v_add_co_ci_u32_e32 v13, vcc_lo, 0, v13, vcc_lo
	s_and_not1_b32 s58, s58, exec_lo
	s_delay_alu instid0(VALU_DEP_1)
	v_cmp_le_i64_e32 vcc_lo, s[20:21], v[12:13]
	s_or_not1_b32 s19, vcc_lo, exec_lo
	s_branch .LBB198_42
.LBB198_51:                             ;   in Loop: Header=BB198_11 Depth=1
	s_or_b32 exec_lo, exec_lo, s56
	s_and_saveexec_b32 s18, s57
	s_delay_alu instid0(SALU_CYCLE_1)
	s_xor_b32 s18, exec_lo, s18
; %bb.52:                               ;   in Loop: Header=BB198_11 Depth=1
	v_min_i32_e32 v40, v18, v40
; %bb.53:                               ;   in Loop: Header=BB198_11 Depth=1
	s_or_b32 exec_lo, exec_lo, s18
.LBB198_54:                             ;   in Loop: Header=BB198_11 Depth=1
	s_delay_alu instid0(SALU_CYCLE_1)
	s_or_b32 exec_lo, exec_lo, s55
.LBB198_55:                             ;   in Loop: Header=BB198_11 Depth=1
	ds_bpermute_b32 v12, v31, v40
	s_waitcnt lgkmcnt(0)
	v_min_i32_e32 v12, v12, v40
	ds_bpermute_b32 v13, v32, v12
	s_waitcnt lgkmcnt(0)
	v_min_i32_e32 v12, v13, v12
	;; [unrolled: 3-line block ×3, first 2 shown]
	ds_bpermute_b32 v13, v34, v12
	s_and_saveexec_b32 s18, s1
	s_cbranch_execz .LBB198_60
; %bb.56:                               ;   in Loop: Header=BB198_11 Depth=1
	s_waitcnt lgkmcnt(0)
	v_min_i32_e32 v12, v13, v12
	s_mov_b32 s20, exec_lo
	s_brev_b32 s19, -2
.LBB198_57:                             ;   Parent Loop BB198_11 Depth=1
                                        ; =>  This Inner Loop Header: Depth=2
	s_ctz_i32_b32 s21, s20
	s_delay_alu instid0(VALU_DEP_1) | instid1(SALU_CYCLE_1)
	v_readlane_b32 s55, v12, s21
	s_lshl_b32 s21, 1, s21
	s_delay_alu instid0(SALU_CYCLE_1) | instskip(NEXT) | instid1(VALU_DEP_1)
	s_and_not1_b32 s20, s20, s21
	s_min_i32 s19, s19, s55
	s_cmp_lg_u32 s20, 0
	s_cbranch_scc1 .LBB198_57
; %bb.58:                               ;   in Loop: Header=BB198_11 Depth=1
	v_mbcnt_lo_u32_b32 v12, exec_lo, 0
	s_mov_b32 s20, exec_lo
	s_delay_alu instid0(VALU_DEP_1)
	v_cmpx_eq_u32_e32 0, v12
	s_xor_b32 s20, exec_lo, s20
	s_cbranch_execz .LBB198_60
; %bb.59:                               ;   in Loop: Header=BB198_11 Depth=1
	v_mov_b32_e32 v12, s19
	ds_min_i32 v5, v12 offset:18432
.LBB198_60:                             ;   in Loop: Header=BB198_11 Depth=1
	s_or_b32 exec_lo, exec_lo, s18
	v_mov_b32_e32 v16, v0
	v_mov_b32_e32 v17, v36
	s_mov_b32 s19, 0
	s_waitcnt lgkmcnt(0)
	s_waitcnt_vscnt null, 0x0
	s_barrier
	buffer_gl0_inv
	s_branch .LBB198_62
.LBB198_61:                             ;   in Loop: Header=BB198_62 Depth=2
	s_or_b32 exec_lo, exec_lo, s18
	s_waitcnt lgkmcnt(0)
	s_waitcnt_vscnt null, 0x0
	s_barrier
	buffer_gl0_inv
	ds_load_b32 v12, v5 offset:60
	v_add_nc_u32_e32 v17, 0x200, v17
	v_add_nc_u32_e32 v16, 0x1000, v16
	s_delay_alu instid0(VALU_DEP_2) | instskip(SKIP_4) | instid1(VALU_DEP_1)
	v_cmp_lt_u32_e32 vcc_lo, 0x5ff, v17
	s_or_b32 s19, vcc_lo, s19
	s_waitcnt lgkmcnt(0)
	v_ashrrev_i32_e32 v13, 31, v12
	v_add_co_u32 v10, s18, v10, v12
	v_add_co_ci_u32_e64 v11, s18, v11, v13, s18
	s_and_not1_b32 exec_lo, exec_lo, s19
	s_cbranch_execz .LBB198_10
.LBB198_62:                             ;   Parent Loop BB198_11 Depth=1
                                        ; =>  This Inner Loop Header: Depth=2
	ds_load_u8 v14, v17 offset:16896
	ds_load_b64 v[12:13], v16
	s_waitcnt lgkmcnt(0)
	s_barrier
	buffer_gl0_inv
	v_cmp_ne_u16_e32 vcc_lo, 0, v14
	s_bcnt1_i32_b32 s18, vcc_lo
	s_delay_alu instid0(SALU_CYCLE_1)
	v_mov_b32_e32 v15, s18
	s_mov_b32 s18, exec_lo
	ds_store_b32 v35, v15
	s_waitcnt lgkmcnt(0)
	s_barrier
	buffer_gl0_inv
	ds_load_b128 v[18:21], v5
	ds_load_b128 v[22:25], v5 offset:16
	v_and_b32_e32 v15, vcc_lo, v9
	ds_load_b128 v[38:41], v5 offset:32
	s_waitcnt lgkmcnt(2)
	v_cndmask_b32_e64 v18, v18, 0, s3
	v_cndmask_b32_e64 v26, v19, 0, s4
	;; [unrolled: 1-line block ×4, first 2 shown]
	s_waitcnt lgkmcnt(1)
	v_cndmask_b32_e64 v22, v22, 0, s7
	v_bcnt_u32_b32 v15, v15, v18
	ds_load_b96 v[18:20], v5 offset:48
	v_cndmask_b32_e64 v23, v23, 0, s8
	v_cndmask_b32_e64 v24, v24, 0, s9
	v_add3_u32 v15, v15, v26, v27
	s_delay_alu instid0(VALU_DEP_1) | instskip(SKIP_3) | instid1(VALU_DEP_3)
	v_add3_u32 v15, v15, v21, v22
	v_cndmask_b32_e64 v21, v25, 0, s10
	s_waitcnt lgkmcnt(1)
	v_cndmask_b32_e64 v22, v38, 0, s11
	v_add3_u32 v15, v15, v23, v24
	v_cndmask_b32_e64 v23, v39, 0, s12
	v_cndmask_b32_e64 v24, v40, 0, s13
	s_delay_alu instid0(VALU_DEP_3)
	v_add3_u32 v15, v15, v21, v22
	v_cndmask_b32_e64 v21, v41, 0, s14
	s_waitcnt lgkmcnt(0)
	v_cndmask_b32_e64 v18, v18, 0, s15
	v_cndmask_b32_e64 v19, v19, 0, s16
	;; [unrolled: 1-line block ×3, first 2 shown]
	v_add3_u32 v15, v15, v23, v24
	s_delay_alu instid0(VALU_DEP_1) | instskip(SKIP_1) | instid1(VALU_DEP_2)
	v_add3_u32 v15, v15, v21, v18
	v_and_b32_e32 v18, 1, v14
	v_add3_u32 v14, v15, v19, v20
	s_delay_alu instid0(VALU_DEP_2)
	v_cmpx_eq_u32_e32 1, v18
	s_cbranch_execz .LBB198_64
; %bb.63:                               ;   in Loop: Header=BB198_62 Depth=2
	s_delay_alu instid0(VALU_DEP_2) | instskip(SKIP_1) | instid1(VALU_DEP_2)
	v_ashrrev_i32_e32 v15, 31, v14
	v_lshlrev_b64 v[18:19], 3, v[10:11]
	v_lshlrev_b64 v[20:21], 3, v[14:15]
	s_delay_alu instid0(VALU_DEP_2) | instskip(NEXT) | instid1(VALU_DEP_3)
	v_add_co_u32 v15, vcc_lo, s44, v18
	v_add_co_ci_u32_e32 v19, vcc_lo, s45, v19, vcc_lo
	s_delay_alu instid0(VALU_DEP_2) | instskip(NEXT) | instid1(VALU_DEP_2)
	v_add_co_u32 v18, vcc_lo, v15, v20
	v_add_co_ci_u32_e32 v19, vcc_lo, v19, v21, vcc_lo
	global_store_b64 v[18:19], v[12:13], off offset:-8
.LBB198_64:                             ;   in Loop: Header=BB198_62 Depth=2
	s_or_b32 exec_lo, exec_lo, s18
	s_and_saveexec_b32 s18, s2
	s_cbranch_execz .LBB198_61
; %bb.65:                               ;   in Loop: Header=BB198_62 Depth=2
	ds_store_b32 v5, v14 offset:60
	s_branch .LBB198_61
.LBB198_66:
	s_endpgm
	.section	.rodata,"a",@progbits
	.p2align	6, 0x0
	.amdhsa_kernel _ZN9rocsparseL51csrgemm_numeric_fill_block_per_row_multipass_kernelILj512ELj16ELj2048ELj32ElidEEvT4_PKS1_S3_NS_24const_host_device_scalarIT5_EEPKT3_S3_PKS5_S9_S3_SB_S6_S9_S3_SB_S9_S3_PS5_PS7_21rocsparse_index_base_SE_SE_SE_bbb
		.amdhsa_group_segment_fixed_size 18440
		.amdhsa_private_segment_fixed_size 0
		.amdhsa_kernarg_size 164
		.amdhsa_user_sgpr_count 15
		.amdhsa_user_sgpr_dispatch_ptr 0
		.amdhsa_user_sgpr_queue_ptr 0
		.amdhsa_user_sgpr_kernarg_segment_ptr 1
		.amdhsa_user_sgpr_dispatch_id 0
		.amdhsa_user_sgpr_private_segment_size 0
		.amdhsa_wavefront_size32 1
		.amdhsa_uses_dynamic_stack 0
		.amdhsa_enable_private_segment 0
		.amdhsa_system_sgpr_workgroup_id_x 1
		.amdhsa_system_sgpr_workgroup_id_y 0
		.amdhsa_system_sgpr_workgroup_id_z 0
		.amdhsa_system_sgpr_workgroup_info 0
		.amdhsa_system_vgpr_workitem_id 0
		.amdhsa_next_free_vgpr 45
		.amdhsa_next_free_sgpr 62
		.amdhsa_reserve_vcc 1
		.amdhsa_float_round_mode_32 0
		.amdhsa_float_round_mode_16_64 0
		.amdhsa_float_denorm_mode_32 3
		.amdhsa_float_denorm_mode_16_64 3
		.amdhsa_dx10_clamp 1
		.amdhsa_ieee_mode 1
		.amdhsa_fp16_overflow 0
		.amdhsa_workgroup_processor_mode 1
		.amdhsa_memory_ordered 1
		.amdhsa_forward_progress 0
		.amdhsa_shared_vgpr_count 0
		.amdhsa_exception_fp_ieee_invalid_op 0
		.amdhsa_exception_fp_denorm_src 0
		.amdhsa_exception_fp_ieee_div_zero 0
		.amdhsa_exception_fp_ieee_overflow 0
		.amdhsa_exception_fp_ieee_underflow 0
		.amdhsa_exception_fp_ieee_inexact 0
		.amdhsa_exception_int_div_zero 0
	.end_amdhsa_kernel
	.section	.text._ZN9rocsparseL51csrgemm_numeric_fill_block_per_row_multipass_kernelILj512ELj16ELj2048ELj32ElidEEvT4_PKS1_S3_NS_24const_host_device_scalarIT5_EEPKT3_S3_PKS5_S9_S3_SB_S6_S9_S3_SB_S9_S3_PS5_PS7_21rocsparse_index_base_SE_SE_SE_bbb,"axG",@progbits,_ZN9rocsparseL51csrgemm_numeric_fill_block_per_row_multipass_kernelILj512ELj16ELj2048ELj32ElidEEvT4_PKS1_S3_NS_24const_host_device_scalarIT5_EEPKT3_S3_PKS5_S9_S3_SB_S6_S9_S3_SB_S9_S3_PS5_PS7_21rocsparse_index_base_SE_SE_SE_bbb,comdat
.Lfunc_end198:
	.size	_ZN9rocsparseL51csrgemm_numeric_fill_block_per_row_multipass_kernelILj512ELj16ELj2048ELj32ElidEEvT4_PKS1_S3_NS_24const_host_device_scalarIT5_EEPKT3_S3_PKS5_S9_S3_SB_S6_S9_S3_SB_S9_S3_PS5_PS7_21rocsparse_index_base_SE_SE_SE_bbb, .Lfunc_end198-_ZN9rocsparseL51csrgemm_numeric_fill_block_per_row_multipass_kernelILj512ELj16ELj2048ELj32ElidEEvT4_PKS1_S3_NS_24const_host_device_scalarIT5_EEPKT3_S3_PKS5_S9_S3_SB_S6_S9_S3_SB_S9_S3_PS5_PS7_21rocsparse_index_base_SE_SE_SE_bbb
                                        ; -- End function
	.section	.AMDGPU.csdata,"",@progbits
; Kernel info:
; codeLenInByte = 3220
; NumSgprs: 64
; NumVgprs: 45
; ScratchSize: 0
; MemoryBound: 0
; FloatMode: 240
; IeeeMode: 1
; LDSByteSize: 18440 bytes/workgroup (compile time only)
; SGPRBlocks: 7
; VGPRBlocks: 5
; NumSGPRsForWavesPerEU: 64
; NumVGPRsForWavesPerEU: 45
; Occupancy: 16
; WaveLimiterHint : 1
; COMPUTE_PGM_RSRC2:SCRATCH_EN: 0
; COMPUTE_PGM_RSRC2:USER_SGPR: 15
; COMPUTE_PGM_RSRC2:TRAP_HANDLER: 0
; COMPUTE_PGM_RSRC2:TGID_X_EN: 1
; COMPUTE_PGM_RSRC2:TGID_Y_EN: 0
; COMPUTE_PGM_RSRC2:TGID_Z_EN: 0
; COMPUTE_PGM_RSRC2:TIDIG_COMP_CNT: 0
	.section	.text._ZN9rocsparseL51csrgemm_numeric_fill_block_per_row_multipass_kernelILj512ELj16ELj2048ELj64ElidEEvT4_PKS1_S3_NS_24const_host_device_scalarIT5_EEPKT3_S3_PKS5_S9_S3_SB_S6_S9_S3_SB_S9_S3_PS5_PS7_21rocsparse_index_base_SE_SE_SE_bbb,"axG",@progbits,_ZN9rocsparseL51csrgemm_numeric_fill_block_per_row_multipass_kernelILj512ELj16ELj2048ELj64ElidEEvT4_PKS1_S3_NS_24const_host_device_scalarIT5_EEPKT3_S3_PKS5_S9_S3_SB_S6_S9_S3_SB_S9_S3_PS5_PS7_21rocsparse_index_base_SE_SE_SE_bbb,comdat
	.globl	_ZN9rocsparseL51csrgemm_numeric_fill_block_per_row_multipass_kernelILj512ELj16ELj2048ELj64ElidEEvT4_PKS1_S3_NS_24const_host_device_scalarIT5_EEPKT3_S3_PKS5_S9_S3_SB_S6_S9_S3_SB_S9_S3_PS5_PS7_21rocsparse_index_base_SE_SE_SE_bbb ; -- Begin function _ZN9rocsparseL51csrgemm_numeric_fill_block_per_row_multipass_kernelILj512ELj16ELj2048ELj64ElidEEvT4_PKS1_S3_NS_24const_host_device_scalarIT5_EEPKT3_S3_PKS5_S9_S3_SB_S6_S9_S3_SB_S9_S3_PS5_PS7_21rocsparse_index_base_SE_SE_SE_bbb
	.p2align	8
	.type	_ZN9rocsparseL51csrgemm_numeric_fill_block_per_row_multipass_kernelILj512ELj16ELj2048ELj64ElidEEvT4_PKS1_S3_NS_24const_host_device_scalarIT5_EEPKT3_S3_PKS5_S9_S3_SB_S6_S9_S3_SB_S9_S3_PS5_PS7_21rocsparse_index_base_SE_SE_SE_bbb,@function
_ZN9rocsparseL51csrgemm_numeric_fill_block_per_row_multipass_kernelILj512ELj16ELj2048ELj64ElidEEvT4_PKS1_S3_NS_24const_host_device_scalarIT5_EEPKT3_S3_PKS5_S9_S3_SB_S6_S9_S3_SB_S9_S3_PS5_PS7_21rocsparse_index_base_SE_SE_SE_bbb: ; @_ZN9rocsparseL51csrgemm_numeric_fill_block_per_row_multipass_kernelILj512ELj16ELj2048ELj64ElidEEvT4_PKS1_S3_NS_24const_host_device_scalarIT5_EEPKT3_S3_PKS5_S9_S3_SB_S6_S9_S3_SB_S9_S3_PS5_PS7_21rocsparse_index_base_SE_SE_SE_bbb
; %bb.0:
	s_clause 0x4
	s_load_b32 s11, s[0:1], 0xa0
	s_load_b64 s[8:9], s[0:1], 0x18
	s_load_b128 s[4:7], s[0:1], 0x8
	s_load_b128 s[28:31], s[0:1], 0x90
	s_load_b64 s[2:3], s[0:1], 0x50
	s_waitcnt lgkmcnt(0)
	s_and_b32 s10, 1, s11
	s_bitcmp1_b32 s11, 16
	s_cselect_b32 s12, -1, 0
	s_cmp_eq_u32 s10, 1
	s_cselect_b32 s10, -1, 0
	s_delay_alu instid0(SALU_CYCLE_1)
	s_and_b32 s13, s10, exec_lo
	s_cselect_b32 s17, s9, 0
	s_cselect_b32 s16, s8, 0
	s_xor_b32 s13, s10, -1
	v_dual_mov_b32 v1, s16 :: v_dual_mov_b32 v2, s17
	s_or_b32 s13, s13, s12
	s_delay_alu instid0(SALU_CYCLE_1)
	s_and_b32 vcc_lo, exec_lo, s13
	s_cbranch_vccnz .LBB199_2
; %bb.1:
	v_dual_mov_b32 v1, s8 :: v_dual_mov_b32 v2, s9
	flat_load_b64 v[1:2], v[1:2]
.LBB199_2:
	s_load_b64 s[8:9], s[0:1], 0x20
	s_bitcmp1_b32 s11, 8
	s_cselect_b32 s33, -1, 0
	s_delay_alu instid0(SALU_CYCLE_1)
	s_and_b32 s11, s33, exec_lo
	s_cselect_b32 s17, s3, 0
	s_cselect_b32 s16, s2, 0
	s_xor_b32 s11, s33, -1
	v_dual_mov_b32 v3, s16 :: v_dual_mov_b32 v4, s17
	s_or_b32 s11, s11, s12
	s_delay_alu instid0(SALU_CYCLE_1)
	s_and_b32 vcc_lo, exec_lo, s11
	s_cbranch_vccnz .LBB199_4
; %bb.3:
	v_dual_mov_b32 v4, s3 :: v_dual_mov_b32 v3, s2
	flat_load_b64 v[3:4], v[3:4]
.LBB199_4:
	s_load_b32 s2, s[4:5], 0x0
	s_mov_b32 s3, 0
	s_mov_b64 s[34:35], 0
	s_mov_b64 s[4:5], 0
	s_waitcnt lgkmcnt(0)
	s_add_i32 s2, s2, s15
	s_delay_alu instid0(SALU_CYCLE_1) | instskip(NEXT) | instid1(SALU_CYCLE_1)
	s_lshl_b64 s[2:3], s[2:3], 2
	s_add_u32 s2, s6, s2
	s_addc_u32 s3, s7, s3
	s_and_not1_b32 vcc_lo, exec_lo, s10
	s_load_b32 s2, s[2:3], 0x0
	s_cbranch_vccz .LBB199_7
; %bb.5:
	s_and_not1_b32 vcc_lo, exec_lo, s10
	s_cbranch_vccz .LBB199_8
.LBB199_6:
	s_load_b32 s42, s[0:1], 0x0
	s_waitcnt lgkmcnt(0)
	s_cmp_lt_i32 s42, 1
	s_cbranch_scc0 .LBB199_9
	s_branch .LBB199_66
.LBB199_7:
	s_waitcnt lgkmcnt(0)
	s_ashr_i32 s3, s2, 31
	s_delay_alu instid0(SALU_CYCLE_1) | instskip(NEXT) | instid1(SALU_CYCLE_1)
	s_lshl_b64 s[4:5], s[2:3], 3
	s_add_u32 s4, s8, s4
	s_addc_u32 s5, s9, s5
	s_load_b64 s[4:5], s[4:5], 0x0
	s_waitcnt lgkmcnt(0)
	s_sub_u32 s4, s4, s28
	s_subb_u32 s5, s5, 0
	s_and_not1_b32 vcc_lo, exec_lo, s10
	s_cbranch_vccnz .LBB199_6
.LBB199_8:
	s_waitcnt lgkmcnt(0)
	s_ashr_i32 s3, s2, 31
	s_delay_alu instid0(SALU_CYCLE_1) | instskip(NEXT) | instid1(SALU_CYCLE_1)
	s_lshl_b64 s[6:7], s[2:3], 3
	s_add_u32 s6, s8, s6
	s_addc_u32 s7, s9, s7
	s_load_b64 s[6:7], s[6:7], 0x8
	s_waitcnt lgkmcnt(0)
	s_sub_u32 s34, s6, s28
	s_subb_u32 s35, s7, 0
	s_load_b32 s42, s[0:1], 0x0
	s_waitcnt lgkmcnt(0)
	s_cmp_lt_i32 s42, 1
	s_cbranch_scc1 .LBB199_66
.LBB199_9:
	s_clause 0x3
	s_load_b256 s[12:19], s[0:1], 0x58
	s_load_b128 s[36:39], s[0:1], 0x80
	s_load_b64 s[40:41], s[0:1], 0x48
	s_load_b256 s[20:27], s[0:1], 0x28
	v_mbcnt_lo_u32_b32 v9, -1, 0
	v_lshrrev_b32_e32 v6, 4, v0
	s_ashr_i32 s3, s2, 31
	v_sub_co_u32 v29, s1, v0, s31
	s_delay_alu instid0(VALU_DEP_3) | instskip(SKIP_3) | instid1(VALU_DEP_3)
	v_xor_b32_e32 v10, 8, v9
	s_lshl_b64 s[2:3], s[2:3], 3
	v_xor_b32_e32 v11, 4, v9
	v_sub_co_ci_u32_e64 v30, null, 0, 0, s1
	v_cmp_gt_i32_e32 vcc_lo, 32, v10
	v_add_co_u32 v7, s1, s4, v6
	s_delay_alu instid0(VALU_DEP_1)
	v_add_co_ci_u32_e64 v8, null, s5, 0, s1
	v_xor_b32_e32 v12, 2, v9
	s_waitcnt lgkmcnt(0)
	s_add_u32 s6, s18, s2
	s_addc_u32 s7, s19, s3
	v_cndmask_b32_e32 v10, v9, v10, vcc_lo
	s_load_b64 s[4:5], s[6:7], 0x0
	v_cmp_gt_i32_e32 vcc_lo, 32, v11
	v_xor_b32_e32 v13, 1, v9
	v_xor_b32_e32 v14, 63, v9
	v_dual_mov_b32 v5, 0 :: v_dual_and_b32 v28, 15, v0
	v_cndmask_b32_e32 v11, v9, v11, vcc_lo
	v_cmp_gt_i32_e32 vcc_lo, 32, v12
	v_cmp_eq_u32_e64 s0, 0, v0
	s_delay_alu instid0(VALU_DEP_4)
	v_cmp_eq_u32_e64 s1, 15, v28
	v_cmp_gt_u32_e64 s6, 0x100, v0
	v_cmp_gt_u32_e64 s7, 0x140, v0
	v_cndmask_b32_e32 v12, v9, v12, vcc_lo
	v_cmp_gt_i32_e32 vcc_lo, 32, v13
	v_cmp_gt_u32_e64 s8, 0x180, v0
	v_cmp_gt_u32_e64 s9, 0x1c0, v0
	v_or_b32_e32 v36, 0xfffffe00, v0
	v_lshlrev_b32_e32 v33, 2, v12
	v_lshlrev_b32_e32 v31, 2, v10
	v_cndmask_b32_e32 v9, v9, v13, vcc_lo
	v_cmp_gt_i64_e32 vcc_lo, s[34:35], v[7:8]
	s_waitcnt lgkmcnt(0)
	s_sub_u32 s46, s4, s30
	s_subb_u32 s47, s5, 0
	s_add_u32 s18, s12, s2
	v_lshlrev_b32_e32 v34, 2, v9
	v_lshlrev_b32_e32 v32, 2, v11
	v_lshrrev_b64 v[9:10], v14, -1
	v_dual_mov_b32 v10, s46 :: v_dual_and_b32 v35, 28, v6
	s_addc_u32 s19, s13, s3
	v_cmp_eq_u32_e64 s2, 0x1ff, v0
	v_cmp_gt_u32_e64 s3, 64, v0
	v_cmp_gt_u32_e64 s4, 0x80, v0
	;; [unrolled: 1-line block ×3, first 2 shown]
	v_dual_mov_b32 v39, 0x800 :: v_dual_lshlrev_b32 v0, 3, v0
	v_dual_mov_b32 v11, s47 :: v_dual_mov_b32 v6, v5
	v_dual_mov_b32 v37, 1 :: v_dual_mov_b32 v38, v5
	s_and_b32 s30, s10, vcc_lo
	s_add_u32 s45, s24, 8
	s_mov_b32 s43, s29
	s_mov_b32 s44, s31
	s_addc_u32 s46, s25, 0
	s_branch .LBB199_11
.LBB199_10:                             ;   in Loop: Header=BB199_11 Depth=1
	s_or_b32 exec_lo, exec_lo, s11
	ds_load_b32 v38, v5 offset:18432
	s_waitcnt lgkmcnt(0)
	s_barrier
	buffer_gl0_inv
	v_cmp_le_i32_e32 vcc_lo, s42, v38
	v_add_nc_u32_e32 v39, 0x800, v38
	s_cbranch_vccnz .LBB199_66
.LBB199_11:                             ; =>This Loop Header: Depth=1
                                        ;     Child Loop BB199_12 Depth 2
                                        ;     Child Loop BB199_18 Depth 2
                                        ;       Child Loop BB199_24 Depth 3
                                        ;         Child Loop BB199_28 Depth 4
                                        ;     Child Loop BB199_43 Depth 2
                                        ;       Child Loop BB199_47 Depth 3
                                        ;     Child Loop BB199_57 Depth 2
                                        ;     Child Loop BB199_62 Depth 2
	v_mov_b32_e32 v12, v0
	v_mov_b32_e32 v13, v36
	s_mov_b32 s10, 0
.LBB199_12:                             ;   Parent Loop BB199_11 Depth=1
                                        ; =>  This Inner Loop Header: Depth=2
	ds_store_b8 v13, v5 offset:16896
	v_add_nc_u32_e32 v13, 0x200, v13
	ds_store_b64 v12, v[5:6]
	v_add_nc_u32_e32 v12, 0x1000, v12
	v_cmp_lt_u32_e32 vcc_lo, 0x5ff, v13
	s_or_b32 s10, vcc_lo, s10
	s_delay_alu instid0(SALU_CYCLE_1)
	s_and_not1_b32 exec_lo, exec_lo, s10
	s_cbranch_execnz .LBB199_12
; %bb.13:                               ;   in Loop: Header=BB199_11 Depth=1
	s_or_b32 exec_lo, exec_lo, s10
	s_and_saveexec_b32 s10, s0
	s_cbranch_execz .LBB199_15
; %bb.14:                               ;   in Loop: Header=BB199_11 Depth=1
	v_mov_b32_e32 v12, s42
	ds_store_b32 v5, v12 offset:18432
.LBB199_15:                             ;   in Loop: Header=BB199_11 Depth=1
	s_or_b32 exec_lo, exec_lo, s10
	v_mov_b32_e32 v40, s42
	s_waitcnt vmcnt(0) lgkmcnt(0)
	s_barrier
	buffer_gl0_inv
	s_and_saveexec_b32 s13, s30
	s_cbranch_execz .LBB199_39
; %bb.16:                               ;   in Loop: Header=BB199_11 Depth=1
	v_dual_mov_b32 v40, s42 :: v_dual_mov_b32 v13, v8
	v_cmp_ne_u32_e64 s10, 0, v38
	v_mov_b32_e32 v12, v7
	s_mov_b32 s47, 0
	s_branch .LBB199_18
.LBB199_17:                             ;   in Loop: Header=BB199_18 Depth=2
	s_or_b32 exec_lo, exec_lo, s12
	v_add_co_u32 v12, vcc_lo, v12, 32
	v_add_co_ci_u32_e32 v13, vcc_lo, 0, v13, vcc_lo
	s_delay_alu instid0(VALU_DEP_1) | instskip(SKIP_1) | instid1(SALU_CYCLE_1)
	v_cmp_le_i64_e32 vcc_lo, s[34:35], v[12:13]
	s_or_b32 s47, vcc_lo, s47
	s_and_not1_b32 exec_lo, exec_lo, s47
	s_cbranch_execz .LBB199_38
.LBB199_18:                             ;   Parent Loop BB199_11 Depth=1
                                        ; =>  This Loop Header: Depth=2
                                        ;       Child Loop BB199_24 Depth 3
                                        ;         Child Loop BB199_28 Depth 4
	s_delay_alu instid0(VALU_DEP_1) | instskip(NEXT) | instid1(VALU_DEP_1)
	v_lshlrev_b64 v[14:15], 2, v[12:13]
	v_add_co_u32 v16, vcc_lo, s20, v14
	s_delay_alu instid0(VALU_DEP_2)
	v_add_co_ci_u32_e32 v17, vcc_lo, s21, v15, vcc_lo
	v_lshlrev_b64 v[14:15], 3, v[12:13]
	s_waitcnt lgkmcnt(0)
	global_load_b32 v18, v[16:17], off
	v_add_co_u32 v16, vcc_lo, s22, v14
	v_add_co_ci_u32_e32 v17, vcc_lo, s23, v15, vcc_lo
	s_and_b32 vcc_lo, exec_lo, s10
	global_load_b64 v[20:21], v[16:17], off
	s_waitcnt vmcnt(1)
	v_subrev_nc_u32_e32 v16, s28, v18
	s_delay_alu instid0(VALU_DEP_1)
	v_ashrrev_i32_e32 v17, 31, v16
	s_cbranch_vccz .LBB199_37
; %bb.19:                               ;   in Loop: Header=BB199_18 Depth=2
	v_add_co_u32 v18, vcc_lo, s38, v14
	v_add_co_ci_u32_e32 v19, vcc_lo, s39, v15, vcc_lo
	global_load_b64 v[22:23], v[18:19], off
	s_cbranch_execnz .LBB199_21
.LBB199_20:                             ;   in Loop: Header=BB199_18 Depth=2
	s_delay_alu instid0(VALU_DEP_1) | instskip(NEXT) | instid1(VALU_DEP_1)
	v_lshlrev_b64 v[18:19], 3, v[16:17]
	v_add_co_u32 v18, vcc_lo, s24, v18
	s_delay_alu instid0(VALU_DEP_2)
	v_add_co_ci_u32_e32 v19, vcc_lo, s25, v19, vcc_lo
	global_load_b64 v[18:19], v[18:19], off
	s_waitcnt vmcnt(0)
	v_sub_co_u32 v22, vcc_lo, v18, s43
	v_subrev_co_ci_u32_e32 v23, vcc_lo, 0, v19, vcc_lo
.LBB199_21:                             ;   in Loop: Header=BB199_18 Depth=2
	v_lshlrev_b64 v[16:17], 3, v[16:17]
	s_mov_b32 s48, exec_lo
	s_delay_alu instid0(VALU_DEP_1) | instskip(NEXT) | instid1(VALU_DEP_2)
	v_add_co_u32 v16, vcc_lo, s45, v16
	v_add_co_ci_u32_e32 v17, vcc_lo, s46, v17, vcc_lo
	global_load_b64 v[16:17], v[16:17], off
	s_waitcnt vmcnt(0)
	v_sub_co_u32 v18, vcc_lo, v16, s43
	v_subrev_co_ci_u32_e32 v19, vcc_lo, 0, v17, vcc_lo
	v_add_co_u32 v16, vcc_lo, v22, v28
	v_add_co_ci_u32_e32 v17, vcc_lo, 0, v23, vcc_lo
	s_delay_alu instid0(VALU_DEP_1)
	v_cmpx_lt_i64_e64 v[16:17], v[18:19]
	s_cbranch_execz .LBB199_35
; %bb.22:                               ;   in Loop: Header=BB199_18 Depth=2
	v_mul_f64 v[20:21], v[1:2], v[20:21]
	v_dual_mov_b32 v23, v17 :: v_dual_mov_b32 v22, v16
	s_mov_b32 s50, 0
                                        ; implicit-def: $sgpr49
                                        ; implicit-def: $sgpr51
	s_branch .LBB199_24
.LBB199_23:                             ;   in Loop: Header=BB199_24 Depth=3
	s_or_b32 exec_lo, exec_lo, s12
	s_delay_alu instid0(SALU_CYCLE_1) | instskip(SKIP_4) | instid1(SALU_CYCLE_1)
	s_and_b32 s11, exec_lo, s52
	v_dual_mov_b32 v22, v26 :: v_dual_mov_b32 v23, v27
	s_or_b32 s50, s11, s50
	s_and_not1_b32 s11, s49, exec_lo
	s_and_b32 s12, s51, exec_lo
	s_or_b32 s49, s11, s12
	s_and_not1_b32 exec_lo, exec_lo, s50
	s_cbranch_execz .LBB199_32
.LBB199_24:                             ;   Parent Loop BB199_11 Depth=1
                                        ;     Parent Loop BB199_18 Depth=2
                                        ; =>    This Loop Header: Depth=3
                                        ;         Child Loop BB199_28 Depth 4
	s_delay_alu instid0(VALU_DEP_1) | instskip(NEXT) | instid1(VALU_DEP_1)
	v_lshlrev_b64 v[24:25], 2, v[22:23]
	v_add_co_u32 v24, vcc_lo, s26, v24
	s_delay_alu instid0(VALU_DEP_2) | instskip(SKIP_3) | instid1(VALU_DEP_1)
	v_add_co_ci_u32_e32 v25, vcc_lo, s27, v25, vcc_lo
	global_load_b32 v24, v[24:25], off
	s_waitcnt vmcnt(0)
	v_subrev_nc_u32_e32 v41, s29, v24
	v_cmp_lt_i32_e64 s11, v41, v38
	v_cmp_ge_i32_e64 s12, v41, v39
	v_cmp_lt_i32_e32 vcc_lo, v41, v39
	s_delay_alu instid0(VALU_DEP_2) | instskip(SKIP_2) | instid1(SALU_CYCLE_1)
	s_or_b32 s52, s11, s12
	s_mov_b32 s11, 0
                                        ; implicit-def: $sgpr12
	s_and_saveexec_b32 s53, s52
	s_xor_b32 s52, exec_lo, s53
; %bb.25:                               ;   in Loop: Header=BB199_24 Depth=3
	s_mov_b32 s12, -1
	s_and_b32 s11, vcc_lo, exec_lo
; %bb.26:                               ;   in Loop: Header=BB199_24 Depth=3
	s_and_not1_saveexec_b32 s52, s52
	s_cbranch_execz .LBB199_30
; %bb.27:                               ;   in Loop: Header=BB199_24 Depth=3
	v_lshlrev_b64 v[24:25], 3, v[22:23]
	v_sub_nc_u32_e32 v26, v41, v38
	s_mov_b32 s53, 0
	s_delay_alu instid0(VALU_DEP_1) | instskip(NEXT) | instid1(VALU_DEP_3)
	v_lshlrev_b32_e32 v42, 3, v26
	v_add_co_u32 v24, vcc_lo, s40, v24
	s_delay_alu instid0(VALU_DEP_4)
	v_add_co_ci_u32_e32 v25, vcc_lo, s41, v25, vcc_lo
	ds_store_b8 v26, v37 offset:16384
	ds_load_b64 v[26:27], v42
	global_load_b64 v[24:25], v[24:25], off
	s_waitcnt vmcnt(0)
	v_mul_f64 v[24:25], v[20:21], v[24:25]
.LBB199_28:                             ;   Parent Loop BB199_11 Depth=1
                                        ;     Parent Loop BB199_18 Depth=2
                                        ;       Parent Loop BB199_24 Depth=3
                                        ; =>      This Inner Loop Header: Depth=4
	s_waitcnt lgkmcnt(0)
	s_delay_alu instid0(VALU_DEP_1)
	v_add_f64 v[43:44], v[26:27], v[24:25]
	ds_cmpstore_rtn_b64 v[43:44], v42, v[43:44], v[26:27]
	s_waitcnt lgkmcnt(0)
	v_cmp_eq_u64_e32 vcc_lo, v[43:44], v[26:27]
	v_dual_mov_b32 v26, v43 :: v_dual_mov_b32 v27, v44
	s_or_b32 s53, vcc_lo, s53
	s_delay_alu instid0(SALU_CYCLE_1)
	s_and_not1_b32 exec_lo, exec_lo, s53
	s_cbranch_execnz .LBB199_28
; %bb.29:                               ;   in Loop: Header=BB199_24 Depth=3
	s_or_b32 exec_lo, exec_lo, s53
	s_delay_alu instid0(SALU_CYCLE_1)
	s_or_b32 s11, s11, exec_lo
.LBB199_30:                             ;   in Loop: Header=BB199_24 Depth=3
	s_or_b32 exec_lo, exec_lo, s52
	v_dual_mov_b32 v25, v23 :: v_dual_mov_b32 v24, v22
	s_and_not1_b32 s51, s51, exec_lo
	s_and_b32 s12, s12, exec_lo
	s_mov_b32 s52, -1
	s_or_b32 s51, s51, s12
                                        ; implicit-def: $vgpr26_vgpr27
	s_and_saveexec_b32 s12, s11
	s_cbranch_execz .LBB199_23
; %bb.31:                               ;   in Loop: Header=BB199_24 Depth=3
	v_add_co_u32 v26, vcc_lo, v22, 16
	v_add_co_ci_u32_e32 v27, vcc_lo, 0, v23, vcc_lo
	v_dual_mov_b32 v25, v23 :: v_dual_mov_b32 v24, v22
	s_and_not1_b32 s51, s51, exec_lo
	s_delay_alu instid0(VALU_DEP_2)
	v_cmp_ge_i64_e32 vcc_lo, v[26:27], v[18:19]
	s_or_not1_b32 s52, vcc_lo, exec_lo
	s_branch .LBB199_23
.LBB199_32:                             ;   in Loop: Header=BB199_18 Depth=2
	s_or_b32 exec_lo, exec_lo, s50
	s_and_saveexec_b32 s11, s49
	s_delay_alu instid0(SALU_CYCLE_1)
	s_xor_b32 s11, exec_lo, s11
; %bb.33:                               ;   in Loop: Header=BB199_18 Depth=2
	v_min_i32_e32 v40, v41, v40
	v_dual_mov_b32 v16, v24 :: v_dual_mov_b32 v17, v25
; %bb.34:                               ;   in Loop: Header=BB199_18 Depth=2
	s_or_b32 exec_lo, exec_lo, s11
.LBB199_35:                             ;   in Loop: Header=BB199_18 Depth=2
	s_delay_alu instid0(SALU_CYCLE_1)
	s_or_b32 exec_lo, exec_lo, s48
	ds_bpermute_b32 v18, v31, v16
	ds_bpermute_b32 v19, v31, v17
	s_waitcnt lgkmcnt(0)
	v_cmp_lt_i64_e32 vcc_lo, v[18:19], v[16:17]
	v_dual_cndmask_b32 v17, v17, v19 :: v_dual_cndmask_b32 v16, v16, v18
	ds_bpermute_b32 v19, v32, v17
	ds_bpermute_b32 v18, v32, v16
	s_waitcnt lgkmcnt(0)
	v_cmp_lt_i64_e32 vcc_lo, v[18:19], v[16:17]
	v_dual_cndmask_b32 v17, v17, v19 :: v_dual_cndmask_b32 v16, v16, v18
	;; [unrolled: 5-line block ×3, first 2 shown]
	ds_bpermute_b32 v19, v34, v17
	ds_bpermute_b32 v18, v34, v16
	s_and_saveexec_b32 s12, s1
	s_cbranch_execz .LBB199_17
; %bb.36:                               ;   in Loop: Header=BB199_18 Depth=2
	s_waitcnt lgkmcnt(0)
	v_cmp_lt_i64_e32 vcc_lo, v[18:19], v[16:17]
	v_add_co_u32 v14, s11, s38, v14
	s_delay_alu instid0(VALU_DEP_1)
	v_add_co_ci_u32_e64 v15, s11, s39, v15, s11
	v_dual_cndmask_b32 v17, v17, v19 :: v_dual_cndmask_b32 v16, v16, v18
	global_store_b64 v[14:15], v[16:17], off
	s_branch .LBB199_17
.LBB199_37:                             ;   in Loop: Header=BB199_18 Depth=2
                                        ; implicit-def: $vgpr22_vgpr23
	s_branch .LBB199_20
.LBB199_38:                             ;   in Loop: Header=BB199_11 Depth=1
	s_or_b32 exec_lo, exec_lo, s47
.LBB199_39:                             ;   in Loop: Header=BB199_11 Depth=1
	s_delay_alu instid0(SALU_CYCLE_1) | instskip(NEXT) | instid1(SALU_CYCLE_1)
	s_or_b32 exec_lo, exec_lo, s13
	s_and_not1_b32 vcc_lo, exec_lo, s33
	s_cbranch_vccnz .LBB199_55
; %bb.40:                               ;   in Loop: Header=BB199_11 Depth=1
	s_load_b128 s[48:51], s[18:19], 0x0
	s_mov_b32 s47, exec_lo
	s_waitcnt lgkmcnt(0)
	v_add_co_u32 v12, vcc_lo, s48, v29
	v_add_co_ci_u32_e32 v13, vcc_lo, s49, v30, vcc_lo
	s_sub_u32 s12, s50, s44
	s_subb_u32 s13, s51, 0
	s_delay_alu instid0(VALU_DEP_1) | instid1(SALU_CYCLE_1)
	v_cmpx_gt_i64_e64 s[12:13], v[12:13]
	s_cbranch_execz .LBB199_54
; %bb.41:                               ;   in Loop: Header=BB199_11 Depth=1
	s_mov_b32 s48, 0
                                        ; implicit-def: $sgpr49
                                        ; implicit-def: $sgpr50
	s_branch .LBB199_43
.LBB199_42:                             ;   in Loop: Header=BB199_43 Depth=2
	s_or_b32 exec_lo, exec_lo, s51
	s_delay_alu instid0(SALU_CYCLE_1) | instskip(NEXT) | instid1(SALU_CYCLE_1)
	s_and_b32 s10, exec_lo, s11
	s_or_b32 s48, s10, s48
	s_and_not1_b32 s10, s49, exec_lo
	s_and_b32 s11, s50, exec_lo
	s_delay_alu instid0(SALU_CYCLE_1)
	s_or_b32 s49, s10, s11
	s_and_not1_b32 exec_lo, exec_lo, s48
	s_cbranch_execz .LBB199_51
.LBB199_43:                             ;   Parent Loop BB199_11 Depth=1
                                        ; =>  This Loop Header: Depth=2
                                        ;       Child Loop BB199_47 Depth 3
	v_lshlrev_b64 v[14:15], 2, v[12:13]
	s_delay_alu instid0(VALU_DEP_1) | instskip(NEXT) | instid1(VALU_DEP_2)
	v_add_co_u32 v14, vcc_lo, s14, v14
	v_add_co_ci_u32_e32 v15, vcc_lo, s15, v15, vcc_lo
	global_load_b32 v14, v[14:15], off
	s_waitcnt vmcnt(0)
	v_subrev_nc_u32_e32 v18, s31, v14
	s_delay_alu instid0(VALU_DEP_1) | instskip(SKIP_2) | instid1(VALU_DEP_2)
	v_cmp_lt_i32_e64 s10, v18, v38
	v_cmp_ge_i32_e64 s11, v18, v39
	v_cmp_lt_i32_e32 vcc_lo, v18, v39
	s_or_b32 s51, s10, s11
	s_mov_b32 s10, 0
                                        ; implicit-def: $sgpr11
	s_and_saveexec_b32 s52, s51
	s_delay_alu instid0(SALU_CYCLE_1)
	s_xor_b32 s51, exec_lo, s52
; %bb.44:                               ;   in Loop: Header=BB199_43 Depth=2
	s_mov_b32 s11, -1
	s_and_b32 s10, vcc_lo, exec_lo
; %bb.45:                               ;   in Loop: Header=BB199_43 Depth=2
	s_and_not1_saveexec_b32 s51, s51
	s_cbranch_execz .LBB199_49
; %bb.46:                               ;   in Loop: Header=BB199_43 Depth=2
	v_lshlrev_b64 v[14:15], 3, v[12:13]
	v_sub_nc_u32_e32 v16, v18, v38
	s_mov_b32 s52, 0
	s_delay_alu instid0(VALU_DEP_1) | instskip(NEXT) | instid1(VALU_DEP_3)
	v_lshlrev_b32_e32 v19, 3, v16
	v_add_co_u32 v14, vcc_lo, s16, v14
	s_delay_alu instid0(VALU_DEP_4)
	v_add_co_ci_u32_e32 v15, vcc_lo, s17, v15, vcc_lo
	ds_store_b8 v16, v37 offset:16384
	ds_load_b64 v[16:17], v19
	global_load_b64 v[14:15], v[14:15], off
	s_waitcnt vmcnt(0)
	v_mul_f64 v[14:15], v[3:4], v[14:15]
.LBB199_47:                             ;   Parent Loop BB199_11 Depth=1
                                        ;     Parent Loop BB199_43 Depth=2
                                        ; =>    This Inner Loop Header: Depth=3
	s_waitcnt lgkmcnt(0)
	s_delay_alu instid0(VALU_DEP_1)
	v_add_f64 v[20:21], v[16:17], v[14:15]
	ds_cmpstore_rtn_b64 v[20:21], v19, v[20:21], v[16:17]
	s_waitcnt lgkmcnt(0)
	v_cmp_eq_u64_e32 vcc_lo, v[20:21], v[16:17]
	v_dual_mov_b32 v16, v20 :: v_dual_mov_b32 v17, v21
	s_or_b32 s52, vcc_lo, s52
	s_delay_alu instid0(SALU_CYCLE_1)
	s_and_not1_b32 exec_lo, exec_lo, s52
	s_cbranch_execnz .LBB199_47
; %bb.48:                               ;   in Loop: Header=BB199_43 Depth=2
	s_or_b32 exec_lo, exec_lo, s52
	s_delay_alu instid0(SALU_CYCLE_1)
	s_or_b32 s10, s10, exec_lo
.LBB199_49:                             ;   in Loop: Header=BB199_43 Depth=2
	s_or_b32 exec_lo, exec_lo, s51
	s_delay_alu instid0(SALU_CYCLE_1)
	s_and_not1_b32 s50, s50, exec_lo
	s_and_b32 s51, s11, exec_lo
	s_mov_b32 s11, -1
	s_or_b32 s50, s50, s51
	s_and_saveexec_b32 s51, s10
	s_cbranch_execz .LBB199_42
; %bb.50:                               ;   in Loop: Header=BB199_43 Depth=2
	v_add_co_u32 v12, vcc_lo, 0x200, v12
	v_add_co_ci_u32_e32 v13, vcc_lo, 0, v13, vcc_lo
	s_and_not1_b32 s50, s50, exec_lo
	s_delay_alu instid0(VALU_DEP_1)
	v_cmp_le_i64_e32 vcc_lo, s[12:13], v[12:13]
	s_or_not1_b32 s11, vcc_lo, exec_lo
	s_branch .LBB199_42
.LBB199_51:                             ;   in Loop: Header=BB199_11 Depth=1
	s_or_b32 exec_lo, exec_lo, s48
	s_and_saveexec_b32 s10, s49
	s_delay_alu instid0(SALU_CYCLE_1)
	s_xor_b32 s10, exec_lo, s10
; %bb.52:                               ;   in Loop: Header=BB199_11 Depth=1
	v_min_i32_e32 v40, v18, v40
; %bb.53:                               ;   in Loop: Header=BB199_11 Depth=1
	s_or_b32 exec_lo, exec_lo, s10
.LBB199_54:                             ;   in Loop: Header=BB199_11 Depth=1
	s_delay_alu instid0(SALU_CYCLE_1)
	s_or_b32 exec_lo, exec_lo, s47
.LBB199_55:                             ;   in Loop: Header=BB199_11 Depth=1
	ds_bpermute_b32 v12, v31, v40
	s_waitcnt lgkmcnt(0)
	v_min_i32_e32 v12, v12, v40
	ds_bpermute_b32 v13, v32, v12
	s_waitcnt lgkmcnt(0)
	v_min_i32_e32 v12, v13, v12
	;; [unrolled: 3-line block ×3, first 2 shown]
	ds_bpermute_b32 v13, v34, v12
	s_and_saveexec_b32 s10, s1
	s_cbranch_execz .LBB199_60
; %bb.56:                               ;   in Loop: Header=BB199_11 Depth=1
	s_waitcnt lgkmcnt(0)
	v_min_i32_e32 v12, v13, v12
	s_mov_b32 s12, exec_lo
	s_brev_b32 s11, -2
.LBB199_57:                             ;   Parent Loop BB199_11 Depth=1
                                        ; =>  This Inner Loop Header: Depth=2
	s_ctz_i32_b32 s13, s12
	s_delay_alu instid0(VALU_DEP_1) | instid1(SALU_CYCLE_1)
	v_readlane_b32 s47, v12, s13
	s_lshl_b32 s13, 1, s13
	s_delay_alu instid0(SALU_CYCLE_1) | instskip(NEXT) | instid1(VALU_DEP_1)
	s_and_not1_b32 s12, s12, s13
	s_min_i32 s11, s11, s47
	s_cmp_lg_u32 s12, 0
	s_cbranch_scc1 .LBB199_57
; %bb.58:                               ;   in Loop: Header=BB199_11 Depth=1
	v_mbcnt_lo_u32_b32 v12, exec_lo, 0
	s_mov_b32 s12, exec_lo
	s_delay_alu instid0(VALU_DEP_1)
	v_cmpx_eq_u32_e32 0, v12
	s_xor_b32 s12, exec_lo, s12
	s_cbranch_execz .LBB199_60
; %bb.59:                               ;   in Loop: Header=BB199_11 Depth=1
	v_mov_b32_e32 v12, s11
	ds_min_i32 v5, v12 offset:18432
.LBB199_60:                             ;   in Loop: Header=BB199_11 Depth=1
	s_or_b32 exec_lo, exec_lo, s10
	v_mov_b32_e32 v16, v0
	v_mov_b32_e32 v17, v36
	s_mov_b32 s11, 0
	s_waitcnt lgkmcnt(0)
	s_waitcnt_vscnt null, 0x0
	s_barrier
	buffer_gl0_inv
	s_branch .LBB199_62
.LBB199_61:                             ;   in Loop: Header=BB199_62 Depth=2
	s_or_b32 exec_lo, exec_lo, s10
	s_waitcnt lgkmcnt(0)
	s_waitcnt_vscnt null, 0x0
	s_barrier
	buffer_gl0_inv
	ds_load_b32 v12, v5 offset:28
	v_add_nc_u32_e32 v17, 0x200, v17
	v_add_nc_u32_e32 v16, 0x1000, v16
	s_delay_alu instid0(VALU_DEP_2) | instskip(SKIP_4) | instid1(VALU_DEP_1)
	v_cmp_lt_u32_e32 vcc_lo, 0x5ff, v17
	s_or_b32 s11, vcc_lo, s11
	s_waitcnt lgkmcnt(0)
	v_ashrrev_i32_e32 v13, 31, v12
	v_add_co_u32 v10, s10, v10, v12
	v_add_co_ci_u32_e64 v11, s10, v11, v13, s10
	s_and_not1_b32 exec_lo, exec_lo, s11
	s_cbranch_execz .LBB199_10
.LBB199_62:                             ;   Parent Loop BB199_11 Depth=1
                                        ; =>  This Inner Loop Header: Depth=2
	ds_load_u8 v14, v17 offset:16896
	ds_load_b64 v[12:13], v16
	s_waitcnt lgkmcnt(0)
	s_barrier
	buffer_gl0_inv
	v_cmp_ne_u16_e32 vcc_lo, 0, v14
	s_bcnt1_i32_b32 s10, vcc_lo
	s_delay_alu instid0(SALU_CYCLE_1)
	v_mov_b32_e32 v15, s10
	s_mov_b32 s10, exec_lo
	ds_store_b32 v35, v15
	s_waitcnt lgkmcnt(0)
	s_barrier
	buffer_gl0_inv
	ds_load_b128 v[18:21], v5
	ds_load_b96 v[22:24], v5 offset:16
	v_and_b32_e32 v15, vcc_lo, v9
	s_waitcnt lgkmcnt(1)
	v_cndmask_b32_e64 v18, v18, 0, s3
	v_cndmask_b32_e64 v19, v19, 0, s4
	;; [unrolled: 1-line block ×3, first 2 shown]
	s_delay_alu instid0(VALU_DEP_3) | instskip(SKIP_3) | instid1(VALU_DEP_3)
	v_bcnt_u32_b32 v15, v15, v18
	v_cndmask_b32_e64 v18, v21, 0, s6
	s_waitcnt lgkmcnt(0)
	v_cndmask_b32_e64 v21, v22, 0, s7
	v_add3_u32 v15, v15, v19, v20
	v_cndmask_b32_e64 v19, v23, 0, s8
	v_cndmask_b32_e64 v20, v24, 0, s9
	s_delay_alu instid0(VALU_DEP_3) | instskip(SKIP_1) | instid1(VALU_DEP_2)
	v_add3_u32 v15, v15, v18, v21
	v_and_b32_e32 v18, 1, v14
	v_add3_u32 v14, v15, v19, v20
	s_delay_alu instid0(VALU_DEP_2)
	v_cmpx_eq_u32_e32 1, v18
	s_cbranch_execz .LBB199_64
; %bb.63:                               ;   in Loop: Header=BB199_62 Depth=2
	s_delay_alu instid0(VALU_DEP_2) | instskip(SKIP_1) | instid1(VALU_DEP_2)
	v_ashrrev_i32_e32 v15, 31, v14
	v_lshlrev_b64 v[18:19], 3, v[10:11]
	v_lshlrev_b64 v[20:21], 3, v[14:15]
	s_delay_alu instid0(VALU_DEP_2) | instskip(NEXT) | instid1(VALU_DEP_3)
	v_add_co_u32 v15, vcc_lo, s36, v18
	v_add_co_ci_u32_e32 v19, vcc_lo, s37, v19, vcc_lo
	s_delay_alu instid0(VALU_DEP_2) | instskip(NEXT) | instid1(VALU_DEP_2)
	v_add_co_u32 v18, vcc_lo, v15, v20
	v_add_co_ci_u32_e32 v19, vcc_lo, v19, v21, vcc_lo
	global_store_b64 v[18:19], v[12:13], off offset:-8
.LBB199_64:                             ;   in Loop: Header=BB199_62 Depth=2
	s_or_b32 exec_lo, exec_lo, s10
	s_and_saveexec_b32 s10, s2
	s_cbranch_execz .LBB199_61
; %bb.65:                               ;   in Loop: Header=BB199_62 Depth=2
	ds_store_b32 v5, v14 offset:28
	s_branch .LBB199_61
.LBB199_66:
	s_endpgm
	.section	.rodata,"a",@progbits
	.p2align	6, 0x0
	.amdhsa_kernel _ZN9rocsparseL51csrgemm_numeric_fill_block_per_row_multipass_kernelILj512ELj16ELj2048ELj64ElidEEvT4_PKS1_S3_NS_24const_host_device_scalarIT5_EEPKT3_S3_PKS5_S9_S3_SB_S6_S9_S3_SB_S9_S3_PS5_PS7_21rocsparse_index_base_SE_SE_SE_bbb
		.amdhsa_group_segment_fixed_size 18440
		.amdhsa_private_segment_fixed_size 0
		.amdhsa_kernarg_size 164
		.amdhsa_user_sgpr_count 15
		.amdhsa_user_sgpr_dispatch_ptr 0
		.amdhsa_user_sgpr_queue_ptr 0
		.amdhsa_user_sgpr_kernarg_segment_ptr 1
		.amdhsa_user_sgpr_dispatch_id 0
		.amdhsa_user_sgpr_private_segment_size 0
		.amdhsa_wavefront_size32 1
		.amdhsa_uses_dynamic_stack 0
		.amdhsa_enable_private_segment 0
		.amdhsa_system_sgpr_workgroup_id_x 1
		.amdhsa_system_sgpr_workgroup_id_y 0
		.amdhsa_system_sgpr_workgroup_id_z 0
		.amdhsa_system_sgpr_workgroup_info 0
		.amdhsa_system_vgpr_workitem_id 0
		.amdhsa_next_free_vgpr 45
		.amdhsa_next_free_sgpr 54
		.amdhsa_reserve_vcc 1
		.amdhsa_float_round_mode_32 0
		.amdhsa_float_round_mode_16_64 0
		.amdhsa_float_denorm_mode_32 3
		.amdhsa_float_denorm_mode_16_64 3
		.amdhsa_dx10_clamp 1
		.amdhsa_ieee_mode 1
		.amdhsa_fp16_overflow 0
		.amdhsa_workgroup_processor_mode 1
		.amdhsa_memory_ordered 1
		.amdhsa_forward_progress 0
		.amdhsa_shared_vgpr_count 0
		.amdhsa_exception_fp_ieee_invalid_op 0
		.amdhsa_exception_fp_denorm_src 0
		.amdhsa_exception_fp_ieee_div_zero 0
		.amdhsa_exception_fp_ieee_overflow 0
		.amdhsa_exception_fp_ieee_underflow 0
		.amdhsa_exception_fp_ieee_inexact 0
		.amdhsa_exception_int_div_zero 0
	.end_amdhsa_kernel
	.section	.text._ZN9rocsparseL51csrgemm_numeric_fill_block_per_row_multipass_kernelILj512ELj16ELj2048ELj64ElidEEvT4_PKS1_S3_NS_24const_host_device_scalarIT5_EEPKT3_S3_PKS5_S9_S3_SB_S6_S9_S3_SB_S9_S3_PS5_PS7_21rocsparse_index_base_SE_SE_SE_bbb,"axG",@progbits,_ZN9rocsparseL51csrgemm_numeric_fill_block_per_row_multipass_kernelILj512ELj16ELj2048ELj64ElidEEvT4_PKS1_S3_NS_24const_host_device_scalarIT5_EEPKT3_S3_PKS5_S9_S3_SB_S6_S9_S3_SB_S9_S3_PS5_PS7_21rocsparse_index_base_SE_SE_SE_bbb,comdat
.Lfunc_end199:
	.size	_ZN9rocsparseL51csrgemm_numeric_fill_block_per_row_multipass_kernelILj512ELj16ELj2048ELj64ElidEEvT4_PKS1_S3_NS_24const_host_device_scalarIT5_EEPKT3_S3_PKS5_S9_S3_SB_S6_S9_S3_SB_S9_S3_PS5_PS7_21rocsparse_index_base_SE_SE_SE_bbb, .Lfunc_end199-_ZN9rocsparseL51csrgemm_numeric_fill_block_per_row_multipass_kernelILj512ELj16ELj2048ELj64ElidEEvT4_PKS1_S3_NS_24const_host_device_scalarIT5_EEPKT3_S3_PKS5_S9_S3_SB_S6_S9_S3_SB_S9_S3_PS5_PS7_21rocsparse_index_base_SE_SE_SE_bbb
                                        ; -- End function
	.section	.AMDGPU.csdata,"",@progbits
; Kernel info:
; codeLenInByte = 2964
; NumSgprs: 56
; NumVgprs: 45
; ScratchSize: 0
; MemoryBound: 0
; FloatMode: 240
; IeeeMode: 1
; LDSByteSize: 18440 bytes/workgroup (compile time only)
; SGPRBlocks: 6
; VGPRBlocks: 5
; NumSGPRsForWavesPerEU: 56
; NumVGPRsForWavesPerEU: 45
; Occupancy: 16
; WaveLimiterHint : 1
; COMPUTE_PGM_RSRC2:SCRATCH_EN: 0
; COMPUTE_PGM_RSRC2:USER_SGPR: 15
; COMPUTE_PGM_RSRC2:TRAP_HANDLER: 0
; COMPUTE_PGM_RSRC2:TGID_X_EN: 1
; COMPUTE_PGM_RSRC2:TGID_Y_EN: 0
; COMPUTE_PGM_RSRC2:TGID_Z_EN: 0
; COMPUTE_PGM_RSRC2:TIDIG_COMP_CNT: 0
	.section	.text._ZN9rocsparseL38csrgemm_numeric_fill_wf_per_row_kernelILj256ELj8ELj16ELj137Eli21rocsparse_complex_numIfEEEvT4_S3_PKS3_S5_NS_24const_host_device_scalarIT5_EEPKT3_S5_PKS7_SB_S5_SD_S8_SB_S5_SD_SB_S5_PS7_21rocsparse_index_base_SF_SF_SF_bbb,"axG",@progbits,_ZN9rocsparseL38csrgemm_numeric_fill_wf_per_row_kernelILj256ELj8ELj16ELj137Eli21rocsparse_complex_numIfEEEvT4_S3_PKS3_S5_NS_24const_host_device_scalarIT5_EEPKT3_S5_PKS7_SB_S5_SD_S8_SB_S5_SD_SB_S5_PS7_21rocsparse_index_base_SF_SF_SF_bbb,comdat
	.globl	_ZN9rocsparseL38csrgemm_numeric_fill_wf_per_row_kernelILj256ELj8ELj16ELj137Eli21rocsparse_complex_numIfEEEvT4_S3_PKS3_S5_NS_24const_host_device_scalarIT5_EEPKT3_S5_PKS7_SB_S5_SD_S8_SB_S5_SD_SB_S5_PS7_21rocsparse_index_base_SF_SF_SF_bbb ; -- Begin function _ZN9rocsparseL38csrgemm_numeric_fill_wf_per_row_kernelILj256ELj8ELj16ELj137Eli21rocsparse_complex_numIfEEEvT4_S3_PKS3_S5_NS_24const_host_device_scalarIT5_EEPKT3_S5_PKS7_SB_S5_SD_S8_SB_S5_SD_SB_S5_PS7_21rocsparse_index_base_SF_SF_SF_bbb
	.p2align	8
	.type	_ZN9rocsparseL38csrgemm_numeric_fill_wf_per_row_kernelILj256ELj8ELj16ELj137Eli21rocsparse_complex_numIfEEEvT4_S3_PKS3_S5_NS_24const_host_device_scalarIT5_EEPKT3_S5_PKS7_SB_S5_SD_S8_SB_S5_SD_SB_S5_PS7_21rocsparse_index_base_SF_SF_SF_bbb,@function
_ZN9rocsparseL38csrgemm_numeric_fill_wf_per_row_kernelILj256ELj8ELj16ELj137Eli21rocsparse_complex_numIfEEEvT4_S3_PKS3_S5_NS_24const_host_device_scalarIT5_EEPKT3_S5_PKS7_SB_S5_SD_S8_SB_S5_SD_SB_S5_PS7_21rocsparse_index_base_SF_SF_SF_bbb: ; @_ZN9rocsparseL38csrgemm_numeric_fill_wf_per_row_kernelILj256ELj8ELj16ELj137Eli21rocsparse_complex_numIfEEEvT4_S3_PKS3_S5_NS_24const_host_device_scalarIT5_EEPKT3_S5_PKS7_SB_S5_SD_S8_SB_S5_SD_SB_S5_PS7_21rocsparse_index_base_SF_SF_SF_bbb
; %bb.0:
	s_clause 0x7
	s_load_b32 s14, s[0:1], 0x98
	s_load_b64 s[12:13], s[0:1], 0x70
	s_load_b128 s[28:31], s[0:1], 0x60
	s_load_b256 s[4:11], s[0:1], 0x40
	s_load_b128 s[36:39], s[0:1], 0x8
	s_load_b256 s[16:23], s[0:1], 0x20
	s_load_b64 s[2:3], s[0:1], 0x80
	s_load_b128 s[24:27], s[0:1], 0x88
	s_mov_b32 s35, 0
	s_mov_b32 s40, 0
	s_waitcnt lgkmcnt(0)
	s_bitcmp1_b32 s14, 0
	s_cselect_b32 s41, -1, 0
	s_bitcmp1_b32 s14, 16
	s_cselect_b32 s33, -1, 0
	s_delay_alu instid0(SALU_CYCLE_1) | instskip(SKIP_2) | instid1(VALU_DEP_1)
	s_xor_b32 s33, s33, -1
	s_bitcmp0_b32 s14, 0
	v_cndmask_b32_e64 v1, 0, 1, s33
	v_cmp_ne_u32_e32 vcc_lo, 1, v1
	s_cbranch_scc1 .LBB200_5
; %bb.1:
	s_load_b64 s[34:35], s[0:1], 0x18
	s_and_b32 vcc_lo, exec_lo, vcc_lo
	s_waitcnt lgkmcnt(0)
	s_mov_b32 s40, s34
	s_cbranch_vccnz .LBB200_3
; %bb.2:
	s_load_b32 s40, s[34:35], 0x0
.LBB200_3:
	s_and_not1_b32 vcc_lo, exec_lo, s33
	s_cbranch_vccnz .LBB200_5
; %bb.4:
	s_load_b32 s35, s[34:35], 0x4
.LBB200_5:
	s_bitcmp1_b32 s14, 8
	s_mov_b32 s33, 0
	s_cselect_b32 s34, -1, 0
	s_bfe_u32 s14, s14, 0x10008
	s_delay_alu instid0(SALU_CYCLE_1)
	s_cmp_eq_u32 s14, 0
	s_mov_b32 s14, 0
	s_cbranch_scc1 .LBB200_11
; %bb.6:
	v_cmp_ne_u32_e32 vcc_lo, 1, v1
	s_mov_b32 s14, s8
	s_cbranch_vccnz .LBB200_8
; %bb.7:
	s_load_b32 s14, s[8:9], 0x0
.LBB200_8:
	v_cmp_ne_u32_e32 vcc_lo, 1, v1
	s_cbranch_vccnz .LBB200_10
; %bb.9:
	s_load_b32 s9, s[8:9], 0x4
.LBB200_10:
	s_waitcnt lgkmcnt(0)
	s_mov_b32 s33, s9
.LBB200_11:
	s_load_b64 s[0:1], s[0:1], 0x0
	v_and_b32_e32 v15, 7, v0
	v_lshrrev_b32_e32 v2, 3, v0
	v_mov_b32_e32 v0, 0
	s_mov_b32 s8, 0
	s_delay_alu instid0(VALU_DEP_3) | instskip(SKIP_2) | instid1(VALU_DEP_3)
	v_lshlrev_b32_e32 v4, 3, v15
	v_or_b32_e32 v12, -8, v15
	v_lshlrev_b32_e32 v3, 2, v15
	v_lshl_or_b32 v11, v2, 7, v4
	s_delay_alu instid0(VALU_DEP_3) | instskip(NEXT) | instid1(VALU_DEP_2)
	v_dual_mov_b32 v6, v12 :: v_dual_lshlrev_b32 v1, 6, v2
	v_mov_b32_e32 v4, v11
	s_delay_alu instid0(VALU_DEP_2) | instskip(SKIP_3) | instid1(VALU_DEP_3)
	v_or3_b32 v10, v1, v3, 0x1000
	v_mov_b32_e32 v1, v0
	s_waitcnt lgkmcnt(0)
	v_mov_b32_e32 v5, s1
	v_mov_b32_e32 v3, v10
.LBB200_12:                             ; =>This Inner Loop Header: Depth=1
	v_add_co_u32 v6, s9, v6, 8
	s_delay_alu instid0(VALU_DEP_1)
	s_xor_b32 s9, s9, -1
	ds_store_b32 v3, v5
	ds_store_b64 v4, v[0:1]
	v_add_nc_u32_e32 v4, 64, v4
	v_add_nc_u32_e32 v3, 32, v3
	s_and_b32 s9, exec_lo, s9
	s_delay_alu instid0(SALU_CYCLE_1) | instskip(NEXT) | instid1(SALU_CYCLE_1)
	s_or_b32 s8, s9, s8
	s_and_not1_b32 exec_lo, exec_lo, s8
	s_cbranch_execnz .LBB200_12
; %bb.13:
	s_or_b32 exec_lo, exec_lo, s8
	s_lshl_b32 s8, s15, 5
	s_waitcnt lgkmcnt(0)
	buffer_gl0_inv
	v_and_or_b32 v0, 0x1fffffe0, s8, v2
	s_delay_alu instid0(VALU_DEP_1)
	v_cmp_gt_i32_e32 vcc_lo, s0, v0
	s_and_saveexec_b32 s0, vcc_lo
	s_cbranch_execz .LBB200_56
; %bb.14:
	s_cmp_eq_u64 s[38:39], 0
	s_cbranch_scc1 .LBB200_16
; %bb.15:
	s_load_b32 s0, s[36:37], 0x0
	s_waitcnt lgkmcnt(0)
	v_add_nc_u32_e32 v0, s0, v0
	s_delay_alu instid0(VALU_DEP_1) | instskip(NEXT) | instid1(VALU_DEP_1)
	v_ashrrev_i32_e32 v1, 31, v0
	v_lshlrev_b64 v[0:1], 2, v[0:1]
	s_delay_alu instid0(VALU_DEP_1) | instskip(NEXT) | instid1(VALU_DEP_2)
	v_add_co_u32 v0, vcc_lo, s38, v0
	v_add_co_ci_u32_e32 v1, vcc_lo, s39, v1, vcc_lo
	global_load_b32 v0, v[0:1], off
.LBB200_16:
	s_waitcnt vmcnt(0)
	v_ashrrev_i32_e32 v1, 31, v0
	v_lshl_or_b32 v13, v2, 6, 0x1000
	v_lshlrev_b32_e32 v14, 7, v2
	s_and_not1_b32 vcc_lo, exec_lo, s41
	s_delay_alu instid0(VALU_DEP_3)
	v_lshlrev_b64 v[4:5], 3, v[0:1]
	s_cbranch_vccnz .LBB200_36
; %bb.17:
	s_delay_alu instid0(VALU_DEP_1) | instskip(NEXT) | instid1(VALU_DEP_2)
	v_add_co_u32 v0, vcc_lo, s16, v4
	v_add_co_ci_u32_e32 v1, vcc_lo, s17, v5, vcc_lo
	v_sub_co_u32 v8, s0, v15, s24
	s_delay_alu instid0(VALU_DEP_1)
	v_sub_co_ci_u32_e64 v9, null, 0, 0, s0
	global_load_b128 v[0:3], v[0:1], off
	s_mov_b32 s8, 0
	s_mov_b32 s0, exec_lo
	s_waitcnt vmcnt(0)
	v_sub_co_u32 v6, vcc_lo, v2, s24
	v_subrev_co_ci_u32_e32 v7, vcc_lo, 0, v3, vcc_lo
	v_add_co_u32 v8, vcc_lo, v0, v8
	v_add_co_ci_u32_e32 v9, vcc_lo, v1, v9, vcc_lo
	s_delay_alu instid0(VALU_DEP_1)
	v_cmpx_lt_i64_e64 v[8:9], v[6:7]
	s_cbranch_execz .LBB200_35
; %bb.18:
	s_mov_b32 s9, s25
	s_branch .LBB200_20
.LBB200_19:                             ;   in Loop: Header=BB200_20 Depth=1
	s_or_b32 exec_lo, exec_lo, s15
	v_add_co_u32 v8, vcc_lo, v8, 8
	v_add_co_ci_u32_e32 v9, vcc_lo, 0, v9, vcc_lo
	s_delay_alu instid0(VALU_DEP_1) | instskip(SKIP_1) | instid1(SALU_CYCLE_1)
	v_cmp_ge_i64_e32 vcc_lo, v[8:9], v[6:7]
	s_or_b32 s8, vcc_lo, s8
	s_and_not1_b32 exec_lo, exec_lo, s8
	s_cbranch_execz .LBB200_35
.LBB200_20:                             ; =>This Loop Header: Depth=1
                                        ;     Child Loop BB200_23 Depth 2
                                        ;       Child Loop BB200_25 Depth 3
	v_lshlrev_b64 v[0:1], 2, v[8:9]
	s_mov_b32 s15, exec_lo
	s_delay_alu instid0(VALU_DEP_1) | instskip(NEXT) | instid1(VALU_DEP_2)
	v_add_co_u32 v0, vcc_lo, s18, v0
	v_add_co_ci_u32_e32 v1, vcc_lo, s19, v1, vcc_lo
	global_load_b32 v0, v[0:1], off
	s_waitcnt vmcnt(0)
	v_subrev_nc_u32_e32 v0, s24, v0
	s_delay_alu instid0(VALU_DEP_1) | instskip(NEXT) | instid1(VALU_DEP_1)
	v_ashrrev_i32_e32 v1, 31, v0
	v_lshlrev_b64 v[0:1], 3, v[0:1]
	s_delay_alu instid0(VALU_DEP_1) | instskip(NEXT) | instid1(VALU_DEP_2)
	v_add_co_u32 v0, vcc_lo, s22, v0
	v_add_co_ci_u32_e32 v1, vcc_lo, s23, v1, vcc_lo
	global_load_b128 v[0:3], v[0:1], off
	s_waitcnt vmcnt(0)
	v_cmpx_lt_i64_e64 v[0:1], v[2:3]
	s_cbranch_execz .LBB200_19
; %bb.21:                               ;   in Loop: Header=BB200_20 Depth=1
	v_lshlrev_b64 v[16:17], 3, v[8:9]
	s_mov_b32 s16, 0
	s_delay_alu instid0(VALU_DEP_1) | instskip(NEXT) | instid1(VALU_DEP_2)
	v_add_co_u32 v16, vcc_lo, s20, v16
	v_add_co_ci_u32_e32 v17, vcc_lo, s21, v17, vcc_lo
	v_sub_co_u32 v2, vcc_lo, v2, s9
	v_subrev_co_ci_u32_e32 v3, vcc_lo, 0, v3, vcc_lo
	global_load_b64 v[18:19], v[16:17], off
	v_sub_co_u32 v0, vcc_lo, v0, s9
	v_subrev_co_ci_u32_e32 v1, vcc_lo, 0, v1, vcc_lo
	s_waitcnt vmcnt(0)
	v_mul_f32_e64 v16, v19, -s35
	s_delay_alu instid0(VALU_DEP_1) | instskip(NEXT) | instid1(VALU_DEP_1)
	v_dual_mul_f32 v17, s40, v19 :: v_dual_fmac_f32 v16, s40, v18
	v_fmac_f32_e32 v17, s35, v18
	s_branch .LBB200_23
.LBB200_22:                             ;   in Loop: Header=BB200_23 Depth=2
	s_or_b32 exec_lo, exec_lo, s17
	v_add_co_u32 v0, vcc_lo, v0, 1
	v_add_co_ci_u32_e32 v1, vcc_lo, 0, v1, vcc_lo
	s_delay_alu instid0(VALU_DEP_1) | instskip(SKIP_1) | instid1(SALU_CYCLE_1)
	v_cmp_ge_i64_e32 vcc_lo, v[0:1], v[2:3]
	s_or_b32 s16, vcc_lo, s16
	s_and_not1_b32 exec_lo, exec_lo, s16
	s_cbranch_execz .LBB200_19
.LBB200_23:                             ;   Parent Loop BB200_20 Depth=1
                                        ; =>  This Loop Header: Depth=2
                                        ;       Child Loop BB200_25 Depth 3
	v_lshlrev_b64 v[18:19], 2, v[0:1]
	v_lshlrev_b64 v[20:21], 3, v[0:1]
	s_mov_b32 s17, 0
	s_delay_alu instid0(VALU_DEP_2) | instskip(NEXT) | instid1(VALU_DEP_3)
	v_add_co_u32 v18, vcc_lo, s4, v18
	v_add_co_ci_u32_e32 v19, vcc_lo, s5, v19, vcc_lo
	s_delay_alu instid0(VALU_DEP_3) | instskip(NEXT) | instid1(VALU_DEP_4)
	v_add_co_u32 v20, vcc_lo, s6, v20
	v_add_co_ci_u32_e32 v21, vcc_lo, s7, v21, vcc_lo
	global_load_b32 v18, v[18:19], off
	global_load_b64 v[21:22], v[20:21], off
	s_waitcnt vmcnt(1)
	v_subrev_nc_u32_e32 v18, s25, v18
	s_waitcnt vmcnt(0)
	v_mul_f32_e64 v19, v22, -v17
	v_mul_f32_e32 v20, v16, v22
	s_delay_alu instid0(VALU_DEP_3) | instskip(NEXT) | instid1(VALU_DEP_3)
	v_lshl_add_u32 v22, v18, 3, v18
	v_fmac_f32_e32 v19, v16, v21
	s_delay_alu instid0(VALU_DEP_2)
	v_dual_fmac_f32 v20, v17, v21 :: v_dual_and_b32 v21, 15, v22
	s_branch .LBB200_25
.LBB200_24:                             ;   in Loop: Header=BB200_25 Depth=3
	s_or_b32 exec_lo, exec_lo, s36
	s_xor_b32 s36, s37, -1
	s_delay_alu instid0(SALU_CYCLE_1) | instskip(NEXT) | instid1(SALU_CYCLE_1)
	s_and_b32 s36, exec_lo, s36
	s_or_b32 s17, s36, s17
	s_delay_alu instid0(SALU_CYCLE_1)
	s_and_not1_b32 exec_lo, exec_lo, s17
	s_cbranch_execz .LBB200_22
.LBB200_25:                             ;   Parent Loop BB200_20 Depth=1
                                        ;     Parent Loop BB200_23 Depth=2
                                        ; =>    This Inner Loop Header: Depth=3
	s_delay_alu instid0(VALU_DEP_1)
	v_lshl_add_u32 v22, v21, 2, v13
	s_mov_b32 s36, exec_lo
                                        ; implicit-def: $sgpr37
	ds_load_b32 v23, v22
	s_waitcnt lgkmcnt(0)
	v_cmpx_ne_u32_e64 v23, v18
	s_xor_b32 s36, exec_lo, s36
	s_cbranch_execz .LBB200_33
; %bb.26:                               ;   in Loop: Header=BB200_25 Depth=3
	s_mov_b32 s38, exec_lo
                                        ; implicit-def: $sgpr37
	v_cmpx_ne_u32_e64 s1, v23
	s_xor_b32 s38, exec_lo, s38
; %bb.27:                               ;   in Loop: Header=BB200_25 Depth=3
	v_add_nc_u32_e32 v21, 1, v21
	s_mov_b32 s37, -1
                                        ; implicit-def: $vgpr22
	s_delay_alu instid0(VALU_DEP_1)
	v_and_b32_e32 v21, 15, v21
; %bb.28:                               ;   in Loop: Header=BB200_25 Depth=3
	s_and_not1_saveexec_b32 s38, s38
	s_cbranch_execz .LBB200_32
; %bb.29:                               ;   in Loop: Header=BB200_25 Depth=3
	v_mov_b32_e32 v23, s1
	s_mov_b32 s39, -1
	s_mov_b32 s41, exec_lo
	ds_cmpstore_rtn_b32 v22, v22, v18, v23
	s_waitcnt lgkmcnt(0)
	v_cmpx_eq_u32_e64 s1, v22
	s_cbranch_execz .LBB200_31
; %bb.30:                               ;   in Loop: Header=BB200_25 Depth=3
	v_lshl_add_u32 v22, v21, 3, v14
	s_xor_b32 s39, exec_lo, -1
	ds_add_f32 v22, v19
	ds_add_f32 v22, v20 offset:4
.LBB200_31:                             ;   in Loop: Header=BB200_25 Depth=3
	s_or_b32 exec_lo, exec_lo, s41
	s_delay_alu instid0(SALU_CYCLE_1) | instskip(SKIP_1) | instid1(SALU_CYCLE_1)
	s_and_not1_b32 s37, s37, exec_lo
	s_and_b32 s39, s39, exec_lo
	s_or_b32 s37, s37, s39
.LBB200_32:                             ;   in Loop: Header=BB200_25 Depth=3
	s_or_b32 exec_lo, exec_lo, s38
	s_delay_alu instid0(SALU_CYCLE_1)
	s_and_b32 s37, s37, exec_lo
.LBB200_33:                             ;   in Loop: Header=BB200_25 Depth=3
	s_and_not1_saveexec_b32 s36, s36
	s_cbranch_execz .LBB200_24
; %bb.34:                               ;   in Loop: Header=BB200_25 Depth=3
	v_lshl_add_u32 v22, v21, 3, v14
	s_and_not1_b32 s37, s37, exec_lo
	ds_add_f32 v22, v19
	ds_add_f32 v22, v20 offset:4
	s_branch .LBB200_24
.LBB200_35:
	s_or_b32 exec_lo, exec_lo, s0
.LBB200_36:
	s_delay_alu instid0(SALU_CYCLE_1)
	s_and_not1_b32 vcc_lo, exec_lo, s34
	s_cbranch_vccnz .LBB200_39
; %bb.37:
	s_delay_alu instid0(VALU_DEP_1) | instskip(NEXT) | instid1(VALU_DEP_2)
	v_add_co_u32 v0, vcc_lo, s10, v4
	v_add_co_ci_u32_e32 v1, vcc_lo, s11, v5, vcc_lo
	v_sub_co_u32 v2, s0, v15, s27
	s_delay_alu instid0(VALU_DEP_1)
	v_sub_co_ci_u32_e64 v3, null, 0, 0, s0
	global_load_b128 v[6:9], v[0:1], off
	s_mov_b32 s4, 0
	s_mov_b32 s0, exec_lo
	s_waitcnt vmcnt(0)
	v_sub_co_u32 v0, vcc_lo, v8, s27
	v_subrev_co_ci_u32_e32 v1, vcc_lo, 0, v9, vcc_lo
	v_add_co_u32 v2, vcc_lo, v6, v2
	v_add_co_ci_u32_e32 v3, vcc_lo, v7, v3, vcc_lo
	s_delay_alu instid0(VALU_DEP_1)
	v_cmpx_lt_i64_e64 v[2:3], v[0:1]
	s_cbranch_execnz .LBB200_44
.LBB200_38:
	s_or_b32 exec_lo, exec_lo, s0
.LBB200_39:
	s_delay_alu instid0(VALU_DEP_1) | instskip(NEXT) | instid1(VALU_DEP_2)
	v_add_co_u32 v0, vcc_lo, s12, v4
	v_add_co_ci_u32_e32 v1, vcc_lo, s13, v5, vcc_lo
	s_waitcnt lgkmcnt(0)
	buffer_gl0_inv
	s_mov_b32 s0, 0
	global_load_b64 v[0:1], v[0:1], off
	s_waitcnt vmcnt(0)
	v_sub_co_u32 v0, vcc_lo, v0, s26
	v_subrev_co_ci_u32_e32 v1, vcc_lo, 0, v1, vcc_lo
	s_delay_alu instid0(VALU_DEP_1) | instskip(NEXT) | instid1(VALU_DEP_1)
	v_lshlrev_b64 v[0:1], 3, v[0:1]
	v_add_co_u32 v0, vcc_lo, s2, v0
	s_delay_alu instid0(VALU_DEP_2)
	v_add_co_ci_u32_e32 v1, vcc_lo, s3, v1, vcc_lo
	s_branch .LBB200_41
.LBB200_40:                             ;   in Loop: Header=BB200_41 Depth=1
	s_or_b32 exec_lo, exec_lo, s2
	v_add_co_u32 v12, s2, v12, 8
	s_delay_alu instid0(VALU_DEP_1) | instskip(SKIP_3) | instid1(SALU_CYCLE_1)
	s_xor_b32 s2, s2, -1
	v_add_nc_u32_e32 v11, 64, v11
	v_add_nc_u32_e32 v10, 32, v10
	s_and_b32 s2, exec_lo, s2
	s_or_b32 s0, s2, s0
	s_delay_alu instid0(SALU_CYCLE_1)
	s_and_not1_b32 exec_lo, exec_lo, s0
	s_cbranch_execz .LBB200_56
.LBB200_41:                             ; =>This Inner Loop Header: Depth=1
	ds_load_b32 v2, v10
	s_mov_b32 s2, exec_lo
	s_waitcnt lgkmcnt(0)
	v_cmpx_gt_i32_e64 s1, v2
	s_cbranch_execz .LBB200_40
; %bb.42:                               ;   in Loop: Header=BB200_41 Depth=1
	ds_load_b128 v[3:6], v13
	ds_load_b128 v[14:17], v13 offset:16
	ds_load_b128 v[18:21], v13 offset:32
	;; [unrolled: 1-line block ×3, first 2 shown]
	s_waitcnt lgkmcnt(3)
	v_cmp_gt_i32_e32 vcc_lo, v2, v3
	v_cndmask_b32_e64 v3, 0, 1, vcc_lo
	v_cmp_gt_i32_e32 vcc_lo, v2, v4
	s_delay_alu instid0(VALU_DEP_2) | instskip(SKIP_2) | instid1(VALU_DEP_2)
	v_lshlrev_b32_e32 v3, 3, v3
	v_cndmask_b32_e64 v4, 0, 1, vcc_lo
	v_cmp_gt_i32_e32 vcc_lo, v2, v5
	v_lshlrev_b32_e32 v4, 3, v4
	v_cndmask_b32_e64 v5, 0, 1, vcc_lo
	v_cmp_gt_i32_e32 vcc_lo, v2, v6
	s_delay_alu instid0(VALU_DEP_2) | instskip(SKIP_3) | instid1(VALU_DEP_2)
	v_lshlrev_b32_e32 v5, 3, v5
	v_cndmask_b32_e64 v6, 0, 1, vcc_lo
	s_waitcnt lgkmcnt(2)
	v_cmp_gt_i32_e32 vcc_lo, v2, v14
	v_lshlrev_b32_e32 v6, 3, v6
	v_cndmask_b32_e64 v7, 0, 1, vcc_lo
	v_cmp_gt_i32_e32 vcc_lo, v2, v15
	v_cndmask_b32_e64 v8, 0, 1, vcc_lo
	v_cmp_gt_i32_e32 vcc_lo, v2, v16
	;; [unrolled: 2-line block ×3, first 2 shown]
	v_cndmask_b32_e64 v14, 0, 1, vcc_lo
	s_waitcnt lgkmcnt(1)
	v_cmp_gt_i32_e32 vcc_lo, v2, v18
	v_cndmask_b32_e64 v15, 0, 1, vcc_lo
	v_cmp_gt_i32_e32 vcc_lo, v2, v19
	v_cndmask_b32_e64 v16, 0, 1, vcc_lo
	v_add_co_u32 v3, vcc_lo, v0, v3
	v_add_co_ci_u32_e32 v17, vcc_lo, 0, v1, vcc_lo
	s_delay_alu instid0(VALU_DEP_2) | instskip(NEXT) | instid1(VALU_DEP_2)
	v_add_co_u32 v3, vcc_lo, v3, v4
	v_add_co_ci_u32_e32 v4, vcc_lo, 0, v17, vcc_lo
	s_delay_alu instid0(VALU_DEP_2) | instskip(NEXT) | instid1(VALU_DEP_2)
	v_add_co_u32 v3, vcc_lo, v3, v5
	v_add_co_ci_u32_e32 v4, vcc_lo, 0, v4, vcc_lo
	v_lshlrev_b32_e32 v5, 3, v7
	s_delay_alu instid0(VALU_DEP_3) | instskip(NEXT) | instid1(VALU_DEP_3)
	v_add_co_u32 v3, vcc_lo, v3, v6
	v_add_co_ci_u32_e32 v4, vcc_lo, 0, v4, vcc_lo
	v_lshlrev_b32_e32 v6, 3, v8
	s_delay_alu instid0(VALU_DEP_3) | instskip(NEXT) | instid1(VALU_DEP_3)
	;; [unrolled: 4-line block ×5, first 2 shown]
	v_add_co_u32 v3, vcc_lo, v3, v6
	v_add_co_ci_u32_e32 v4, vcc_lo, 0, v4, vcc_lo
	v_cmp_gt_i32_e32 vcc_lo, v2, v20
	v_cndmask_b32_e64 v6, 0, 1, vcc_lo
	s_delay_alu instid0(VALU_DEP_4) | instskip(NEXT) | instid1(VALU_DEP_4)
	v_add_co_u32 v3, vcc_lo, v3, v5
	v_add_co_ci_u32_e32 v4, vcc_lo, 0, v4, vcc_lo
	v_lshlrev_b32_e32 v5, 3, v16
	v_cmp_gt_i32_e32 vcc_lo, v2, v21
	v_lshlrev_b32_e32 v6, 3, v6
	v_cndmask_b32_e64 v7, 0, 1, vcc_lo
	s_delay_alu instid0(VALU_DEP_4) | instskip(SKIP_1) | instid1(VALU_DEP_3)
	v_add_co_u32 v3, vcc_lo, v3, v5
	v_add_co_ci_u32_e32 v4, vcc_lo, 0, v4, vcc_lo
	v_lshlrev_b32_e32 v5, 3, v7
	s_delay_alu instid0(VALU_DEP_3) | instskip(NEXT) | instid1(VALU_DEP_3)
	v_add_co_u32 v3, vcc_lo, v3, v6
	v_add_co_ci_u32_e32 v4, vcc_lo, 0, v4, vcc_lo
	s_waitcnt lgkmcnt(0)
	v_cmp_gt_i32_e32 vcc_lo, v2, v22
	v_cndmask_b32_e64 v6, 0, 1, vcc_lo
	v_add_co_u32 v3, vcc_lo, v3, v5
	v_add_co_ci_u32_e32 v4, vcc_lo, 0, v4, vcc_lo
	v_cmp_gt_i32_e32 vcc_lo, v2, v23
	s_delay_alu instid0(VALU_DEP_4) | instskip(SKIP_2) | instid1(VALU_DEP_2)
	v_lshlrev_b32_e32 v5, 3, v6
	v_cndmask_b32_e64 v6, 0, 1, vcc_lo
	v_cmp_gt_i32_e32 vcc_lo, v2, v24
	v_lshlrev_b32_e32 v6, 3, v6
	v_cndmask_b32_e64 v7, 0, 1, vcc_lo
	v_add_co_u32 v5, vcc_lo, v3, v5
	v_add_co_ci_u32_e32 v8, vcc_lo, 0, v4, vcc_lo
	v_cmp_gt_i32_e32 vcc_lo, v2, v25
	ds_load_b64 v[3:4], v11
	v_lshlrev_b32_e32 v7, 3, v7
	v_cndmask_b32_e64 v2, 0, 1, vcc_lo
	v_add_co_u32 v5, vcc_lo, v5, v6
	v_add_co_ci_u32_e32 v6, vcc_lo, 0, v8, vcc_lo
	s_delay_alu instid0(VALU_DEP_3) | instskip(NEXT) | instid1(VALU_DEP_3)
	v_lshlrev_b32_e32 v2, 3, v2
	v_add_co_u32 v5, vcc_lo, v5, v7
	s_delay_alu instid0(VALU_DEP_3) | instskip(NEXT) | instid1(VALU_DEP_2)
	v_add_co_ci_u32_e32 v6, vcc_lo, 0, v6, vcc_lo
	v_add_co_u32 v5, vcc_lo, v5, v2
	s_delay_alu instid0(VALU_DEP_2)
	v_add_co_ci_u32_e32 v6, vcc_lo, 0, v6, vcc_lo
	s_waitcnt lgkmcnt(0)
	global_store_b64 v[5:6], v[3:4], off
	s_branch .LBB200_40
.LBB200_43:                             ;   in Loop: Header=BB200_44 Depth=1
	s_or_b32 exec_lo, exec_lo, s5
	v_add_co_u32 v2, vcc_lo, v2, 8
	v_add_co_ci_u32_e32 v3, vcc_lo, 0, v3, vcc_lo
	s_delay_alu instid0(VALU_DEP_1) | instskip(SKIP_1) | instid1(SALU_CYCLE_1)
	v_cmp_ge_i64_e32 vcc_lo, v[2:3], v[0:1]
	s_or_b32 s4, vcc_lo, s4
	s_and_not1_b32 exec_lo, exec_lo, s4
	s_cbranch_execz .LBB200_38
.LBB200_44:                             ; =>This Loop Header: Depth=1
                                        ;     Child Loop BB200_46 Depth 2
	v_lshlrev_b64 v[6:7], 2, v[2:3]
	v_lshlrev_b64 v[8:9], 3, v[2:3]
	s_mov_b32 s5, 0
	s_delay_alu instid0(VALU_DEP_2) | instskip(NEXT) | instid1(VALU_DEP_3)
	v_add_co_u32 v6, vcc_lo, s28, v6
	v_add_co_ci_u32_e32 v7, vcc_lo, s29, v7, vcc_lo
	s_delay_alu instid0(VALU_DEP_3) | instskip(NEXT) | instid1(VALU_DEP_4)
	v_add_co_u32 v8, vcc_lo, s30, v8
	v_add_co_ci_u32_e32 v9, vcc_lo, s31, v9, vcc_lo
	global_load_b32 v6, v[6:7], off
	global_load_b64 v[15:16], v[8:9], off
	s_waitcnt vmcnt(1)
	v_subrev_nc_u32_e32 v6, s27, v6
	s_waitcnt vmcnt(0)
	v_mul_f32_e64 v7, v16, -s33
	v_mul_f32_e32 v8, s14, v16
	s_delay_alu instid0(VALU_DEP_3) | instskip(NEXT) | instid1(VALU_DEP_3)
	v_lshl_add_u32 v9, v6, 3, v6
	v_fmac_f32_e32 v7, s14, v15
	s_delay_alu instid0(VALU_DEP_2)
	v_dual_fmac_f32 v8, s33, v15 :: v_dual_and_b32 v9, 15, v9
	s_branch .LBB200_46
.LBB200_45:                             ;   in Loop: Header=BB200_46 Depth=2
	s_or_b32 exec_lo, exec_lo, s6
	s_xor_b32 s6, s7, -1
	s_delay_alu instid0(SALU_CYCLE_1) | instskip(NEXT) | instid1(SALU_CYCLE_1)
	s_and_b32 s6, exec_lo, s6
	s_or_b32 s5, s6, s5
	s_delay_alu instid0(SALU_CYCLE_1)
	s_and_not1_b32 exec_lo, exec_lo, s5
	s_cbranch_execz .LBB200_43
.LBB200_46:                             ;   Parent Loop BB200_44 Depth=1
                                        ; =>  This Inner Loop Header: Depth=2
	s_delay_alu instid0(VALU_DEP_1)
	v_lshl_add_u32 v15, v9, 2, v13
	s_mov_b32 s6, exec_lo
                                        ; implicit-def: $sgpr7
	ds_load_b32 v16, v15
	s_waitcnt lgkmcnt(0)
	v_cmpx_ne_u32_e64 v16, v6
	s_xor_b32 s6, exec_lo, s6
	s_cbranch_execz .LBB200_54
; %bb.47:                               ;   in Loop: Header=BB200_46 Depth=2
	s_mov_b32 s8, exec_lo
                                        ; implicit-def: $sgpr7
	v_cmpx_ne_u32_e64 s1, v16
	s_xor_b32 s8, exec_lo, s8
; %bb.48:                               ;   in Loop: Header=BB200_46 Depth=2
	v_add_nc_u32_e32 v9, 1, v9
	s_mov_b32 s7, -1
                                        ; implicit-def: $vgpr15
	s_delay_alu instid0(VALU_DEP_1)
	v_and_b32_e32 v9, 15, v9
; %bb.49:                               ;   in Loop: Header=BB200_46 Depth=2
	s_and_not1_saveexec_b32 s8, s8
	s_cbranch_execz .LBB200_53
; %bb.50:                               ;   in Loop: Header=BB200_46 Depth=2
	v_mov_b32_e32 v16, s1
	s_mov_b32 s9, -1
	s_mov_b32 s10, exec_lo
	ds_cmpstore_rtn_b32 v15, v15, v6, v16
	s_waitcnt lgkmcnt(0)
	v_cmpx_eq_u32_e64 s1, v15
	s_cbranch_execz .LBB200_52
; %bb.51:                               ;   in Loop: Header=BB200_46 Depth=2
	v_lshl_add_u32 v15, v9, 3, v14
	s_xor_b32 s9, exec_lo, -1
	ds_add_f32 v15, v7
	ds_add_f32 v15, v8 offset:4
.LBB200_52:                             ;   in Loop: Header=BB200_46 Depth=2
	s_or_b32 exec_lo, exec_lo, s10
	s_delay_alu instid0(SALU_CYCLE_1) | instskip(SKIP_1) | instid1(SALU_CYCLE_1)
	s_and_not1_b32 s7, s7, exec_lo
	s_and_b32 s9, s9, exec_lo
	s_or_b32 s7, s7, s9
.LBB200_53:                             ;   in Loop: Header=BB200_46 Depth=2
	s_or_b32 exec_lo, exec_lo, s8
	s_delay_alu instid0(SALU_CYCLE_1)
	s_and_b32 s7, s7, exec_lo
.LBB200_54:                             ;   in Loop: Header=BB200_46 Depth=2
	s_and_not1_saveexec_b32 s6, s6
	s_cbranch_execz .LBB200_45
; %bb.55:                               ;   in Loop: Header=BB200_46 Depth=2
	v_lshl_add_u32 v15, v9, 3, v14
	s_and_not1_b32 s7, s7, exec_lo
	ds_add_f32 v15, v7
	ds_add_f32 v15, v8 offset:4
	s_branch .LBB200_45
.LBB200_56:
	s_nop 0
	s_sendmsg sendmsg(MSG_DEALLOC_VGPRS)
	s_endpgm
	.section	.rodata,"a",@progbits
	.p2align	6, 0x0
	.amdhsa_kernel _ZN9rocsparseL38csrgemm_numeric_fill_wf_per_row_kernelILj256ELj8ELj16ELj137Eli21rocsparse_complex_numIfEEEvT4_S3_PKS3_S5_NS_24const_host_device_scalarIT5_EEPKT3_S5_PKS7_SB_S5_SD_S8_SB_S5_SD_SB_S5_PS7_21rocsparse_index_base_SF_SF_SF_bbb
		.amdhsa_group_segment_fixed_size 6144
		.amdhsa_private_segment_fixed_size 0
		.amdhsa_kernarg_size 156
		.amdhsa_user_sgpr_count 15
		.amdhsa_user_sgpr_dispatch_ptr 0
		.amdhsa_user_sgpr_queue_ptr 0
		.amdhsa_user_sgpr_kernarg_segment_ptr 1
		.amdhsa_user_sgpr_dispatch_id 0
		.amdhsa_user_sgpr_private_segment_size 0
		.amdhsa_wavefront_size32 1
		.amdhsa_uses_dynamic_stack 0
		.amdhsa_enable_private_segment 0
		.amdhsa_system_sgpr_workgroup_id_x 1
		.amdhsa_system_sgpr_workgroup_id_y 0
		.amdhsa_system_sgpr_workgroup_id_z 0
		.amdhsa_system_sgpr_workgroup_info 0
		.amdhsa_system_vgpr_workitem_id 0
		.amdhsa_next_free_vgpr 26
		.amdhsa_next_free_sgpr 42
		.amdhsa_reserve_vcc 1
		.amdhsa_float_round_mode_32 0
		.amdhsa_float_round_mode_16_64 0
		.amdhsa_float_denorm_mode_32 3
		.amdhsa_float_denorm_mode_16_64 3
		.amdhsa_dx10_clamp 1
		.amdhsa_ieee_mode 1
		.amdhsa_fp16_overflow 0
		.amdhsa_workgroup_processor_mode 1
		.amdhsa_memory_ordered 1
		.amdhsa_forward_progress 0
		.amdhsa_shared_vgpr_count 0
		.amdhsa_exception_fp_ieee_invalid_op 0
		.amdhsa_exception_fp_denorm_src 0
		.amdhsa_exception_fp_ieee_div_zero 0
		.amdhsa_exception_fp_ieee_overflow 0
		.amdhsa_exception_fp_ieee_underflow 0
		.amdhsa_exception_fp_ieee_inexact 0
		.amdhsa_exception_int_div_zero 0
	.end_amdhsa_kernel
	.section	.text._ZN9rocsparseL38csrgemm_numeric_fill_wf_per_row_kernelILj256ELj8ELj16ELj137Eli21rocsparse_complex_numIfEEEvT4_S3_PKS3_S5_NS_24const_host_device_scalarIT5_EEPKT3_S5_PKS7_SB_S5_SD_S8_SB_S5_SD_SB_S5_PS7_21rocsparse_index_base_SF_SF_SF_bbb,"axG",@progbits,_ZN9rocsparseL38csrgemm_numeric_fill_wf_per_row_kernelILj256ELj8ELj16ELj137Eli21rocsparse_complex_numIfEEEvT4_S3_PKS3_S5_NS_24const_host_device_scalarIT5_EEPKT3_S5_PKS7_SB_S5_SD_S8_SB_S5_SD_SB_S5_PS7_21rocsparse_index_base_SF_SF_SF_bbb,comdat
.Lfunc_end200:
	.size	_ZN9rocsparseL38csrgemm_numeric_fill_wf_per_row_kernelILj256ELj8ELj16ELj137Eli21rocsparse_complex_numIfEEEvT4_S3_PKS3_S5_NS_24const_host_device_scalarIT5_EEPKT3_S5_PKS7_SB_S5_SD_S8_SB_S5_SD_SB_S5_PS7_21rocsparse_index_base_SF_SF_SF_bbb, .Lfunc_end200-_ZN9rocsparseL38csrgemm_numeric_fill_wf_per_row_kernelILj256ELj8ELj16ELj137Eli21rocsparse_complex_numIfEEEvT4_S3_PKS3_S5_NS_24const_host_device_scalarIT5_EEPKT3_S5_PKS7_SB_S5_SD_S8_SB_S5_SD_SB_S5_PS7_21rocsparse_index_base_SF_SF_SF_bbb
                                        ; -- End function
	.section	.AMDGPU.csdata,"",@progbits
; Kernel info:
; codeLenInByte = 2596
; NumSgprs: 44
; NumVgprs: 26
; ScratchSize: 0
; MemoryBound: 0
; FloatMode: 240
; IeeeMode: 1
; LDSByteSize: 6144 bytes/workgroup (compile time only)
; SGPRBlocks: 5
; VGPRBlocks: 3
; NumSGPRsForWavesPerEU: 44
; NumVGPRsForWavesPerEU: 26
; Occupancy: 16
; WaveLimiterHint : 1
; COMPUTE_PGM_RSRC2:SCRATCH_EN: 0
; COMPUTE_PGM_RSRC2:USER_SGPR: 15
; COMPUTE_PGM_RSRC2:TRAP_HANDLER: 0
; COMPUTE_PGM_RSRC2:TGID_X_EN: 1
; COMPUTE_PGM_RSRC2:TGID_Y_EN: 0
; COMPUTE_PGM_RSRC2:TGID_Z_EN: 0
; COMPUTE_PGM_RSRC2:TIDIG_COMP_CNT: 0
	.section	.text._ZN9rocsparseL38csrgemm_numeric_fill_wf_per_row_kernelILj256ELj16ELj32ELj137Eli21rocsparse_complex_numIfEEEvT4_S3_PKS3_S5_NS_24const_host_device_scalarIT5_EEPKT3_S5_PKS7_SB_S5_SD_S8_SB_S5_SD_SB_S5_PS7_21rocsparse_index_base_SF_SF_SF_bbb,"axG",@progbits,_ZN9rocsparseL38csrgemm_numeric_fill_wf_per_row_kernelILj256ELj16ELj32ELj137Eli21rocsparse_complex_numIfEEEvT4_S3_PKS3_S5_NS_24const_host_device_scalarIT5_EEPKT3_S5_PKS7_SB_S5_SD_S8_SB_S5_SD_SB_S5_PS7_21rocsparse_index_base_SF_SF_SF_bbb,comdat
	.globl	_ZN9rocsparseL38csrgemm_numeric_fill_wf_per_row_kernelILj256ELj16ELj32ELj137Eli21rocsparse_complex_numIfEEEvT4_S3_PKS3_S5_NS_24const_host_device_scalarIT5_EEPKT3_S5_PKS7_SB_S5_SD_S8_SB_S5_SD_SB_S5_PS7_21rocsparse_index_base_SF_SF_SF_bbb ; -- Begin function _ZN9rocsparseL38csrgemm_numeric_fill_wf_per_row_kernelILj256ELj16ELj32ELj137Eli21rocsparse_complex_numIfEEEvT4_S3_PKS3_S5_NS_24const_host_device_scalarIT5_EEPKT3_S5_PKS7_SB_S5_SD_S8_SB_S5_SD_SB_S5_PS7_21rocsparse_index_base_SF_SF_SF_bbb
	.p2align	8
	.type	_ZN9rocsparseL38csrgemm_numeric_fill_wf_per_row_kernelILj256ELj16ELj32ELj137Eli21rocsparse_complex_numIfEEEvT4_S3_PKS3_S5_NS_24const_host_device_scalarIT5_EEPKT3_S5_PKS7_SB_S5_SD_S8_SB_S5_SD_SB_S5_PS7_21rocsparse_index_base_SF_SF_SF_bbb,@function
_ZN9rocsparseL38csrgemm_numeric_fill_wf_per_row_kernelILj256ELj16ELj32ELj137Eli21rocsparse_complex_numIfEEEvT4_S3_PKS3_S5_NS_24const_host_device_scalarIT5_EEPKT3_S5_PKS7_SB_S5_SD_S8_SB_S5_SD_SB_S5_PS7_21rocsparse_index_base_SF_SF_SF_bbb: ; @_ZN9rocsparseL38csrgemm_numeric_fill_wf_per_row_kernelILj256ELj16ELj32ELj137Eli21rocsparse_complex_numIfEEEvT4_S3_PKS3_S5_NS_24const_host_device_scalarIT5_EEPKT3_S5_PKS7_SB_S5_SD_S8_SB_S5_SD_SB_S5_PS7_21rocsparse_index_base_SF_SF_SF_bbb
; %bb.0:
	s_clause 0x7
	s_load_b32 s14, s[0:1], 0x98
	s_load_b64 s[12:13], s[0:1], 0x70
	s_load_b128 s[28:31], s[0:1], 0x60
	s_load_b256 s[4:11], s[0:1], 0x40
	s_load_b128 s[36:39], s[0:1], 0x8
	s_load_b256 s[16:23], s[0:1], 0x20
	s_load_b64 s[2:3], s[0:1], 0x80
	s_load_b128 s[24:27], s[0:1], 0x88
	s_mov_b32 s35, 0
	s_mov_b32 s40, 0
	s_waitcnt lgkmcnt(0)
	s_bitcmp1_b32 s14, 0
	s_cselect_b32 s41, -1, 0
	s_bitcmp1_b32 s14, 16
	s_cselect_b32 s33, -1, 0
	s_delay_alu instid0(SALU_CYCLE_1) | instskip(SKIP_2) | instid1(VALU_DEP_1)
	s_xor_b32 s33, s33, -1
	s_bitcmp0_b32 s14, 0
	v_cndmask_b32_e64 v1, 0, 1, s33
	v_cmp_ne_u32_e32 vcc_lo, 1, v1
	s_cbranch_scc1 .LBB201_5
; %bb.1:
	s_load_b64 s[34:35], s[0:1], 0x18
	s_and_b32 vcc_lo, exec_lo, vcc_lo
	s_waitcnt lgkmcnt(0)
	s_mov_b32 s40, s34
	s_cbranch_vccnz .LBB201_3
; %bb.2:
	s_load_b32 s40, s[34:35], 0x0
.LBB201_3:
	s_and_not1_b32 vcc_lo, exec_lo, s33
	s_cbranch_vccnz .LBB201_5
; %bb.4:
	s_load_b32 s35, s[34:35], 0x4
.LBB201_5:
	s_bitcmp1_b32 s14, 8
	s_mov_b32 s33, 0
	s_cselect_b32 s34, -1, 0
	s_bfe_u32 s14, s14, 0x10008
	s_delay_alu instid0(SALU_CYCLE_1)
	s_cmp_eq_u32 s14, 0
	s_mov_b32 s14, 0
	s_cbranch_scc1 .LBB201_11
; %bb.6:
	v_cmp_ne_u32_e32 vcc_lo, 1, v1
	s_mov_b32 s14, s8
	s_cbranch_vccnz .LBB201_8
; %bb.7:
	s_load_b32 s14, s[8:9], 0x0
.LBB201_8:
	v_cmp_ne_u32_e32 vcc_lo, 1, v1
	s_cbranch_vccnz .LBB201_10
; %bb.9:
	s_load_b32 s9, s[8:9], 0x4
.LBB201_10:
	s_waitcnt lgkmcnt(0)
	s_mov_b32 s33, s9
.LBB201_11:
	s_load_b64 s[0:1], s[0:1], 0x0
	v_and_b32_e32 v15, 15, v0
	v_lshrrev_b32_e32 v2, 4, v0
	v_mov_b32_e32 v0, 0
	s_mov_b32 s8, 0
	s_delay_alu instid0(VALU_DEP_3) | instskip(SKIP_2) | instid1(VALU_DEP_3)
	v_lshlrev_b32_e32 v4, 3, v15
	v_or_b32_e32 v12, -16, v15
	v_lshlrev_b32_e32 v3, 2, v15
	v_lshl_or_b32 v11, v2, 8, v4
	s_delay_alu instid0(VALU_DEP_3) | instskip(NEXT) | instid1(VALU_DEP_2)
	v_dual_mov_b32 v6, v12 :: v_dual_lshlrev_b32 v1, 7, v2
	v_mov_b32_e32 v4, v11
	s_delay_alu instid0(VALU_DEP_2) | instskip(SKIP_3) | instid1(VALU_DEP_3)
	v_or3_b32 v10, v1, v3, 0x1000
	v_mov_b32_e32 v1, v0
	s_waitcnt lgkmcnt(0)
	v_mov_b32_e32 v5, s1
	v_mov_b32_e32 v3, v10
.LBB201_12:                             ; =>This Inner Loop Header: Depth=1
	v_add_co_u32 v6, s9, v6, 16
	s_delay_alu instid0(VALU_DEP_1)
	s_xor_b32 s9, s9, -1
	ds_store_b32 v3, v5
	ds_store_b64 v4, v[0:1]
	v_add_nc_u32_e32 v4, 0x80, v4
	v_add_nc_u32_e32 v3, 64, v3
	s_and_b32 s9, exec_lo, s9
	s_delay_alu instid0(SALU_CYCLE_1) | instskip(NEXT) | instid1(SALU_CYCLE_1)
	s_or_b32 s8, s9, s8
	s_and_not1_b32 exec_lo, exec_lo, s8
	s_cbranch_execnz .LBB201_12
; %bb.13:
	s_or_b32 exec_lo, exec_lo, s8
	s_lshl_b32 s8, s15, 4
	s_waitcnt lgkmcnt(0)
	buffer_gl0_inv
	v_and_or_b32 v0, 0xffffff0, s8, v2
	s_delay_alu instid0(VALU_DEP_1)
	v_cmp_gt_i32_e32 vcc_lo, s0, v0
	s_and_saveexec_b32 s0, vcc_lo
	s_cbranch_execz .LBB201_56
; %bb.14:
	s_cmp_eq_u64 s[38:39], 0
	s_cbranch_scc1 .LBB201_16
; %bb.15:
	s_load_b32 s0, s[36:37], 0x0
	s_waitcnt lgkmcnt(0)
	v_add_nc_u32_e32 v0, s0, v0
	s_delay_alu instid0(VALU_DEP_1) | instskip(NEXT) | instid1(VALU_DEP_1)
	v_ashrrev_i32_e32 v1, 31, v0
	v_lshlrev_b64 v[0:1], 2, v[0:1]
	s_delay_alu instid0(VALU_DEP_1) | instskip(NEXT) | instid1(VALU_DEP_2)
	v_add_co_u32 v0, vcc_lo, s38, v0
	v_add_co_ci_u32_e32 v1, vcc_lo, s39, v1, vcc_lo
	global_load_b32 v0, v[0:1], off
.LBB201_16:
	s_waitcnt vmcnt(0)
	v_ashrrev_i32_e32 v1, 31, v0
	v_lshl_or_b32 v13, v2, 7, 0x1000
	v_lshlrev_b32_e32 v14, 8, v2
	s_and_not1_b32 vcc_lo, exec_lo, s41
	s_delay_alu instid0(VALU_DEP_3)
	v_lshlrev_b64 v[4:5], 3, v[0:1]
	s_cbranch_vccnz .LBB201_36
; %bb.17:
	s_delay_alu instid0(VALU_DEP_1) | instskip(NEXT) | instid1(VALU_DEP_2)
	v_add_co_u32 v0, vcc_lo, s16, v4
	v_add_co_ci_u32_e32 v1, vcc_lo, s17, v5, vcc_lo
	v_sub_co_u32 v8, s0, v15, s24
	s_delay_alu instid0(VALU_DEP_1)
	v_sub_co_ci_u32_e64 v9, null, 0, 0, s0
	global_load_b128 v[0:3], v[0:1], off
	s_mov_b32 s8, 0
	s_mov_b32 s0, exec_lo
	s_waitcnt vmcnt(0)
	v_sub_co_u32 v6, vcc_lo, v2, s24
	v_subrev_co_ci_u32_e32 v7, vcc_lo, 0, v3, vcc_lo
	v_add_co_u32 v8, vcc_lo, v0, v8
	v_add_co_ci_u32_e32 v9, vcc_lo, v1, v9, vcc_lo
	s_delay_alu instid0(VALU_DEP_1)
	v_cmpx_lt_i64_e64 v[8:9], v[6:7]
	s_cbranch_execz .LBB201_35
; %bb.18:
	s_mov_b32 s9, s25
	s_branch .LBB201_20
.LBB201_19:                             ;   in Loop: Header=BB201_20 Depth=1
	s_or_b32 exec_lo, exec_lo, s15
	v_add_co_u32 v8, vcc_lo, v8, 16
	v_add_co_ci_u32_e32 v9, vcc_lo, 0, v9, vcc_lo
	s_delay_alu instid0(VALU_DEP_1) | instskip(SKIP_1) | instid1(SALU_CYCLE_1)
	v_cmp_ge_i64_e32 vcc_lo, v[8:9], v[6:7]
	s_or_b32 s8, vcc_lo, s8
	s_and_not1_b32 exec_lo, exec_lo, s8
	s_cbranch_execz .LBB201_35
.LBB201_20:                             ; =>This Loop Header: Depth=1
                                        ;     Child Loop BB201_23 Depth 2
                                        ;       Child Loop BB201_25 Depth 3
	v_lshlrev_b64 v[0:1], 2, v[8:9]
	s_mov_b32 s15, exec_lo
	s_delay_alu instid0(VALU_DEP_1) | instskip(NEXT) | instid1(VALU_DEP_2)
	v_add_co_u32 v0, vcc_lo, s18, v0
	v_add_co_ci_u32_e32 v1, vcc_lo, s19, v1, vcc_lo
	global_load_b32 v0, v[0:1], off
	s_waitcnt vmcnt(0)
	v_subrev_nc_u32_e32 v0, s24, v0
	s_delay_alu instid0(VALU_DEP_1) | instskip(NEXT) | instid1(VALU_DEP_1)
	v_ashrrev_i32_e32 v1, 31, v0
	v_lshlrev_b64 v[0:1], 3, v[0:1]
	s_delay_alu instid0(VALU_DEP_1) | instskip(NEXT) | instid1(VALU_DEP_2)
	v_add_co_u32 v0, vcc_lo, s22, v0
	v_add_co_ci_u32_e32 v1, vcc_lo, s23, v1, vcc_lo
	global_load_b128 v[0:3], v[0:1], off
	s_waitcnt vmcnt(0)
	v_cmpx_lt_i64_e64 v[0:1], v[2:3]
	s_cbranch_execz .LBB201_19
; %bb.21:                               ;   in Loop: Header=BB201_20 Depth=1
	v_lshlrev_b64 v[16:17], 3, v[8:9]
	s_mov_b32 s16, 0
	s_delay_alu instid0(VALU_DEP_1) | instskip(NEXT) | instid1(VALU_DEP_2)
	v_add_co_u32 v16, vcc_lo, s20, v16
	v_add_co_ci_u32_e32 v17, vcc_lo, s21, v17, vcc_lo
	v_sub_co_u32 v2, vcc_lo, v2, s9
	v_subrev_co_ci_u32_e32 v3, vcc_lo, 0, v3, vcc_lo
	global_load_b64 v[18:19], v[16:17], off
	v_sub_co_u32 v0, vcc_lo, v0, s9
	v_subrev_co_ci_u32_e32 v1, vcc_lo, 0, v1, vcc_lo
	s_waitcnt vmcnt(0)
	v_mul_f32_e64 v16, v19, -s35
	s_delay_alu instid0(VALU_DEP_1) | instskip(NEXT) | instid1(VALU_DEP_1)
	v_dual_mul_f32 v17, s40, v19 :: v_dual_fmac_f32 v16, s40, v18
	v_fmac_f32_e32 v17, s35, v18
	s_branch .LBB201_23
.LBB201_22:                             ;   in Loop: Header=BB201_23 Depth=2
	s_or_b32 exec_lo, exec_lo, s17
	v_add_co_u32 v0, vcc_lo, v0, 1
	v_add_co_ci_u32_e32 v1, vcc_lo, 0, v1, vcc_lo
	s_delay_alu instid0(VALU_DEP_1) | instskip(SKIP_1) | instid1(SALU_CYCLE_1)
	v_cmp_ge_i64_e32 vcc_lo, v[0:1], v[2:3]
	s_or_b32 s16, vcc_lo, s16
	s_and_not1_b32 exec_lo, exec_lo, s16
	s_cbranch_execz .LBB201_19
.LBB201_23:                             ;   Parent Loop BB201_20 Depth=1
                                        ; =>  This Loop Header: Depth=2
                                        ;       Child Loop BB201_25 Depth 3
	v_lshlrev_b64 v[18:19], 2, v[0:1]
	v_lshlrev_b64 v[20:21], 3, v[0:1]
	s_mov_b32 s17, 0
	s_delay_alu instid0(VALU_DEP_2) | instskip(NEXT) | instid1(VALU_DEP_3)
	v_add_co_u32 v18, vcc_lo, s4, v18
	v_add_co_ci_u32_e32 v19, vcc_lo, s5, v19, vcc_lo
	s_delay_alu instid0(VALU_DEP_3) | instskip(NEXT) | instid1(VALU_DEP_4)
	v_add_co_u32 v20, vcc_lo, s6, v20
	v_add_co_ci_u32_e32 v21, vcc_lo, s7, v21, vcc_lo
	global_load_b32 v18, v[18:19], off
	global_load_b64 v[21:22], v[20:21], off
	s_waitcnt vmcnt(1)
	v_subrev_nc_u32_e32 v18, s25, v18
	s_waitcnt vmcnt(0)
	v_mul_f32_e64 v19, v22, -v17
	v_mul_f32_e32 v20, v16, v22
	s_delay_alu instid0(VALU_DEP_3) | instskip(NEXT) | instid1(VALU_DEP_3)
	v_lshl_add_u32 v22, v18, 3, v18
	v_fmac_f32_e32 v19, v16, v21
	s_delay_alu instid0(VALU_DEP_2)
	v_dual_fmac_f32 v20, v17, v21 :: v_dual_and_b32 v21, 31, v22
	s_branch .LBB201_25
.LBB201_24:                             ;   in Loop: Header=BB201_25 Depth=3
	s_or_b32 exec_lo, exec_lo, s36
	s_xor_b32 s36, s37, -1
	s_delay_alu instid0(SALU_CYCLE_1) | instskip(NEXT) | instid1(SALU_CYCLE_1)
	s_and_b32 s36, exec_lo, s36
	s_or_b32 s17, s36, s17
	s_delay_alu instid0(SALU_CYCLE_1)
	s_and_not1_b32 exec_lo, exec_lo, s17
	s_cbranch_execz .LBB201_22
.LBB201_25:                             ;   Parent Loop BB201_20 Depth=1
                                        ;     Parent Loop BB201_23 Depth=2
                                        ; =>    This Inner Loop Header: Depth=3
	s_delay_alu instid0(VALU_DEP_1)
	v_lshl_add_u32 v22, v21, 2, v13
	s_mov_b32 s36, exec_lo
                                        ; implicit-def: $sgpr37
	ds_load_b32 v23, v22
	s_waitcnt lgkmcnt(0)
	v_cmpx_ne_u32_e64 v23, v18
	s_xor_b32 s36, exec_lo, s36
	s_cbranch_execz .LBB201_33
; %bb.26:                               ;   in Loop: Header=BB201_25 Depth=3
	s_mov_b32 s38, exec_lo
                                        ; implicit-def: $sgpr37
	v_cmpx_ne_u32_e64 s1, v23
	s_xor_b32 s38, exec_lo, s38
; %bb.27:                               ;   in Loop: Header=BB201_25 Depth=3
	v_add_nc_u32_e32 v21, 1, v21
	s_mov_b32 s37, -1
                                        ; implicit-def: $vgpr22
	s_delay_alu instid0(VALU_DEP_1)
	v_and_b32_e32 v21, 31, v21
; %bb.28:                               ;   in Loop: Header=BB201_25 Depth=3
	s_and_not1_saveexec_b32 s38, s38
	s_cbranch_execz .LBB201_32
; %bb.29:                               ;   in Loop: Header=BB201_25 Depth=3
	v_mov_b32_e32 v23, s1
	s_mov_b32 s39, -1
	s_mov_b32 s41, exec_lo
	ds_cmpstore_rtn_b32 v22, v22, v18, v23
	s_waitcnt lgkmcnt(0)
	v_cmpx_eq_u32_e64 s1, v22
	s_cbranch_execz .LBB201_31
; %bb.30:                               ;   in Loop: Header=BB201_25 Depth=3
	v_lshl_add_u32 v22, v21, 3, v14
	s_xor_b32 s39, exec_lo, -1
	ds_add_f32 v22, v19
	ds_add_f32 v22, v20 offset:4
.LBB201_31:                             ;   in Loop: Header=BB201_25 Depth=3
	s_or_b32 exec_lo, exec_lo, s41
	s_delay_alu instid0(SALU_CYCLE_1) | instskip(SKIP_1) | instid1(SALU_CYCLE_1)
	s_and_not1_b32 s37, s37, exec_lo
	s_and_b32 s39, s39, exec_lo
	s_or_b32 s37, s37, s39
.LBB201_32:                             ;   in Loop: Header=BB201_25 Depth=3
	s_or_b32 exec_lo, exec_lo, s38
	s_delay_alu instid0(SALU_CYCLE_1)
	s_and_b32 s37, s37, exec_lo
.LBB201_33:                             ;   in Loop: Header=BB201_25 Depth=3
	s_and_not1_saveexec_b32 s36, s36
	s_cbranch_execz .LBB201_24
; %bb.34:                               ;   in Loop: Header=BB201_25 Depth=3
	v_lshl_add_u32 v22, v21, 3, v14
	s_and_not1_b32 s37, s37, exec_lo
	ds_add_f32 v22, v19
	ds_add_f32 v22, v20 offset:4
	s_branch .LBB201_24
.LBB201_35:
	s_or_b32 exec_lo, exec_lo, s0
.LBB201_36:
	s_delay_alu instid0(SALU_CYCLE_1)
	s_and_not1_b32 vcc_lo, exec_lo, s34
	s_cbranch_vccnz .LBB201_39
; %bb.37:
	s_delay_alu instid0(VALU_DEP_1) | instskip(NEXT) | instid1(VALU_DEP_2)
	v_add_co_u32 v0, vcc_lo, s10, v4
	v_add_co_ci_u32_e32 v1, vcc_lo, s11, v5, vcc_lo
	v_sub_co_u32 v2, s0, v15, s27
	s_delay_alu instid0(VALU_DEP_1)
	v_sub_co_ci_u32_e64 v3, null, 0, 0, s0
	global_load_b128 v[6:9], v[0:1], off
	s_mov_b32 s4, 0
	s_mov_b32 s0, exec_lo
	s_waitcnt vmcnt(0)
	v_sub_co_u32 v0, vcc_lo, v8, s27
	v_subrev_co_ci_u32_e32 v1, vcc_lo, 0, v9, vcc_lo
	v_add_co_u32 v2, vcc_lo, v6, v2
	v_add_co_ci_u32_e32 v3, vcc_lo, v7, v3, vcc_lo
	s_delay_alu instid0(VALU_DEP_1)
	v_cmpx_lt_i64_e64 v[2:3], v[0:1]
	s_cbranch_execnz .LBB201_44
.LBB201_38:
	s_or_b32 exec_lo, exec_lo, s0
.LBB201_39:
	s_delay_alu instid0(VALU_DEP_1) | instskip(NEXT) | instid1(VALU_DEP_2)
	v_add_co_u32 v0, vcc_lo, s12, v4
	v_add_co_ci_u32_e32 v1, vcc_lo, s13, v5, vcc_lo
	s_waitcnt lgkmcnt(0)
	buffer_gl0_inv
	s_mov_b32 s0, 0
	global_load_b64 v[0:1], v[0:1], off
	s_waitcnt vmcnt(0)
	v_sub_co_u32 v0, vcc_lo, v0, s26
	v_subrev_co_ci_u32_e32 v1, vcc_lo, 0, v1, vcc_lo
	s_delay_alu instid0(VALU_DEP_1) | instskip(NEXT) | instid1(VALU_DEP_1)
	v_lshlrev_b64 v[0:1], 3, v[0:1]
	v_add_co_u32 v0, vcc_lo, s2, v0
	s_delay_alu instid0(VALU_DEP_2)
	v_add_co_ci_u32_e32 v1, vcc_lo, s3, v1, vcc_lo
	s_branch .LBB201_41
.LBB201_40:                             ;   in Loop: Header=BB201_41 Depth=1
	s_or_b32 exec_lo, exec_lo, s2
	v_add_co_u32 v12, s2, v12, 16
	s_delay_alu instid0(VALU_DEP_1) | instskip(SKIP_3) | instid1(SALU_CYCLE_1)
	s_xor_b32 s2, s2, -1
	v_add_nc_u32_e32 v11, 0x80, v11
	v_add_nc_u32_e32 v10, 64, v10
	s_and_b32 s2, exec_lo, s2
	s_or_b32 s0, s2, s0
	s_delay_alu instid0(SALU_CYCLE_1)
	s_and_not1_b32 exec_lo, exec_lo, s0
	s_cbranch_execz .LBB201_56
.LBB201_41:                             ; =>This Inner Loop Header: Depth=1
	ds_load_b32 v2, v10
	s_mov_b32 s2, exec_lo
	s_waitcnt lgkmcnt(0)
	v_cmpx_gt_i32_e64 s1, v2
	s_cbranch_execz .LBB201_40
; %bb.42:                               ;   in Loop: Header=BB201_41 Depth=1
	ds_load_b128 v[3:6], v13
	ds_load_b128 v[14:17], v13 offset:16
	ds_load_b128 v[18:21], v13 offset:32
	;; [unrolled: 1-line block ×7, first 2 shown]
	s_waitcnt lgkmcnt(7)
	v_cmp_gt_i32_e32 vcc_lo, v2, v3
	v_cndmask_b32_e64 v3, 0, 1, vcc_lo
	v_cmp_gt_i32_e32 vcc_lo, v2, v4
	s_delay_alu instid0(VALU_DEP_2) | instskip(SKIP_2) | instid1(VALU_DEP_2)
	v_lshlrev_b32_e32 v3, 3, v3
	v_cndmask_b32_e64 v4, 0, 1, vcc_lo
	v_cmp_gt_i32_e32 vcc_lo, v2, v5
	v_lshlrev_b32_e32 v4, 3, v4
	v_cndmask_b32_e64 v5, 0, 1, vcc_lo
	v_cmp_gt_i32_e32 vcc_lo, v2, v6
	s_delay_alu instid0(VALU_DEP_2) | instskip(SKIP_3) | instid1(VALU_DEP_2)
	v_lshlrev_b32_e32 v5, 3, v5
	v_cndmask_b32_e64 v6, 0, 1, vcc_lo
	s_waitcnt lgkmcnt(6)
	v_cmp_gt_i32_e32 vcc_lo, v2, v14
	v_lshlrev_b32_e32 v6, 3, v6
	v_cndmask_b32_e64 v7, 0, 1, vcc_lo
	v_cmp_gt_i32_e32 vcc_lo, v2, v15
	v_cndmask_b32_e64 v8, 0, 1, vcc_lo
	v_cmp_gt_i32_e32 vcc_lo, v2, v16
	;; [unrolled: 2-line block ×3, first 2 shown]
	v_cndmask_b32_e64 v14, 0, 1, vcc_lo
	v_add_co_u32 v3, vcc_lo, v0, v3
	v_add_co_ci_u32_e32 v15, vcc_lo, 0, v1, vcc_lo
	s_delay_alu instid0(VALU_DEP_2) | instskip(NEXT) | instid1(VALU_DEP_2)
	v_add_co_u32 v3, vcc_lo, v3, v4
	v_add_co_ci_u32_e32 v4, vcc_lo, 0, v15, vcc_lo
	s_delay_alu instid0(VALU_DEP_2) | instskip(NEXT) | instid1(VALU_DEP_2)
	v_add_co_u32 v3, vcc_lo, v3, v5
	v_add_co_ci_u32_e32 v4, vcc_lo, 0, v4, vcc_lo
	v_lshlrev_b32_e32 v5, 3, v7
	s_delay_alu instid0(VALU_DEP_3) | instskip(NEXT) | instid1(VALU_DEP_3)
	v_add_co_u32 v3, vcc_lo, v3, v6
	v_add_co_ci_u32_e32 v4, vcc_lo, 0, v4, vcc_lo
	v_lshlrev_b32_e32 v6, 3, v8
	s_delay_alu instid0(VALU_DEP_3) | instskip(NEXT) | instid1(VALU_DEP_3)
	v_add_co_u32 v3, vcc_lo, v3, v5
	v_add_co_ci_u32_e32 v4, vcc_lo, 0, v4, vcc_lo
	v_lshlrev_b32_e32 v5, 3, v9
	s_delay_alu instid0(VALU_DEP_3) | instskip(NEXT) | instid1(VALU_DEP_3)
	v_add_co_u32 v3, vcc_lo, v3, v6
	v_add_co_ci_u32_e32 v4, vcc_lo, 0, v4, vcc_lo
	v_lshlrev_b32_e32 v6, 3, v14
	s_delay_alu instid0(VALU_DEP_3) | instskip(NEXT) | instid1(VALU_DEP_3)
	v_add_co_u32 v3, vcc_lo, v3, v5
	v_add_co_ci_u32_e32 v4, vcc_lo, 0, v4, vcc_lo
	s_waitcnt lgkmcnt(5)
	v_cmp_gt_i32_e32 vcc_lo, v2, v18
	v_cndmask_b32_e64 v5, 0, 1, vcc_lo
	v_add_co_u32 v3, vcc_lo, v3, v6
	v_add_co_ci_u32_e32 v4, vcc_lo, 0, v4, vcc_lo
	v_cmp_gt_i32_e32 vcc_lo, v2, v19
	s_delay_alu instid0(VALU_DEP_4) | instskip(SKIP_3) | instid1(VALU_DEP_4)
	v_lshlrev_b32_e32 v5, 3, v5
	v_cndmask_b32_e64 v6, 0, 1, vcc_lo
	v_cmp_gt_i32_e32 vcc_lo, v2, v20
	v_cndmask_b32_e64 v7, 0, 1, vcc_lo
	v_add_co_u32 v3, vcc_lo, v3, v5
	v_add_co_ci_u32_e32 v4, vcc_lo, 0, v4, vcc_lo
	v_lshlrev_b32_e32 v5, 3, v6
	v_cmp_gt_i32_e32 vcc_lo, v2, v21
	v_lshlrev_b32_e32 v6, 3, v7
	v_cndmask_b32_e64 v7, 0, 1, vcc_lo
	s_delay_alu instid0(VALU_DEP_4) | instskip(SKIP_1) | instid1(VALU_DEP_3)
	v_add_co_u32 v3, vcc_lo, v3, v5
	v_add_co_ci_u32_e32 v4, vcc_lo, 0, v4, vcc_lo
	v_lshlrev_b32_e32 v5, 3, v7
	s_delay_alu instid0(VALU_DEP_3) | instskip(NEXT) | instid1(VALU_DEP_3)
	v_add_co_u32 v3, vcc_lo, v3, v6
	v_add_co_ci_u32_e32 v4, vcc_lo, 0, v4, vcc_lo
	s_waitcnt lgkmcnt(4)
	v_cmp_gt_i32_e32 vcc_lo, v2, v22
	v_cndmask_b32_e64 v6, 0, 1, vcc_lo
	v_add_co_u32 v3, vcc_lo, v3, v5
	v_add_co_ci_u32_e32 v4, vcc_lo, 0, v4, vcc_lo
	v_cmp_gt_i32_e32 vcc_lo, v2, v23
	s_delay_alu instid0(VALU_DEP_4) | instskip(SKIP_3) | instid1(VALU_DEP_4)
	v_lshlrev_b32_e32 v5, 3, v6
	v_cndmask_b32_e64 v6, 0, 1, vcc_lo
	v_cmp_gt_i32_e32 vcc_lo, v2, v24
	v_cndmask_b32_e64 v7, 0, 1, vcc_lo
	v_add_co_u32 v3, vcc_lo, v3, v5
	v_add_co_ci_u32_e32 v4, vcc_lo, 0, v4, vcc_lo
	v_lshlrev_b32_e32 v5, 3, v6
	v_cmp_gt_i32_e32 vcc_lo, v2, v25
	v_lshlrev_b32_e32 v6, 3, v7
	v_cndmask_b32_e64 v7, 0, 1, vcc_lo
	s_delay_alu instid0(VALU_DEP_4) | instskip(SKIP_1) | instid1(VALU_DEP_3)
	v_add_co_u32 v3, vcc_lo, v3, v5
	v_add_co_ci_u32_e32 v4, vcc_lo, 0, v4, vcc_lo
	v_lshlrev_b32_e32 v5, 3, v7
	s_delay_alu instid0(VALU_DEP_3) | instskip(NEXT) | instid1(VALU_DEP_3)
	v_add_co_u32 v3, vcc_lo, v3, v6
	v_add_co_ci_u32_e32 v4, vcc_lo, 0, v4, vcc_lo
	s_waitcnt lgkmcnt(3)
	v_cmp_gt_i32_e32 vcc_lo, v2, v26
	v_cndmask_b32_e64 v6, 0, 1, vcc_lo
	v_add_co_u32 v3, vcc_lo, v3, v5
	v_add_co_ci_u32_e32 v4, vcc_lo, 0, v4, vcc_lo
	v_cmp_gt_i32_e32 vcc_lo, v2, v27
	s_delay_alu instid0(VALU_DEP_4) | instskip(SKIP_3) | instid1(VALU_DEP_4)
	v_lshlrev_b32_e32 v5, 3, v6
	v_cndmask_b32_e64 v6, 0, 1, vcc_lo
	v_cmp_gt_i32_e32 vcc_lo, v2, v28
	v_cndmask_b32_e64 v7, 0, 1, vcc_lo
	v_add_co_u32 v3, vcc_lo, v3, v5
	v_add_co_ci_u32_e32 v4, vcc_lo, 0, v4, vcc_lo
	v_lshlrev_b32_e32 v5, 3, v6
	v_cmp_gt_i32_e32 vcc_lo, v2, v29
	v_lshlrev_b32_e32 v6, 3, v7
	v_cndmask_b32_e64 v7, 0, 1, vcc_lo
	s_delay_alu instid0(VALU_DEP_4) | instskip(SKIP_1) | instid1(VALU_DEP_3)
	v_add_co_u32 v3, vcc_lo, v3, v5
	v_add_co_ci_u32_e32 v4, vcc_lo, 0, v4, vcc_lo
	v_lshlrev_b32_e32 v5, 3, v7
	s_delay_alu instid0(VALU_DEP_3) | instskip(NEXT) | instid1(VALU_DEP_3)
	v_add_co_u32 v3, vcc_lo, v3, v6
	v_add_co_ci_u32_e32 v4, vcc_lo, 0, v4, vcc_lo
	s_waitcnt lgkmcnt(2)
	v_cmp_gt_i32_e32 vcc_lo, v2, v30
	v_cndmask_b32_e64 v6, 0, 1, vcc_lo
	v_add_co_u32 v3, vcc_lo, v3, v5
	v_add_co_ci_u32_e32 v4, vcc_lo, 0, v4, vcc_lo
	v_cmp_gt_i32_e32 vcc_lo, v2, v31
	s_delay_alu instid0(VALU_DEP_4) | instskip(SKIP_3) | instid1(VALU_DEP_4)
	v_lshlrev_b32_e32 v5, 3, v6
	v_cndmask_b32_e64 v6, 0, 1, vcc_lo
	v_cmp_gt_i32_e32 vcc_lo, v2, v32
	v_cndmask_b32_e64 v7, 0, 1, vcc_lo
	v_add_co_u32 v3, vcc_lo, v3, v5
	v_add_co_ci_u32_e32 v4, vcc_lo, 0, v4, vcc_lo
	v_lshlrev_b32_e32 v5, 3, v6
	v_cmp_gt_i32_e32 vcc_lo, v2, v33
	v_lshlrev_b32_e32 v6, 3, v7
	v_cndmask_b32_e64 v7, 0, 1, vcc_lo
	s_delay_alu instid0(VALU_DEP_4) | instskip(SKIP_1) | instid1(VALU_DEP_3)
	v_add_co_u32 v3, vcc_lo, v3, v5
	v_add_co_ci_u32_e32 v4, vcc_lo, 0, v4, vcc_lo
	v_lshlrev_b32_e32 v5, 3, v7
	s_delay_alu instid0(VALU_DEP_3) | instskip(NEXT) | instid1(VALU_DEP_3)
	v_add_co_u32 v3, vcc_lo, v3, v6
	v_add_co_ci_u32_e32 v4, vcc_lo, 0, v4, vcc_lo
	s_waitcnt lgkmcnt(1)
	v_cmp_gt_i32_e32 vcc_lo, v2, v34
	v_cndmask_b32_e64 v6, 0, 1, vcc_lo
	v_add_co_u32 v3, vcc_lo, v3, v5
	v_add_co_ci_u32_e32 v4, vcc_lo, 0, v4, vcc_lo
	v_cmp_gt_i32_e32 vcc_lo, v2, v35
	s_delay_alu instid0(VALU_DEP_4) | instskip(SKIP_3) | instid1(VALU_DEP_4)
	v_lshlrev_b32_e32 v5, 3, v6
	v_cndmask_b32_e64 v6, 0, 1, vcc_lo
	v_cmp_gt_i32_e32 vcc_lo, v2, v36
	v_cndmask_b32_e64 v7, 0, 1, vcc_lo
	v_add_co_u32 v3, vcc_lo, v3, v5
	v_add_co_ci_u32_e32 v4, vcc_lo, 0, v4, vcc_lo
	v_lshlrev_b32_e32 v5, 3, v6
	v_cmp_gt_i32_e32 vcc_lo, v2, v37
	v_lshlrev_b32_e32 v6, 3, v7
	v_cndmask_b32_e64 v7, 0, 1, vcc_lo
	s_delay_alu instid0(VALU_DEP_4) | instskip(SKIP_1) | instid1(VALU_DEP_3)
	v_add_co_u32 v3, vcc_lo, v3, v5
	v_add_co_ci_u32_e32 v4, vcc_lo, 0, v4, vcc_lo
	v_lshlrev_b32_e32 v5, 3, v7
	s_delay_alu instid0(VALU_DEP_3) | instskip(NEXT) | instid1(VALU_DEP_3)
	v_add_co_u32 v3, vcc_lo, v3, v6
	v_add_co_ci_u32_e32 v4, vcc_lo, 0, v4, vcc_lo
	s_waitcnt lgkmcnt(0)
	v_cmp_gt_i32_e32 vcc_lo, v2, v38
	v_cndmask_b32_e64 v6, 0, 1, vcc_lo
	v_add_co_u32 v3, vcc_lo, v3, v5
	v_add_co_ci_u32_e32 v4, vcc_lo, 0, v4, vcc_lo
	v_cmp_gt_i32_e32 vcc_lo, v2, v39
	s_delay_alu instid0(VALU_DEP_4) | instskip(SKIP_2) | instid1(VALU_DEP_2)
	v_lshlrev_b32_e32 v5, 3, v6
	v_cndmask_b32_e64 v6, 0, 1, vcc_lo
	v_cmp_gt_i32_e32 vcc_lo, v2, v40
	v_lshlrev_b32_e32 v6, 3, v6
	v_cndmask_b32_e64 v7, 0, 1, vcc_lo
	v_add_co_u32 v5, vcc_lo, v3, v5
	v_add_co_ci_u32_e32 v8, vcc_lo, 0, v4, vcc_lo
	v_cmp_gt_i32_e32 vcc_lo, v2, v41
	ds_load_b64 v[3:4], v11
	v_lshlrev_b32_e32 v7, 3, v7
	v_cndmask_b32_e64 v2, 0, 1, vcc_lo
	v_add_co_u32 v5, vcc_lo, v5, v6
	v_add_co_ci_u32_e32 v6, vcc_lo, 0, v8, vcc_lo
	s_delay_alu instid0(VALU_DEP_3) | instskip(NEXT) | instid1(VALU_DEP_3)
	v_lshlrev_b32_e32 v2, 3, v2
	v_add_co_u32 v5, vcc_lo, v5, v7
	s_delay_alu instid0(VALU_DEP_3) | instskip(NEXT) | instid1(VALU_DEP_2)
	v_add_co_ci_u32_e32 v6, vcc_lo, 0, v6, vcc_lo
	v_add_co_u32 v5, vcc_lo, v5, v2
	s_delay_alu instid0(VALU_DEP_2)
	v_add_co_ci_u32_e32 v6, vcc_lo, 0, v6, vcc_lo
	s_waitcnt lgkmcnt(0)
	global_store_b64 v[5:6], v[3:4], off
	s_branch .LBB201_40
.LBB201_43:                             ;   in Loop: Header=BB201_44 Depth=1
	s_or_b32 exec_lo, exec_lo, s5
	v_add_co_u32 v2, vcc_lo, v2, 16
	v_add_co_ci_u32_e32 v3, vcc_lo, 0, v3, vcc_lo
	s_delay_alu instid0(VALU_DEP_1) | instskip(SKIP_1) | instid1(SALU_CYCLE_1)
	v_cmp_ge_i64_e32 vcc_lo, v[2:3], v[0:1]
	s_or_b32 s4, vcc_lo, s4
	s_and_not1_b32 exec_lo, exec_lo, s4
	s_cbranch_execz .LBB201_38
.LBB201_44:                             ; =>This Loop Header: Depth=1
                                        ;     Child Loop BB201_46 Depth 2
	v_lshlrev_b64 v[6:7], 2, v[2:3]
	v_lshlrev_b64 v[8:9], 3, v[2:3]
	s_mov_b32 s5, 0
	s_delay_alu instid0(VALU_DEP_2) | instskip(NEXT) | instid1(VALU_DEP_3)
	v_add_co_u32 v6, vcc_lo, s28, v6
	v_add_co_ci_u32_e32 v7, vcc_lo, s29, v7, vcc_lo
	s_delay_alu instid0(VALU_DEP_3) | instskip(NEXT) | instid1(VALU_DEP_4)
	v_add_co_u32 v8, vcc_lo, s30, v8
	v_add_co_ci_u32_e32 v9, vcc_lo, s31, v9, vcc_lo
	global_load_b32 v6, v[6:7], off
	global_load_b64 v[15:16], v[8:9], off
	s_waitcnt vmcnt(1)
	v_subrev_nc_u32_e32 v6, s27, v6
	s_waitcnt vmcnt(0)
	v_mul_f32_e64 v7, v16, -s33
	v_mul_f32_e32 v8, s14, v16
	s_delay_alu instid0(VALU_DEP_3) | instskip(NEXT) | instid1(VALU_DEP_3)
	v_lshl_add_u32 v9, v6, 3, v6
	v_fmac_f32_e32 v7, s14, v15
	s_delay_alu instid0(VALU_DEP_2)
	v_dual_fmac_f32 v8, s33, v15 :: v_dual_and_b32 v9, 31, v9
	s_branch .LBB201_46
.LBB201_45:                             ;   in Loop: Header=BB201_46 Depth=2
	s_or_b32 exec_lo, exec_lo, s6
	s_xor_b32 s6, s7, -1
	s_delay_alu instid0(SALU_CYCLE_1) | instskip(NEXT) | instid1(SALU_CYCLE_1)
	s_and_b32 s6, exec_lo, s6
	s_or_b32 s5, s6, s5
	s_delay_alu instid0(SALU_CYCLE_1)
	s_and_not1_b32 exec_lo, exec_lo, s5
	s_cbranch_execz .LBB201_43
.LBB201_46:                             ;   Parent Loop BB201_44 Depth=1
                                        ; =>  This Inner Loop Header: Depth=2
	s_delay_alu instid0(VALU_DEP_1)
	v_lshl_add_u32 v15, v9, 2, v13
	s_mov_b32 s6, exec_lo
                                        ; implicit-def: $sgpr7
	ds_load_b32 v16, v15
	s_waitcnt lgkmcnt(0)
	v_cmpx_ne_u32_e64 v16, v6
	s_xor_b32 s6, exec_lo, s6
	s_cbranch_execz .LBB201_54
; %bb.47:                               ;   in Loop: Header=BB201_46 Depth=2
	s_mov_b32 s8, exec_lo
                                        ; implicit-def: $sgpr7
	v_cmpx_ne_u32_e64 s1, v16
	s_xor_b32 s8, exec_lo, s8
; %bb.48:                               ;   in Loop: Header=BB201_46 Depth=2
	v_add_nc_u32_e32 v9, 1, v9
	s_mov_b32 s7, -1
                                        ; implicit-def: $vgpr15
	s_delay_alu instid0(VALU_DEP_1)
	v_and_b32_e32 v9, 31, v9
; %bb.49:                               ;   in Loop: Header=BB201_46 Depth=2
	s_and_not1_saveexec_b32 s8, s8
	s_cbranch_execz .LBB201_53
; %bb.50:                               ;   in Loop: Header=BB201_46 Depth=2
	v_mov_b32_e32 v16, s1
	s_mov_b32 s9, -1
	s_mov_b32 s10, exec_lo
	ds_cmpstore_rtn_b32 v15, v15, v6, v16
	s_waitcnt lgkmcnt(0)
	v_cmpx_eq_u32_e64 s1, v15
	s_cbranch_execz .LBB201_52
; %bb.51:                               ;   in Loop: Header=BB201_46 Depth=2
	v_lshl_add_u32 v15, v9, 3, v14
	s_xor_b32 s9, exec_lo, -1
	ds_add_f32 v15, v7
	ds_add_f32 v15, v8 offset:4
.LBB201_52:                             ;   in Loop: Header=BB201_46 Depth=2
	s_or_b32 exec_lo, exec_lo, s10
	s_delay_alu instid0(SALU_CYCLE_1) | instskip(SKIP_1) | instid1(SALU_CYCLE_1)
	s_and_not1_b32 s7, s7, exec_lo
	s_and_b32 s9, s9, exec_lo
	s_or_b32 s7, s7, s9
.LBB201_53:                             ;   in Loop: Header=BB201_46 Depth=2
	s_or_b32 exec_lo, exec_lo, s8
	s_delay_alu instid0(SALU_CYCLE_1)
	s_and_b32 s7, s7, exec_lo
.LBB201_54:                             ;   in Loop: Header=BB201_46 Depth=2
	s_and_not1_saveexec_b32 s6, s6
	s_cbranch_execz .LBB201_45
; %bb.55:                               ;   in Loop: Header=BB201_46 Depth=2
	v_lshl_add_u32 v15, v9, 3, v14
	s_and_not1_b32 s7, s7, exec_lo
	ds_add_f32 v15, v7
	ds_add_f32 v15, v8 offset:4
	s_branch .LBB201_45
.LBB201_56:
	s_nop 0
	s_sendmsg sendmsg(MSG_DEALLOC_VGPRS)
	s_endpgm
	.section	.rodata,"a",@progbits
	.p2align	6, 0x0
	.amdhsa_kernel _ZN9rocsparseL38csrgemm_numeric_fill_wf_per_row_kernelILj256ELj16ELj32ELj137Eli21rocsparse_complex_numIfEEEvT4_S3_PKS3_S5_NS_24const_host_device_scalarIT5_EEPKT3_S5_PKS7_SB_S5_SD_S8_SB_S5_SD_SB_S5_PS7_21rocsparse_index_base_SF_SF_SF_bbb
		.amdhsa_group_segment_fixed_size 6144
		.amdhsa_private_segment_fixed_size 0
		.amdhsa_kernarg_size 156
		.amdhsa_user_sgpr_count 15
		.amdhsa_user_sgpr_dispatch_ptr 0
		.amdhsa_user_sgpr_queue_ptr 0
		.amdhsa_user_sgpr_kernarg_segment_ptr 1
		.amdhsa_user_sgpr_dispatch_id 0
		.amdhsa_user_sgpr_private_segment_size 0
		.amdhsa_wavefront_size32 1
		.amdhsa_uses_dynamic_stack 0
		.amdhsa_enable_private_segment 0
		.amdhsa_system_sgpr_workgroup_id_x 1
		.amdhsa_system_sgpr_workgroup_id_y 0
		.amdhsa_system_sgpr_workgroup_id_z 0
		.amdhsa_system_sgpr_workgroup_info 0
		.amdhsa_system_vgpr_workitem_id 0
		.amdhsa_next_free_vgpr 42
		.amdhsa_next_free_sgpr 42
		.amdhsa_reserve_vcc 1
		.amdhsa_float_round_mode_32 0
		.amdhsa_float_round_mode_16_64 0
		.amdhsa_float_denorm_mode_32 3
		.amdhsa_float_denorm_mode_16_64 3
		.amdhsa_dx10_clamp 1
		.amdhsa_ieee_mode 1
		.amdhsa_fp16_overflow 0
		.amdhsa_workgroup_processor_mode 1
		.amdhsa_memory_ordered 1
		.amdhsa_forward_progress 0
		.amdhsa_shared_vgpr_count 0
		.amdhsa_exception_fp_ieee_invalid_op 0
		.amdhsa_exception_fp_denorm_src 0
		.amdhsa_exception_fp_ieee_div_zero 0
		.amdhsa_exception_fp_ieee_overflow 0
		.amdhsa_exception_fp_ieee_underflow 0
		.amdhsa_exception_fp_ieee_inexact 0
		.amdhsa_exception_int_div_zero 0
	.end_amdhsa_kernel
	.section	.text._ZN9rocsparseL38csrgemm_numeric_fill_wf_per_row_kernelILj256ELj16ELj32ELj137Eli21rocsparse_complex_numIfEEEvT4_S3_PKS3_S5_NS_24const_host_device_scalarIT5_EEPKT3_S5_PKS7_SB_S5_SD_S8_SB_S5_SD_SB_S5_PS7_21rocsparse_index_base_SF_SF_SF_bbb,"axG",@progbits,_ZN9rocsparseL38csrgemm_numeric_fill_wf_per_row_kernelILj256ELj16ELj32ELj137Eli21rocsparse_complex_numIfEEEvT4_S3_PKS3_S5_NS_24const_host_device_scalarIT5_EEPKT3_S5_PKS7_SB_S5_SD_S8_SB_S5_SD_SB_S5_PS7_21rocsparse_index_base_SF_SF_SF_bbb,comdat
.Lfunc_end201:
	.size	_ZN9rocsparseL38csrgemm_numeric_fill_wf_per_row_kernelILj256ELj16ELj32ELj137Eli21rocsparse_complex_numIfEEEvT4_S3_PKS3_S5_NS_24const_host_device_scalarIT5_EEPKT3_S5_PKS7_SB_S5_SD_S8_SB_S5_SD_SB_S5_PS7_21rocsparse_index_base_SF_SF_SF_bbb, .Lfunc_end201-_ZN9rocsparseL38csrgemm_numeric_fill_wf_per_row_kernelILj256ELj16ELj32ELj137Eli21rocsparse_complex_numIfEEEvT4_S3_PKS3_S5_NS_24const_host_device_scalarIT5_EEPKT3_S5_PKS7_SB_S5_SD_S8_SB_S5_SD_SB_S5_PS7_21rocsparse_index_base_SF_SF_SF_bbb
                                        ; -- End function
	.section	.AMDGPU.csdata,"",@progbits
; Kernel info:
; codeLenInByte = 3144
; NumSgprs: 44
; NumVgprs: 42
; ScratchSize: 0
; MemoryBound: 0
; FloatMode: 240
; IeeeMode: 1
; LDSByteSize: 6144 bytes/workgroup (compile time only)
; SGPRBlocks: 5
; VGPRBlocks: 5
; NumSGPRsForWavesPerEU: 44
; NumVGPRsForWavesPerEU: 42
; Occupancy: 16
; WaveLimiterHint : 1
; COMPUTE_PGM_RSRC2:SCRATCH_EN: 0
; COMPUTE_PGM_RSRC2:USER_SGPR: 15
; COMPUTE_PGM_RSRC2:TRAP_HANDLER: 0
; COMPUTE_PGM_RSRC2:TGID_X_EN: 1
; COMPUTE_PGM_RSRC2:TGID_Y_EN: 0
; COMPUTE_PGM_RSRC2:TGID_Z_EN: 0
; COMPUTE_PGM_RSRC2:TIDIG_COMP_CNT: 0
	.section	.text._ZN9rocsparseL41csrgemm_numeric_fill_block_per_row_kernelILj128ELj16ELj256ELj137ELj32Eli21rocsparse_complex_numIfEEEvT5_PKS3_S5_NS_24const_host_device_scalarIT6_EEPKT4_S5_PKS7_SB_S5_SD_S8_SB_S5_SD_SB_S5_PS7_21rocsparse_index_base_SF_SF_SF_bbb,"axG",@progbits,_ZN9rocsparseL41csrgemm_numeric_fill_block_per_row_kernelILj128ELj16ELj256ELj137ELj32Eli21rocsparse_complex_numIfEEEvT5_PKS3_S5_NS_24const_host_device_scalarIT6_EEPKT4_S5_PKS7_SB_S5_SD_S8_SB_S5_SD_SB_S5_PS7_21rocsparse_index_base_SF_SF_SF_bbb,comdat
	.globl	_ZN9rocsparseL41csrgemm_numeric_fill_block_per_row_kernelILj128ELj16ELj256ELj137ELj32Eli21rocsparse_complex_numIfEEEvT5_PKS3_S5_NS_24const_host_device_scalarIT6_EEPKT4_S5_PKS7_SB_S5_SD_S8_SB_S5_SD_SB_S5_PS7_21rocsparse_index_base_SF_SF_SF_bbb ; -- Begin function _ZN9rocsparseL41csrgemm_numeric_fill_block_per_row_kernelILj128ELj16ELj256ELj137ELj32Eli21rocsparse_complex_numIfEEEvT5_PKS3_S5_NS_24const_host_device_scalarIT6_EEPKT4_S5_PKS7_SB_S5_SD_S8_SB_S5_SD_SB_S5_PS7_21rocsparse_index_base_SF_SF_SF_bbb
	.p2align	8
	.type	_ZN9rocsparseL41csrgemm_numeric_fill_block_per_row_kernelILj128ELj16ELj256ELj137ELj32Eli21rocsparse_complex_numIfEEEvT5_PKS3_S5_NS_24const_host_device_scalarIT6_EEPKT4_S5_PKS7_SB_S5_SD_S8_SB_S5_SD_SB_S5_PS7_21rocsparse_index_base_SF_SF_SF_bbb,@function
_ZN9rocsparseL41csrgemm_numeric_fill_block_per_row_kernelILj128ELj16ELj256ELj137ELj32Eli21rocsparse_complex_numIfEEEvT5_PKS3_S5_NS_24const_host_device_scalarIT6_EEPKT4_S5_PKS7_SB_S5_SD_S8_SB_S5_SD_SB_S5_PS7_21rocsparse_index_base_SF_SF_SF_bbb: ; @_ZN9rocsparseL41csrgemm_numeric_fill_block_per_row_kernelILj128ELj16ELj256ELj137ELj32Eli21rocsparse_complex_numIfEEEvT5_PKS3_S5_NS_24const_host_device_scalarIT6_EEPKT4_S5_PKS7_SB_S5_SD_S8_SB_S5_SD_SB_S5_PS7_21rocsparse_index_base_SF_SF_SF_bbb
; %bb.0:
	s_clause 0x7
	s_load_b32 s33, s[0:1], 0x98
	s_load_b64 s[34:35], s[0:1], 0x70
	s_load_b128 s[28:31], s[0:1], 0x60
	s_load_b256 s[4:11], s[0:1], 0x40
	s_load_b128 s[36:39], s[0:1], 0x8
	s_load_b256 s[16:23], s[0:1], 0x20
	s_load_b64 s[12:13], s[0:1], 0x80
	s_load_b128 s[24:27], s[0:1], 0x88
	s_mov_b32 s3, 0
	s_mov_b32 s42, 0
	s_waitcnt lgkmcnt(0)
	s_bitcmp1_b32 s33, 0
	s_cselect_b32 s14, -1, 0
	s_bitcmp1_b32 s33, 16
	s_cselect_b32 s2, -1, 0
	s_delay_alu instid0(SALU_CYCLE_1) | instskip(SKIP_2) | instid1(VALU_DEP_1)
	s_xor_b32 s40, s2, -1
	s_bitcmp0_b32 s33, 0
	v_cndmask_b32_e64 v1, 0, 1, s40
	v_cmp_ne_u32_e32 vcc_lo, 1, v1
	s_cbranch_scc1 .LBB202_5
; %bb.1:
	s_load_b64 s[2:3], s[0:1], 0x18
	s_and_b32 vcc_lo, exec_lo, vcc_lo
	s_waitcnt lgkmcnt(0)
	s_mov_b32 s42, s2
	s_cbranch_vccnz .LBB202_3
; %bb.2:
	s_load_b32 s42, s[2:3], 0x0
.LBB202_3:
	s_and_not1_b32 vcc_lo, exec_lo, s40
	s_cbranch_vccnz .LBB202_5
; %bb.4:
	s_load_b32 s3, s[2:3], 0x4
.LBB202_5:
	s_bitcmp1_b32 s33, 8
	s_mov_b32 s41, 0
	s_cselect_b32 s2, -1, 0
	s_bfe_u32 s33, s33, 0x10008
	s_mov_b32 s40, 0
	s_cmp_eq_u32 s33, 0
	s_cbranch_scc1 .LBB202_11
; %bb.6:
	v_cmp_ne_u32_e32 vcc_lo, 1, v1
	s_mov_b32 s40, s8
	s_cbranch_vccnz .LBB202_8
; %bb.7:
	s_load_b32 s40, s[8:9], 0x0
.LBB202_8:
	v_cmp_ne_u32_e32 vcc_lo, 1, v1
	s_cbranch_vccnz .LBB202_10
; %bb.9:
	s_load_b32 s9, s[8:9], 0x4
.LBB202_10:
	s_waitcnt lgkmcnt(0)
	s_mov_b32 s41, s9
.LBB202_11:
	s_load_b32 s33, s[0:1], 0x0
	v_cmp_gt_u32_e64 s0, 0x100, v0
	v_lshlrev_b32_e32 v9, 3, v0
	v_or_b32_e32 v7, 0xffffff80, v0
	v_lshl_add_u32 v8, v0, 2, 0
	s_delay_alu instid0(VALU_DEP_4)
	s_and_saveexec_b32 s1, s0
	s_cbranch_execz .LBB202_14
; %bb.12:
	v_add3_u32 v1, v9, 0, 0x400
	v_or_b32_e32 v2, 0xffffff80, v0
	v_lshl_add_u32 v3, v0, 2, 0
	s_waitcnt lgkmcnt(0)
	v_dual_mov_b32 v4, s33 :: v_dual_mov_b32 v5, 0
	s_mov_b32 s8, 0
.LBB202_13:                             ; =>This Inner Loop Header: Depth=1
	v_add_co_u32 v2, s9, 0x80, v2
	s_delay_alu instid0(VALU_DEP_1)
	s_xor_b32 s9, s9, -1
	ds_store_b32 v3, v4
	ds_store_2addr_b32 v1, v5, v5 offset1:1
	v_add_nc_u32_e32 v1, 0x400, v1
	v_add_nc_u32_e32 v3, 0x200, v3
	s_and_b32 s9, exec_lo, s9
	s_delay_alu instid0(SALU_CYCLE_1) | instskip(NEXT) | instid1(SALU_CYCLE_1)
	s_or_b32 s8, s9, s8
	s_and_not1_b32 exec_lo, exec_lo, s8
	s_cbranch_execnz .LBB202_13
.LBB202_14:
	s_or_b32 exec_lo, exec_lo, s1
	s_waitcnt lgkmcnt(0)
	s_barrier
	buffer_gl0_inv
	s_load_b32 s1, s[36:37], 0x0
	s_mov_b32 s9, 0
	s_waitcnt lgkmcnt(0)
	s_add_i32 s8, s1, s15
	s_delay_alu instid0(SALU_CYCLE_1) | instskip(NEXT) | instid1(SALU_CYCLE_1)
	s_lshl_b64 s[8:9], s[8:9], 2
	s_add_u32 s8, s38, s8
	s_addc_u32 s9, s39, s9
	s_and_b32 vcc_lo, exec_lo, s14
	s_load_b32 s8, s[8:9], 0x0
	s_cbranch_vccz .LBB202_34
; %bb.15:
	s_waitcnt lgkmcnt(0)
	s_ashr_i32 s9, s8, 31
	v_lshrrev_b32_e32 v1, 4, v0
	s_lshl_b64 s[14:15], s[8:9], 3
	s_delay_alu instid0(SALU_CYCLE_1) | instskip(SKIP_1) | instid1(VALU_DEP_1)
	s_add_u32 s14, s16, s14
	s_addc_u32 s15, s17, s15
	v_sub_co_u32 v1, s1, v1, s24
	s_load_b128 s[36:39], s[14:15], 0x0
	v_sub_co_ci_u32_e64 v2, null, 0, 0, s1
	s_mov_b32 s1, exec_lo
	s_waitcnt lgkmcnt(0)
	v_add_co_u32 v1, vcc_lo, s36, v1
	s_delay_alu instid0(VALU_DEP_2)
	v_add_co_ci_u32_e32 v2, vcc_lo, s37, v2, vcc_lo
	s_sub_u32 s14, s38, s24
	s_subb_u32 s15, s39, 0
	s_delay_alu instid0(VALU_DEP_1) | instid1(SALU_CYCLE_1)
	v_cmpx_gt_i64_e64 s[14:15], v[1:2]
	s_cbranch_execz .LBB202_33
; %bb.16:
	v_and_b32_e32 v3, 15, v0
	s_mov_b32 s16, s25
	s_delay_alu instid0(VALU_DEP_1) | instskip(NEXT) | instid1(VALU_DEP_1)
	v_sub_co_u32 v10, s9, v3, s25
	v_sub_co_ci_u32_e64 v11, null, 0, 0, s9
	s_mov_b32 s9, 0
	s_branch .LBB202_18
.LBB202_17:                             ;   in Loop: Header=BB202_18 Depth=1
	s_or_b32 exec_lo, exec_lo, s17
	v_add_co_u32 v1, vcc_lo, v1, 8
	v_add_co_ci_u32_e32 v2, vcc_lo, 0, v2, vcc_lo
	s_delay_alu instid0(VALU_DEP_1) | instskip(SKIP_1) | instid1(SALU_CYCLE_1)
	v_cmp_le_i64_e32 vcc_lo, s[14:15], v[1:2]
	s_or_b32 s9, vcc_lo, s9
	s_and_not1_b32 exec_lo, exec_lo, s9
	s_cbranch_execz .LBB202_33
.LBB202_18:                             ; =>This Loop Header: Depth=1
                                        ;     Child Loop BB202_21 Depth 2
                                        ;       Child Loop BB202_23 Depth 3
	v_lshlrev_b64 v[3:4], 2, v[1:2]
	s_mov_b32 s17, exec_lo
	s_delay_alu instid0(VALU_DEP_1) | instskip(NEXT) | instid1(VALU_DEP_2)
	v_add_co_u32 v3, vcc_lo, s18, v3
	v_add_co_ci_u32_e32 v4, vcc_lo, s19, v4, vcc_lo
	global_load_b32 v3, v[3:4], off
	s_waitcnt vmcnt(0)
	v_subrev_nc_u32_e32 v3, s24, v3
	s_delay_alu instid0(VALU_DEP_1) | instskip(NEXT) | instid1(VALU_DEP_1)
	v_ashrrev_i32_e32 v4, 31, v3
	v_lshlrev_b64 v[3:4], 3, v[3:4]
	s_delay_alu instid0(VALU_DEP_1) | instskip(NEXT) | instid1(VALU_DEP_2)
	v_add_co_u32 v3, vcc_lo, s22, v3
	v_add_co_ci_u32_e32 v4, vcc_lo, s23, v4, vcc_lo
	global_load_b128 v[12:15], v[3:4], off
	s_waitcnt vmcnt(0)
	v_sub_co_u32 v3, vcc_lo, v14, s16
	v_subrev_co_ci_u32_e32 v4, vcc_lo, 0, v15, vcc_lo
	v_add_co_u32 v5, vcc_lo, v12, v10
	v_add_co_ci_u32_e32 v6, vcc_lo, v13, v11, vcc_lo
	s_delay_alu instid0(VALU_DEP_1)
	v_cmpx_lt_i64_e64 v[5:6], v[3:4]
	s_cbranch_execz .LBB202_17
; %bb.19:                               ;   in Loop: Header=BB202_18 Depth=1
	v_lshlrev_b64 v[12:13], 3, v[1:2]
	s_mov_b32 s36, 0
	s_delay_alu instid0(VALU_DEP_1) | instskip(NEXT) | instid1(VALU_DEP_2)
	v_add_co_u32 v12, vcc_lo, s20, v12
	v_add_co_ci_u32_e32 v13, vcc_lo, s21, v13, vcc_lo
	global_load_b64 v[14:15], v[12:13], off
	s_waitcnt vmcnt(0)
	v_mul_f32_e64 v12, v15, -s3
	s_delay_alu instid0(VALU_DEP_1) | instskip(NEXT) | instid1(VALU_DEP_1)
	v_dual_mul_f32 v13, s42, v15 :: v_dual_fmac_f32 v12, s42, v14
	v_fmac_f32_e32 v13, s3, v14
	s_branch .LBB202_21
.LBB202_20:                             ;   in Loop: Header=BB202_21 Depth=2
	s_or_b32 exec_lo, exec_lo, s37
	v_add_co_u32 v5, vcc_lo, v5, 16
	v_add_co_ci_u32_e32 v6, vcc_lo, 0, v6, vcc_lo
	s_delay_alu instid0(VALU_DEP_1) | instskip(SKIP_1) | instid1(SALU_CYCLE_1)
	v_cmp_ge_i64_e32 vcc_lo, v[5:6], v[3:4]
	s_or_b32 s36, vcc_lo, s36
	s_and_not1_b32 exec_lo, exec_lo, s36
	s_cbranch_execz .LBB202_17
.LBB202_21:                             ;   Parent Loop BB202_18 Depth=1
                                        ; =>  This Loop Header: Depth=2
                                        ;       Child Loop BB202_23 Depth 3
	v_lshlrev_b64 v[14:15], 2, v[5:6]
	v_lshlrev_b64 v[16:17], 3, v[5:6]
	s_mov_b32 s37, 0
	s_delay_alu instid0(VALU_DEP_2) | instskip(NEXT) | instid1(VALU_DEP_3)
	v_add_co_u32 v14, vcc_lo, s4, v14
	v_add_co_ci_u32_e32 v15, vcc_lo, s5, v15, vcc_lo
	global_load_b32 v19, v[14:15], off
	v_add_co_u32 v14, vcc_lo, s6, v16
	v_add_co_ci_u32_e32 v15, vcc_lo, s7, v17, vcc_lo
	global_load_b64 v[17:18], v[14:15], off
	s_waitcnt vmcnt(1)
	v_subrev_nc_u32_e32 v14, s25, v19
	s_delay_alu instid0(VALU_DEP_1) | instskip(SKIP_3) | instid1(VALU_DEP_2)
	v_mul_lo_u32 v19, 0x89, v14
	s_waitcnt vmcnt(0)
	v_mul_f32_e64 v15, v18, -v13
	v_mul_f32_e32 v16, v12, v18
	v_fmac_f32_e32 v15, v12, v17
	s_delay_alu instid0(VALU_DEP_2)
	v_dual_fmac_f32 v16, v13, v17 :: v_dual_and_b32 v17, 0xff, v19
	s_branch .LBB202_23
.LBB202_22:                             ;   in Loop: Header=BB202_23 Depth=3
	s_or_b32 exec_lo, exec_lo, s38
	s_xor_b32 s38, s39, -1
	s_delay_alu instid0(SALU_CYCLE_1) | instskip(NEXT) | instid1(SALU_CYCLE_1)
	s_and_b32 s38, exec_lo, s38
	s_or_b32 s37, s38, s37
	s_delay_alu instid0(SALU_CYCLE_1)
	s_and_not1_b32 exec_lo, exec_lo, s37
	s_cbranch_execz .LBB202_20
.LBB202_23:                             ;   Parent Loop BB202_18 Depth=1
                                        ;     Parent Loop BB202_21 Depth=2
                                        ; =>    This Inner Loop Header: Depth=3
	s_delay_alu instid0(VALU_DEP_1)
	v_lshl_add_u32 v18, v17, 2, 0
	s_mov_b32 s38, exec_lo
                                        ; implicit-def: $sgpr39
	ds_load_b32 v19, v18
	s_waitcnt lgkmcnt(0)
	v_cmpx_ne_u32_e64 v19, v14
	s_xor_b32 s38, exec_lo, s38
	s_cbranch_execz .LBB202_31
; %bb.24:                               ;   in Loop: Header=BB202_23 Depth=3
	s_mov_b32 s43, exec_lo
                                        ; implicit-def: $sgpr39
	v_cmpx_ne_u32_e64 s33, v19
	s_xor_b32 s43, exec_lo, s43
; %bb.25:                               ;   in Loop: Header=BB202_23 Depth=3
	v_add_nc_u32_e32 v17, 1, v17
	s_mov_b32 s39, -1
                                        ; implicit-def: $vgpr18
	s_delay_alu instid0(VALU_DEP_1)
	v_and_b32_e32 v17, 0xff, v17
; %bb.26:                               ;   in Loop: Header=BB202_23 Depth=3
	s_and_not1_saveexec_b32 s43, s43
	s_cbranch_execz .LBB202_30
; %bb.27:                               ;   in Loop: Header=BB202_23 Depth=3
	v_mov_b32_e32 v19, s33
	s_mov_b32 s44, -1
	s_mov_b32 s45, exec_lo
	ds_cmpstore_rtn_b32 v19, v18, v14, v19
	s_waitcnt lgkmcnt(0)
	v_cmpx_eq_u32_e64 s33, v19
	s_cbranch_execz .LBB202_29
; %bb.28:                               ;   in Loop: Header=BB202_23 Depth=3
	v_lshl_add_u32 v18, v17, 2, v18
	s_xor_b32 s44, exec_lo, -1
	ds_add_f32 v18, v15 offset:1024
	ds_add_f32 v18, v16 offset:1028
.LBB202_29:                             ;   in Loop: Header=BB202_23 Depth=3
	s_or_b32 exec_lo, exec_lo, s45
	s_delay_alu instid0(SALU_CYCLE_1) | instskip(SKIP_1) | instid1(SALU_CYCLE_1)
	s_and_not1_b32 s39, s39, exec_lo
	s_and_b32 s44, s44, exec_lo
	s_or_b32 s39, s39, s44
.LBB202_30:                             ;   in Loop: Header=BB202_23 Depth=3
	s_or_b32 exec_lo, exec_lo, s43
	s_delay_alu instid0(SALU_CYCLE_1)
	s_and_b32 s39, s39, exec_lo
                                        ; implicit-def: $vgpr18
.LBB202_31:                             ;   in Loop: Header=BB202_23 Depth=3
	s_and_not1_saveexec_b32 s38, s38
	s_cbranch_execz .LBB202_22
; %bb.32:                               ;   in Loop: Header=BB202_23 Depth=3
	v_lshl_add_u32 v18, v17, 2, v18
	s_and_not1_b32 s39, s39, exec_lo
	ds_add_f32 v18, v15 offset:1024
	ds_add_f32 v18, v16 offset:1028
	s_branch .LBB202_22
.LBB202_33:
	s_or_b32 exec_lo, exec_lo, s1
.LBB202_34:
	s_delay_alu instid0(SALU_CYCLE_1)
	s_and_not1_b32 vcc_lo, exec_lo, s2
	s_cbranch_vccnz .LBB202_37
; %bb.35:
	s_waitcnt lgkmcnt(0)
	s_ashr_i32 s9, s8, 31
	v_sub_co_u32 v1, s1, v0, s27
	s_lshl_b64 s[2:3], s[8:9], 3
	v_sub_co_ci_u32_e64 v2, null, 0, 0, s1
	s_add_u32 s2, s10, s2
	s_addc_u32 s3, s11, s3
	s_mov_b32 s1, exec_lo
	s_load_b128 s[4:7], s[2:3], 0x0
	s_waitcnt lgkmcnt(0)
	v_add_co_u32 v1, vcc_lo, s4, v1
	v_add_co_ci_u32_e32 v2, vcc_lo, s5, v2, vcc_lo
	s_sub_u32 s2, s6, s27
	s_subb_u32 s3, s7, 0
	s_mov_b32 s4, 0
	s_delay_alu instid0(VALU_DEP_1)
	v_cmpx_gt_i64_e64 s[2:3], v[1:2]
	s_cbranch_execnz .LBB202_51
.LBB202_36:
	s_or_b32 exec_lo, exec_lo, s1
.LBB202_37:
	s_waitcnt lgkmcnt(0)
	s_barrier
	buffer_gl0_inv
	s_and_saveexec_b32 s4, s0
	s_cbranch_execz .LBB202_63
; %bb.38:
	v_mbcnt_lo_u32_b32 v1, -1, 0
	v_lshrrev_b32_e32 v2, 3, v0
	v_cmp_eq_u32_e32 vcc_lo, 0x7f, v0
	v_cmp_lt_u32_e64 s0, 31, v0
	v_cmp_lt_u32_e64 s1, 63, v0
	v_xor_b32_e32 v1, 63, v1
	v_dual_mov_b32 v6, 0 :: v_dual_and_b32 v3, 12, v2
	v_cmp_lt_u32_e64 s2, 0x5f, v0
	v_add3_u32 v4, v9, 0, 0x400
	s_delay_alu instid0(VALU_DEP_4) | instskip(NEXT) | instid1(VALU_DEP_4)
	v_lshrrev_b64 v[1:2], v1, -1
	v_add_nc_u32_e32 v5, 0, v3
	v_mov_b32_e32 v9, 0
	s_mov_b32 s5, 0
	s_branch .LBB202_40
.LBB202_39:                             ;   in Loop: Header=BB202_40 Depth=1
	s_or_b32 exec_lo, exec_lo, s3
	s_waitcnt lgkmcnt(0)
	s_barrier
	buffer_gl0_inv
	ds_load_b32 v2, v6 offset:3084
	v_add_co_u32 v7, s3, 0x80, v7
	s_delay_alu instid0(VALU_DEP_1) | instskip(SKIP_3) | instid1(SALU_CYCLE_1)
	s_xor_b32 s3, s3, -1
	v_add_nc_u32_e32 v4, 0x400, v4
	v_add_nc_u32_e32 v8, 0x200, v8
	s_and_b32 s3, exec_lo, s3
	s_or_b32 s5, s3, s5
	s_waitcnt lgkmcnt(0)
	v_add_nc_u32_e32 v9, v2, v9
	s_and_not1_b32 exec_lo, exec_lo, s5
	s_cbranch_execz .LBB202_63
.LBB202_40:                             ; =>This Inner Loop Header: Depth=1
	ds_load_b32 v10, v8
	ds_load_2addr_b32 v[2:3], v4 offset1:1
	s_waitcnt lgkmcnt(0)
	s_barrier
	buffer_gl0_inv
	v_cmp_gt_i32_e64 s3, s33, v10
	s_delay_alu instid0(VALU_DEP_1) | instskip(NEXT) | instid1(SALU_CYCLE_1)
	s_bcnt1_i32_b32 s6, s3
	v_dual_mov_b32 v12, s6 :: v_dual_and_b32 v11, s3, v1
	s_delay_alu instid0(VALU_DEP_1)
	v_bcnt_u32_b32 v11, v11, 0
	ds_store_b32 v5, v12 offset:3072
	s_waitcnt lgkmcnt(0)
	s_barrier
	buffer_gl0_inv
	s_and_saveexec_b32 s6, s0
	s_cbranch_execnz .LBB202_45
; %bb.41:                               ;   in Loop: Header=BB202_40 Depth=1
	s_or_b32 exec_lo, exec_lo, s6
	s_and_saveexec_b32 s6, s1
	s_cbranch_execnz .LBB202_46
.LBB202_42:                             ;   in Loop: Header=BB202_40 Depth=1
	s_or_b32 exec_lo, exec_lo, s6
	s_and_saveexec_b32 s6, s2
	s_cbranch_execnz .LBB202_47
.LBB202_43:                             ;   in Loop: Header=BB202_40 Depth=1
	s_or_b32 exec_lo, exec_lo, s6
	s_and_saveexec_b32 s6, s3
	s_cbranch_execnz .LBB202_48
.LBB202_44:                             ;   in Loop: Header=BB202_40 Depth=1
	s_or_b32 exec_lo, exec_lo, s6
	s_and_saveexec_b32 s3, vcc_lo
	s_cbranch_execz .LBB202_39
	s_branch .LBB202_49
.LBB202_45:                             ;   in Loop: Header=BB202_40 Depth=1
	ds_load_b32 v12, v6 offset:3072
	s_waitcnt lgkmcnt(0)
	v_add_nc_u32_e32 v11, v12, v11
	s_or_b32 exec_lo, exec_lo, s6
	s_and_saveexec_b32 s6, s1
	s_cbranch_execz .LBB202_42
.LBB202_46:                             ;   in Loop: Header=BB202_40 Depth=1
	ds_load_b32 v12, v6 offset:3076
	s_waitcnt lgkmcnt(0)
	v_add_nc_u32_e32 v11, v12, v11
	s_or_b32 exec_lo, exec_lo, s6
	s_and_saveexec_b32 s6, s2
	s_cbranch_execz .LBB202_43
.LBB202_47:                             ;   in Loop: Header=BB202_40 Depth=1
	ds_load_b32 v12, v6 offset:3080
	s_waitcnt lgkmcnt(0)
	v_add_nc_u32_e32 v11, v12, v11
	s_or_b32 exec_lo, exec_lo, s6
	s_and_saveexec_b32 s6, s3
	s_cbranch_execz .LBB202_44
.LBB202_48:                             ;   in Loop: Header=BB202_40 Depth=1
	s_delay_alu instid0(VALU_DEP_1) | instskip(NEXT) | instid1(VALU_DEP_1)
	v_add3_u32 v12, v9, -1, v11
	v_lshlrev_b32_e32 v13, 3, v12
	v_lshl_add_u32 v12, v12, 2, 0
	s_delay_alu instid0(VALU_DEP_2)
	v_add3_u32 v13, 0, v13, 0x400
	ds_store_b32 v12, v10
	ds_store_2addr_b32 v13, v2, v3 offset1:1
	s_or_b32 exec_lo, exec_lo, s6
	s_and_saveexec_b32 s3, vcc_lo
	s_cbranch_execz .LBB202_39
.LBB202_49:                             ;   in Loop: Header=BB202_40 Depth=1
	ds_store_b32 v6, v11 offset:3084
	s_branch .LBB202_39
.LBB202_50:                             ;   in Loop: Header=BB202_51 Depth=1
	s_or_b32 exec_lo, exec_lo, s5
	v_add_co_u32 v1, vcc_lo, 0x80, v1
	v_add_co_ci_u32_e32 v2, vcc_lo, 0, v2, vcc_lo
	s_delay_alu instid0(VALU_DEP_1) | instskip(SKIP_1) | instid1(SALU_CYCLE_1)
	v_cmp_le_i64_e32 vcc_lo, s[2:3], v[1:2]
	s_or_b32 s4, vcc_lo, s4
	s_and_not1_b32 exec_lo, exec_lo, s4
	s_cbranch_execz .LBB202_36
.LBB202_51:                             ; =>This Loop Header: Depth=1
                                        ;     Child Loop BB202_53 Depth 2
	v_lshlrev_b64 v[3:4], 2, v[1:2]
	v_lshlrev_b64 v[5:6], 3, v[1:2]
	s_mov_b32 s5, 0
	s_delay_alu instid0(VALU_DEP_2) | instskip(NEXT) | instid1(VALU_DEP_3)
	v_add_co_u32 v3, vcc_lo, s28, v3
	v_add_co_ci_u32_e32 v4, vcc_lo, s29, v4, vcc_lo
	global_load_b32 v12, v[3:4], off
	v_add_co_u32 v3, vcc_lo, s30, v5
	v_add_co_ci_u32_e32 v4, vcc_lo, s31, v6, vcc_lo
	global_load_b64 v[10:11], v[3:4], off
	s_waitcnt vmcnt(1)
	v_subrev_nc_u32_e32 v3, s27, v12
	s_delay_alu instid0(VALU_DEP_1) | instskip(SKIP_2) | instid1(VALU_DEP_1)
	v_mul_lo_u32 v6, 0x89, v3
	s_waitcnt vmcnt(0)
	v_mul_f32_e64 v4, v11, -s41
	v_dual_mul_f32 v5, s40, v11 :: v_dual_fmac_f32 v4, s40, v10
	s_delay_alu instid0(VALU_DEP_1) | instskip(NEXT) | instid1(VALU_DEP_4)
	v_fmac_f32_e32 v5, s41, v10
	v_and_b32_e32 v6, 0xff, v6
	s_branch .LBB202_53
.LBB202_52:                             ;   in Loop: Header=BB202_53 Depth=2
	s_or_b32 exec_lo, exec_lo, s6
	s_xor_b32 s6, s7, -1
	s_delay_alu instid0(SALU_CYCLE_1) | instskip(NEXT) | instid1(SALU_CYCLE_1)
	s_and_b32 s6, exec_lo, s6
	s_or_b32 s5, s6, s5
	s_delay_alu instid0(SALU_CYCLE_1)
	s_and_not1_b32 exec_lo, exec_lo, s5
	s_cbranch_execz .LBB202_50
.LBB202_53:                             ;   Parent Loop BB202_51 Depth=1
                                        ; =>  This Inner Loop Header: Depth=2
	s_delay_alu instid0(VALU_DEP_1)
	v_lshl_add_u32 v10, v6, 2, 0
	s_mov_b32 s6, exec_lo
                                        ; implicit-def: $sgpr7
	ds_load_b32 v11, v10
	s_waitcnt lgkmcnt(0)
	v_cmpx_ne_u32_e64 v11, v3
	s_xor_b32 s6, exec_lo, s6
	s_cbranch_execz .LBB202_61
; %bb.54:                               ;   in Loop: Header=BB202_53 Depth=2
	s_mov_b32 s9, exec_lo
                                        ; implicit-def: $sgpr7
	v_cmpx_ne_u32_e64 s33, v11
	s_xor_b32 s9, exec_lo, s9
; %bb.55:                               ;   in Loop: Header=BB202_53 Depth=2
	v_add_nc_u32_e32 v6, 1, v6
	s_mov_b32 s7, -1
                                        ; implicit-def: $vgpr10
	s_delay_alu instid0(VALU_DEP_1)
	v_and_b32_e32 v6, 0xff, v6
; %bb.56:                               ;   in Loop: Header=BB202_53 Depth=2
	s_and_not1_saveexec_b32 s9, s9
	s_cbranch_execz .LBB202_60
; %bb.57:                               ;   in Loop: Header=BB202_53 Depth=2
	v_mov_b32_e32 v11, s33
	s_mov_b32 s10, -1
	s_mov_b32 s11, exec_lo
	ds_cmpstore_rtn_b32 v11, v10, v3, v11
	s_waitcnt lgkmcnt(0)
	v_cmpx_eq_u32_e64 s33, v11
	s_cbranch_execz .LBB202_59
; %bb.58:                               ;   in Loop: Header=BB202_53 Depth=2
	v_lshl_add_u32 v10, v6, 2, v10
	s_xor_b32 s10, exec_lo, -1
	ds_add_f32 v10, v4 offset:1024
	ds_add_f32 v10, v5 offset:1028
.LBB202_59:                             ;   in Loop: Header=BB202_53 Depth=2
	s_or_b32 exec_lo, exec_lo, s11
	s_delay_alu instid0(SALU_CYCLE_1) | instskip(SKIP_1) | instid1(SALU_CYCLE_1)
	s_and_not1_b32 s7, s7, exec_lo
	s_and_b32 s10, s10, exec_lo
	s_or_b32 s7, s7, s10
.LBB202_60:                             ;   in Loop: Header=BB202_53 Depth=2
	s_or_b32 exec_lo, exec_lo, s9
	s_delay_alu instid0(SALU_CYCLE_1)
	s_and_b32 s7, s7, exec_lo
                                        ; implicit-def: $vgpr10
.LBB202_61:                             ;   in Loop: Header=BB202_53 Depth=2
	s_and_not1_saveexec_b32 s6, s6
	s_cbranch_execz .LBB202_52
; %bb.62:                               ;   in Loop: Header=BB202_53 Depth=2
	v_lshl_add_u32 v10, v6, 2, v10
	s_and_not1_b32 s7, s7, exec_lo
	ds_add_f32 v10, v4 offset:1024
	ds_add_f32 v10, v5 offset:1028
	s_branch .LBB202_52
.LBB202_63:
	s_or_b32 exec_lo, exec_lo, s4
	s_ashr_i32 s9, s8, 31
	s_mov_b32 s4, exec_lo
	s_lshl_b64 s[0:1], s[8:9], 3
	s_delay_alu instid0(SALU_CYCLE_1) | instskip(SKIP_4) | instid1(SALU_CYCLE_1)
	s_add_u32 s0, s34, s0
	s_addc_u32 s1, s35, s1
	s_load_b128 s[0:3], s[0:1], 0x0
	s_waitcnt lgkmcnt(0)
	s_sub_i32 s3, s2, s0
	v_cmpx_gt_i32_e64 s3, v0
	s_cbranch_execz .LBB202_73
; %bb.64:
	s_sub_u32 s4, s0, s26
	s_subb_u32 s5, s1, 0
	s_sub_i32 s0, s0, s2
	s_and_b32 s1, s3, 7
	s_cmp_lt_u32 s0, -7
	s_mov_b32 s8, 0
	s_cselect_b32 s2, -1, 0
	s_and_b32 s6, s3, -8
	s_cmp_lg_u32 s1, 0
	s_cselect_b32 s7, -1, 0
	s_branch .LBB202_66
.LBB202_65:                             ;   in Loop: Header=BB202_66 Depth=1
	s_delay_alu instid0(VALU_DEP_1) | instskip(SKIP_1) | instid1(VALU_DEP_1)
	v_lshlrev_b64 v[3:4], 3, v[3:4]
	v_add_nc_u32_e32 v0, 0x80, v0
	v_cmp_le_i32_e32 vcc_lo, s3, v0
	s_delay_alu instid0(VALU_DEP_3) | instskip(NEXT) | instid1(VALU_DEP_1)
	v_add_co_u32 v3, s0, s12, v3
	v_add_co_ci_u32_e64 v4, s0, s13, v4, s0
	s_or_b32 s8, vcc_lo, s8
	s_waitcnt lgkmcnt(0)
	global_store_b64 v[3:4], v[1:2], off
	s_and_not1_b32 exec_lo, exec_lo, s8
	s_cbranch_execz .LBB202_73
.LBB202_66:                             ; =>This Loop Header: Depth=1
                                        ;     Child Loop BB202_68 Depth 2
                                        ;     Child Loop BB202_72 Depth 2
	v_lshlrev_b32_e32 v1, 2, v0
	v_dual_mov_b32 v3, s4 :: v_dual_mov_b32 v4, s5
	s_and_not1_b32 vcc_lo, exec_lo, s2
	s_mov_b32 s0, 0
	s_delay_alu instid0(VALU_DEP_2) | instskip(NEXT) | instid1(VALU_DEP_1)
	v_add_nc_u32_e32 v2, 0, v1
	v_add3_u32 v1, v2, v1, 0x400
	ds_load_b32 v5, v2
	ds_load_2addr_b32 v[1:2], v1 offset1:1
	s_cbranch_vccnz .LBB202_70
; %bb.67:                               ;   in Loop: Header=BB202_66 Depth=1
	v_dual_mov_b32 v3, s4 :: v_dual_mov_b32 v4, s5
	s_mov_b32 s9, 0
	s_mov_b32 s10, 0
.LBB202_68:                             ;   Parent Loop BB202_66 Depth=1
                                        ; =>  This Inner Loop Header: Depth=2
	s_delay_alu instid0(SALU_CYCLE_1)
	v_mov_b32_e32 v12, s10
	s_add_i32 s9, s9, 8
	s_add_i32 s10, s10, 32
	s_cmp_eq_u32 s6, s9
	ds_load_2addr_b32 v[6:7], v12 offset1:1
	ds_load_2addr_b32 v[8:9], v12 offset0:2 offset1:3
	ds_load_2addr_b32 v[10:11], v12 offset0:4 offset1:5
	;; [unrolled: 1-line block ×3, first 2 shown]
	s_waitcnt lgkmcnt(3)
	v_cmp_gt_i32_e32 vcc_lo, v5, v6
	v_cndmask_b32_e64 v6, 0, 1, vcc_lo
	v_cmp_gt_i32_e32 vcc_lo, v5, v7
	v_cndmask_b32_e64 v7, 0, 1, vcc_lo
	s_waitcnt lgkmcnt(2)
	v_cmp_gt_i32_e32 vcc_lo, v5, v8
	v_cndmask_b32_e64 v8, 0, 1, vcc_lo
	v_cmp_gt_i32_e32 vcc_lo, v5, v9
	v_cndmask_b32_e64 v9, 0, 1, vcc_lo
	s_waitcnt lgkmcnt(1)
	v_cmp_gt_i32_e32 vcc_lo, v5, v10
	v_cndmask_b32_e64 v10, 0, 1, vcc_lo
	v_add_co_u32 v3, vcc_lo, v3, v6
	v_add_co_ci_u32_e32 v4, vcc_lo, 0, v4, vcc_lo
	v_cmp_gt_i32_e32 vcc_lo, v5, v11
	s_delay_alu instid0(VALU_DEP_3) | instskip(NEXT) | instid1(VALU_DEP_1)
	v_add_co_u32 v3, s0, v3, v7
	v_add_co_ci_u32_e64 v4, s0, 0, v4, s0
	v_cndmask_b32_e64 v6, 0, 1, vcc_lo
	s_delay_alu instid0(VALU_DEP_3) | instskip(NEXT) | instid1(VALU_DEP_3)
	v_add_co_u32 v3, vcc_lo, v3, v8
	v_add_co_ci_u32_e32 v4, vcc_lo, 0, v4, vcc_lo
	s_waitcnt lgkmcnt(0)
	v_cmp_gt_i32_e32 vcc_lo, v5, v12
	s_delay_alu instid0(VALU_DEP_3) | instskip(NEXT) | instid1(VALU_DEP_1)
	v_add_co_u32 v3, s0, v3, v9
	v_add_co_ci_u32_e64 v4, s0, 0, v4, s0
	v_cndmask_b32_e64 v7, 0, 1, vcc_lo
	s_delay_alu instid0(VALU_DEP_3) | instskip(NEXT) | instid1(VALU_DEP_3)
	v_add_co_u32 v3, vcc_lo, v3, v10
	v_add_co_ci_u32_e32 v4, vcc_lo, 0, v4, vcc_lo
	v_cmp_gt_i32_e32 vcc_lo, v5, v13
	s_delay_alu instid0(VALU_DEP_3) | instskip(NEXT) | instid1(VALU_DEP_1)
	v_add_co_u32 v3, s0, v3, v6
	v_add_co_ci_u32_e64 v4, s0, 0, v4, s0
	v_cndmask_b32_e64 v6, 0, 1, vcc_lo
	s_delay_alu instid0(VALU_DEP_3) | instskip(NEXT) | instid1(VALU_DEP_3)
	v_add_co_u32 v3, vcc_lo, v3, v7
	v_add_co_ci_u32_e32 v4, vcc_lo, 0, v4, vcc_lo
	s_delay_alu instid0(VALU_DEP_2) | instskip(NEXT) | instid1(VALU_DEP_2)
	v_add_co_u32 v3, vcc_lo, v3, v6
	v_add_co_ci_u32_e32 v4, vcc_lo, 0, v4, vcc_lo
	s_cbranch_scc0 .LBB202_68
; %bb.69:                               ;   in Loop: Header=BB202_66 Depth=1
	s_mov_b32 s0, s6
.LBB202_70:                             ;   in Loop: Header=BB202_66 Depth=1
	s_and_not1_b32 vcc_lo, exec_lo, s7
	s_cbranch_vccnz .LBB202_65
; %bb.71:                               ;   in Loop: Header=BB202_66 Depth=1
	s_lshl_b32 s0, s0, 2
	s_mov_b32 s9, s1
	s_add_i32 s0, s0, 0
.LBB202_72:                             ;   Parent Loop BB202_66 Depth=1
                                        ; =>  This Inner Loop Header: Depth=2
	s_delay_alu instid0(SALU_CYCLE_1)
	v_mov_b32_e32 v6, s0
	s_add_i32 s9, s9, -1
	s_add_i32 s0, s0, 4
	s_cmp_lg_u32 s9, 0
	ds_load_b32 v6, v6
	s_waitcnt lgkmcnt(0)
	v_cmp_gt_i32_e32 vcc_lo, v5, v6
	v_cndmask_b32_e64 v6, 0, 1, vcc_lo
	s_delay_alu instid0(VALU_DEP_1)
	v_add_co_u32 v3, vcc_lo, v3, v6
	v_add_co_ci_u32_e32 v4, vcc_lo, 0, v4, vcc_lo
	s_cbranch_scc1 .LBB202_72
	s_branch .LBB202_65
.LBB202_73:
	s_nop 0
	s_sendmsg sendmsg(MSG_DEALLOC_VGPRS)
	s_endpgm
	.section	.rodata,"a",@progbits
	.p2align	6, 0x0
	.amdhsa_kernel _ZN9rocsparseL41csrgemm_numeric_fill_block_per_row_kernelILj128ELj16ELj256ELj137ELj32Eli21rocsparse_complex_numIfEEEvT5_PKS3_S5_NS_24const_host_device_scalarIT6_EEPKT4_S5_PKS7_SB_S5_SD_S8_SB_S5_SD_SB_S5_PS7_21rocsparse_index_base_SF_SF_SF_bbb
		.amdhsa_group_segment_fixed_size 0
		.amdhsa_private_segment_fixed_size 0
		.amdhsa_kernarg_size 156
		.amdhsa_user_sgpr_count 15
		.amdhsa_user_sgpr_dispatch_ptr 0
		.amdhsa_user_sgpr_queue_ptr 0
		.amdhsa_user_sgpr_kernarg_segment_ptr 1
		.amdhsa_user_sgpr_dispatch_id 0
		.amdhsa_user_sgpr_private_segment_size 0
		.amdhsa_wavefront_size32 1
		.amdhsa_uses_dynamic_stack 0
		.amdhsa_enable_private_segment 0
		.amdhsa_system_sgpr_workgroup_id_x 1
		.amdhsa_system_sgpr_workgroup_id_y 0
		.amdhsa_system_sgpr_workgroup_id_z 0
		.amdhsa_system_sgpr_workgroup_info 0
		.amdhsa_system_vgpr_workitem_id 0
		.amdhsa_next_free_vgpr 20
		.amdhsa_next_free_sgpr 46
		.amdhsa_reserve_vcc 1
		.amdhsa_float_round_mode_32 0
		.amdhsa_float_round_mode_16_64 0
		.amdhsa_float_denorm_mode_32 3
		.amdhsa_float_denorm_mode_16_64 3
		.amdhsa_dx10_clamp 1
		.amdhsa_ieee_mode 1
		.amdhsa_fp16_overflow 0
		.amdhsa_workgroup_processor_mode 1
		.amdhsa_memory_ordered 1
		.amdhsa_forward_progress 0
		.amdhsa_shared_vgpr_count 0
		.amdhsa_exception_fp_ieee_invalid_op 0
		.amdhsa_exception_fp_denorm_src 0
		.amdhsa_exception_fp_ieee_div_zero 0
		.amdhsa_exception_fp_ieee_overflow 0
		.amdhsa_exception_fp_ieee_underflow 0
		.amdhsa_exception_fp_ieee_inexact 0
		.amdhsa_exception_int_div_zero 0
	.end_amdhsa_kernel
	.section	.text._ZN9rocsparseL41csrgemm_numeric_fill_block_per_row_kernelILj128ELj16ELj256ELj137ELj32Eli21rocsparse_complex_numIfEEEvT5_PKS3_S5_NS_24const_host_device_scalarIT6_EEPKT4_S5_PKS7_SB_S5_SD_S8_SB_S5_SD_SB_S5_PS7_21rocsparse_index_base_SF_SF_SF_bbb,"axG",@progbits,_ZN9rocsparseL41csrgemm_numeric_fill_block_per_row_kernelILj128ELj16ELj256ELj137ELj32Eli21rocsparse_complex_numIfEEEvT5_PKS3_S5_NS_24const_host_device_scalarIT6_EEPKT4_S5_PKS7_SB_S5_SD_S8_SB_S5_SD_SB_S5_PS7_21rocsparse_index_base_SF_SF_SF_bbb,comdat
.Lfunc_end202:
	.size	_ZN9rocsparseL41csrgemm_numeric_fill_block_per_row_kernelILj128ELj16ELj256ELj137ELj32Eli21rocsparse_complex_numIfEEEvT5_PKS3_S5_NS_24const_host_device_scalarIT6_EEPKT4_S5_PKS7_SB_S5_SD_S8_SB_S5_SD_SB_S5_PS7_21rocsparse_index_base_SF_SF_SF_bbb, .Lfunc_end202-_ZN9rocsparseL41csrgemm_numeric_fill_block_per_row_kernelILj128ELj16ELj256ELj137ELj32Eli21rocsparse_complex_numIfEEEvT5_PKS3_S5_NS_24const_host_device_scalarIT6_EEPKT4_S5_PKS7_SB_S5_SD_S8_SB_S5_SD_SB_S5_PS7_21rocsparse_index_base_SF_SF_SF_bbb
                                        ; -- End function
	.section	.AMDGPU.csdata,"",@progbits
; Kernel info:
; codeLenInByte = 2992
; NumSgprs: 48
; NumVgprs: 20
; ScratchSize: 0
; MemoryBound: 0
; FloatMode: 240
; IeeeMode: 1
; LDSByteSize: 0 bytes/workgroup (compile time only)
; SGPRBlocks: 5
; VGPRBlocks: 2
; NumSGPRsForWavesPerEU: 48
; NumVGPRsForWavesPerEU: 20
; Occupancy: 16
; WaveLimiterHint : 1
; COMPUTE_PGM_RSRC2:SCRATCH_EN: 0
; COMPUTE_PGM_RSRC2:USER_SGPR: 15
; COMPUTE_PGM_RSRC2:TRAP_HANDLER: 0
; COMPUTE_PGM_RSRC2:TGID_X_EN: 1
; COMPUTE_PGM_RSRC2:TGID_Y_EN: 0
; COMPUTE_PGM_RSRC2:TGID_Z_EN: 0
; COMPUTE_PGM_RSRC2:TIDIG_COMP_CNT: 0
	.section	.text._ZN9rocsparseL41csrgemm_numeric_fill_block_per_row_kernelILj128ELj16ELj256ELj137ELj64Eli21rocsparse_complex_numIfEEEvT5_PKS3_S5_NS_24const_host_device_scalarIT6_EEPKT4_S5_PKS7_SB_S5_SD_S8_SB_S5_SD_SB_S5_PS7_21rocsparse_index_base_SF_SF_SF_bbb,"axG",@progbits,_ZN9rocsparseL41csrgemm_numeric_fill_block_per_row_kernelILj128ELj16ELj256ELj137ELj64Eli21rocsparse_complex_numIfEEEvT5_PKS3_S5_NS_24const_host_device_scalarIT6_EEPKT4_S5_PKS7_SB_S5_SD_S8_SB_S5_SD_SB_S5_PS7_21rocsparse_index_base_SF_SF_SF_bbb,comdat
	.globl	_ZN9rocsparseL41csrgemm_numeric_fill_block_per_row_kernelILj128ELj16ELj256ELj137ELj64Eli21rocsparse_complex_numIfEEEvT5_PKS3_S5_NS_24const_host_device_scalarIT6_EEPKT4_S5_PKS7_SB_S5_SD_S8_SB_S5_SD_SB_S5_PS7_21rocsparse_index_base_SF_SF_SF_bbb ; -- Begin function _ZN9rocsparseL41csrgemm_numeric_fill_block_per_row_kernelILj128ELj16ELj256ELj137ELj64Eli21rocsparse_complex_numIfEEEvT5_PKS3_S5_NS_24const_host_device_scalarIT6_EEPKT4_S5_PKS7_SB_S5_SD_S8_SB_S5_SD_SB_S5_PS7_21rocsparse_index_base_SF_SF_SF_bbb
	.p2align	8
	.type	_ZN9rocsparseL41csrgemm_numeric_fill_block_per_row_kernelILj128ELj16ELj256ELj137ELj64Eli21rocsparse_complex_numIfEEEvT5_PKS3_S5_NS_24const_host_device_scalarIT6_EEPKT4_S5_PKS7_SB_S5_SD_S8_SB_S5_SD_SB_S5_PS7_21rocsparse_index_base_SF_SF_SF_bbb,@function
_ZN9rocsparseL41csrgemm_numeric_fill_block_per_row_kernelILj128ELj16ELj256ELj137ELj64Eli21rocsparse_complex_numIfEEEvT5_PKS3_S5_NS_24const_host_device_scalarIT6_EEPKT4_S5_PKS7_SB_S5_SD_S8_SB_S5_SD_SB_S5_PS7_21rocsparse_index_base_SF_SF_SF_bbb: ; @_ZN9rocsparseL41csrgemm_numeric_fill_block_per_row_kernelILj128ELj16ELj256ELj137ELj64Eli21rocsparse_complex_numIfEEEvT5_PKS3_S5_NS_24const_host_device_scalarIT6_EEPKT4_S5_PKS7_SB_S5_SD_S8_SB_S5_SD_SB_S5_PS7_21rocsparse_index_base_SF_SF_SF_bbb
; %bb.0:
	s_clause 0x7
	s_load_b32 s33, s[0:1], 0x98
	s_load_b64 s[2:3], s[0:1], 0x70
	s_load_b128 s[28:31], s[0:1], 0x60
	s_load_b256 s[4:11], s[0:1], 0x40
	s_load_b128 s[36:39], s[0:1], 0x8
	s_load_b256 s[16:23], s[0:1], 0x20
	s_load_b64 s[12:13], s[0:1], 0x80
	s_load_b128 s[24:27], s[0:1], 0x88
	s_mov_b32 s35, 0
	s_mov_b32 s41, 0
	s_waitcnt lgkmcnt(0)
	s_bitcmp1_b32 s33, 0
	s_cselect_b32 s14, -1, 0
	s_bitcmp1_b32 s33, 16
	s_cselect_b32 s34, -1, 0
	s_delay_alu instid0(SALU_CYCLE_1) | instskip(SKIP_2) | instid1(VALU_DEP_1)
	s_xor_b32 s40, s34, -1
	s_bitcmp0_b32 s33, 0
	v_cndmask_b32_e64 v1, 0, 1, s40
	v_cmp_ne_u32_e32 vcc_lo, 1, v1
	s_cbranch_scc1 .LBB203_5
; %bb.1:
	s_load_b64 s[34:35], s[0:1], 0x18
	s_and_b32 vcc_lo, exec_lo, vcc_lo
	s_waitcnt lgkmcnt(0)
	s_mov_b32 s41, s34
	s_cbranch_vccnz .LBB203_3
; %bb.2:
	s_load_b32 s41, s[34:35], 0x0
.LBB203_3:
	s_and_not1_b32 vcc_lo, exec_lo, s40
	s_cbranch_vccnz .LBB203_5
; %bb.4:
	s_load_b32 s35, s[34:35], 0x4
.LBB203_5:
	s_bitcmp1_b32 s33, 8
	s_mov_b32 s40, 0
	s_cselect_b32 s42, -1, 0
	s_bfe_u32 s33, s33, 0x10008
	s_mov_b32 s34, 0
	s_cmp_eq_u32 s33, 0
	s_cbranch_scc1 .LBB203_11
; %bb.6:
	v_cmp_ne_u32_e32 vcc_lo, 1, v1
	s_mov_b32 s34, s8
	s_cbranch_vccnz .LBB203_8
; %bb.7:
	s_load_b32 s34, s[8:9], 0x0
.LBB203_8:
	v_cmp_ne_u32_e32 vcc_lo, 1, v1
	s_cbranch_vccnz .LBB203_10
; %bb.9:
	s_load_b32 s9, s[8:9], 0x4
.LBB203_10:
	s_waitcnt lgkmcnt(0)
	s_mov_b32 s40, s9
.LBB203_11:
	s_load_b32 s33, s[0:1], 0x0
	v_cmp_gt_u32_e64 s0, 0x100, v0
	v_lshlrev_b32_e32 v9, 3, v0
	v_or_b32_e32 v7, 0xffffff80, v0
	v_lshl_add_u32 v8, v0, 2, 0
	s_delay_alu instid0(VALU_DEP_4)
	s_and_saveexec_b32 s1, s0
	s_cbranch_execz .LBB203_14
; %bb.12:
	v_add3_u32 v1, v9, 0, 0x400
	v_or_b32_e32 v2, 0xffffff80, v0
	v_lshl_add_u32 v3, v0, 2, 0
	s_waitcnt lgkmcnt(0)
	v_dual_mov_b32 v4, s33 :: v_dual_mov_b32 v5, 0
	s_mov_b32 s8, 0
.LBB203_13:                             ; =>This Inner Loop Header: Depth=1
	v_add_co_u32 v2, s9, 0x80, v2
	s_delay_alu instid0(VALU_DEP_1)
	s_xor_b32 s9, s9, -1
	ds_store_b32 v3, v4
	ds_store_2addr_b32 v1, v5, v5 offset1:1
	v_add_nc_u32_e32 v1, 0x400, v1
	v_add_nc_u32_e32 v3, 0x200, v3
	s_and_b32 s9, exec_lo, s9
	s_delay_alu instid0(SALU_CYCLE_1) | instskip(NEXT) | instid1(SALU_CYCLE_1)
	s_or_b32 s8, s9, s8
	s_and_not1_b32 exec_lo, exec_lo, s8
	s_cbranch_execnz .LBB203_13
.LBB203_14:
	s_or_b32 exec_lo, exec_lo, s1
	s_waitcnt lgkmcnt(0)
	s_barrier
	buffer_gl0_inv
	s_load_b32 s1, s[36:37], 0x0
	s_mov_b32 s9, 0
	v_lshrrev_b32_e32 v10, 4, v0
	s_waitcnt lgkmcnt(0)
	s_add_i32 s8, s1, s15
	s_delay_alu instid0(SALU_CYCLE_1) | instskip(NEXT) | instid1(SALU_CYCLE_1)
	s_lshl_b64 s[8:9], s[8:9], 2
	s_add_u32 s8, s38, s8
	s_addc_u32 s9, s39, s9
	s_and_b32 vcc_lo, exec_lo, s14
	s_load_b32 s8, s[8:9], 0x0
	s_cbranch_vccz .LBB203_34
; %bb.15:
	s_waitcnt lgkmcnt(0)
	s_ashr_i32 s9, s8, 31
	v_sub_co_u32 v1, s1, v10, s24
	s_lshl_b64 s[14:15], s[8:9], 3
	v_sub_co_ci_u32_e64 v2, null, 0, 0, s1
	s_add_u32 s14, s16, s14
	s_addc_u32 s15, s17, s15
	s_mov_b32 s1, exec_lo
	s_load_b128 s[36:39], s[14:15], 0x0
	s_waitcnt lgkmcnt(0)
	v_add_co_u32 v1, vcc_lo, s36, v1
	v_add_co_ci_u32_e32 v2, vcc_lo, s37, v2, vcc_lo
	s_sub_u32 s14, s38, s24
	s_subb_u32 s15, s39, 0
	s_delay_alu instid0(VALU_DEP_1) | instid1(SALU_CYCLE_1)
	v_cmpx_gt_i64_e64 s[14:15], v[1:2]
	s_cbranch_execz .LBB203_33
; %bb.16:
	v_and_b32_e32 v3, 15, v0
	s_mov_b32 s16, s25
	s_delay_alu instid0(VALU_DEP_1) | instskip(NEXT) | instid1(VALU_DEP_1)
	v_sub_co_u32 v11, s9, v3, s25
	v_sub_co_ci_u32_e64 v12, null, 0, 0, s9
	s_mov_b32 s9, 0
	s_branch .LBB203_18
.LBB203_17:                             ;   in Loop: Header=BB203_18 Depth=1
	s_or_b32 exec_lo, exec_lo, s17
	v_add_co_u32 v1, vcc_lo, v1, 8
	v_add_co_ci_u32_e32 v2, vcc_lo, 0, v2, vcc_lo
	s_delay_alu instid0(VALU_DEP_1) | instskip(SKIP_1) | instid1(SALU_CYCLE_1)
	v_cmp_le_i64_e32 vcc_lo, s[14:15], v[1:2]
	s_or_b32 s9, vcc_lo, s9
	s_and_not1_b32 exec_lo, exec_lo, s9
	s_cbranch_execz .LBB203_33
.LBB203_18:                             ; =>This Loop Header: Depth=1
                                        ;     Child Loop BB203_21 Depth 2
                                        ;       Child Loop BB203_23 Depth 3
	v_lshlrev_b64 v[3:4], 2, v[1:2]
	s_mov_b32 s17, exec_lo
	s_delay_alu instid0(VALU_DEP_1) | instskip(NEXT) | instid1(VALU_DEP_2)
	v_add_co_u32 v3, vcc_lo, s18, v3
	v_add_co_ci_u32_e32 v4, vcc_lo, s19, v4, vcc_lo
	global_load_b32 v3, v[3:4], off
	s_waitcnt vmcnt(0)
	v_subrev_nc_u32_e32 v3, s24, v3
	s_delay_alu instid0(VALU_DEP_1) | instskip(NEXT) | instid1(VALU_DEP_1)
	v_ashrrev_i32_e32 v4, 31, v3
	v_lshlrev_b64 v[3:4], 3, v[3:4]
	s_delay_alu instid0(VALU_DEP_1) | instskip(NEXT) | instid1(VALU_DEP_2)
	v_add_co_u32 v3, vcc_lo, s22, v3
	v_add_co_ci_u32_e32 v4, vcc_lo, s23, v4, vcc_lo
	global_load_b128 v[13:16], v[3:4], off
	s_waitcnt vmcnt(0)
	v_sub_co_u32 v3, vcc_lo, v15, s16
	v_subrev_co_ci_u32_e32 v4, vcc_lo, 0, v16, vcc_lo
	v_add_co_u32 v5, vcc_lo, v13, v11
	v_add_co_ci_u32_e32 v6, vcc_lo, v14, v12, vcc_lo
	s_delay_alu instid0(VALU_DEP_1)
	v_cmpx_lt_i64_e64 v[5:6], v[3:4]
	s_cbranch_execz .LBB203_17
; %bb.19:                               ;   in Loop: Header=BB203_18 Depth=1
	v_lshlrev_b64 v[13:14], 3, v[1:2]
	s_mov_b32 s36, 0
	s_delay_alu instid0(VALU_DEP_1) | instskip(NEXT) | instid1(VALU_DEP_2)
	v_add_co_u32 v13, vcc_lo, s20, v13
	v_add_co_ci_u32_e32 v14, vcc_lo, s21, v14, vcc_lo
	global_load_b64 v[15:16], v[13:14], off
	s_waitcnt vmcnt(0)
	v_mul_f32_e64 v13, v16, -s35
	s_delay_alu instid0(VALU_DEP_1) | instskip(NEXT) | instid1(VALU_DEP_1)
	v_dual_mul_f32 v14, s41, v16 :: v_dual_fmac_f32 v13, s41, v15
	v_fmac_f32_e32 v14, s35, v15
	s_branch .LBB203_21
.LBB203_20:                             ;   in Loop: Header=BB203_21 Depth=2
	s_or_b32 exec_lo, exec_lo, s37
	v_add_co_u32 v5, vcc_lo, v5, 16
	v_add_co_ci_u32_e32 v6, vcc_lo, 0, v6, vcc_lo
	s_delay_alu instid0(VALU_DEP_1) | instskip(SKIP_1) | instid1(SALU_CYCLE_1)
	v_cmp_ge_i64_e32 vcc_lo, v[5:6], v[3:4]
	s_or_b32 s36, vcc_lo, s36
	s_and_not1_b32 exec_lo, exec_lo, s36
	s_cbranch_execz .LBB203_17
.LBB203_21:                             ;   Parent Loop BB203_18 Depth=1
                                        ; =>  This Loop Header: Depth=2
                                        ;       Child Loop BB203_23 Depth 3
	v_lshlrev_b64 v[15:16], 2, v[5:6]
	v_lshlrev_b64 v[17:18], 3, v[5:6]
	s_mov_b32 s37, 0
	s_delay_alu instid0(VALU_DEP_2) | instskip(NEXT) | instid1(VALU_DEP_3)
	v_add_co_u32 v15, vcc_lo, s4, v15
	v_add_co_ci_u32_e32 v16, vcc_lo, s5, v16, vcc_lo
	global_load_b32 v20, v[15:16], off
	v_add_co_u32 v15, vcc_lo, s6, v17
	v_add_co_ci_u32_e32 v16, vcc_lo, s7, v18, vcc_lo
	global_load_b64 v[18:19], v[15:16], off
	s_waitcnt vmcnt(1)
	v_subrev_nc_u32_e32 v15, s25, v20
	s_delay_alu instid0(VALU_DEP_1) | instskip(SKIP_3) | instid1(VALU_DEP_2)
	v_mul_lo_u32 v20, 0x89, v15
	s_waitcnt vmcnt(0)
	v_mul_f32_e64 v16, v19, -v14
	v_mul_f32_e32 v17, v13, v19
	v_fmac_f32_e32 v16, v13, v18
	s_delay_alu instid0(VALU_DEP_2)
	v_dual_fmac_f32 v17, v14, v18 :: v_dual_and_b32 v18, 0xff, v20
	s_branch .LBB203_23
.LBB203_22:                             ;   in Loop: Header=BB203_23 Depth=3
	s_or_b32 exec_lo, exec_lo, s38
	s_xor_b32 s38, s39, -1
	s_delay_alu instid0(SALU_CYCLE_1) | instskip(NEXT) | instid1(SALU_CYCLE_1)
	s_and_b32 s38, exec_lo, s38
	s_or_b32 s37, s38, s37
	s_delay_alu instid0(SALU_CYCLE_1)
	s_and_not1_b32 exec_lo, exec_lo, s37
	s_cbranch_execz .LBB203_20
.LBB203_23:                             ;   Parent Loop BB203_18 Depth=1
                                        ;     Parent Loop BB203_21 Depth=2
                                        ; =>    This Inner Loop Header: Depth=3
	s_delay_alu instid0(VALU_DEP_1)
	v_lshl_add_u32 v19, v18, 2, 0
	s_mov_b32 s38, exec_lo
                                        ; implicit-def: $sgpr39
	ds_load_b32 v20, v19
	s_waitcnt lgkmcnt(0)
	v_cmpx_ne_u32_e64 v20, v15
	s_xor_b32 s38, exec_lo, s38
	s_cbranch_execz .LBB203_31
; %bb.24:                               ;   in Loop: Header=BB203_23 Depth=3
	s_mov_b32 s43, exec_lo
                                        ; implicit-def: $sgpr39
	v_cmpx_ne_u32_e64 s33, v20
	s_xor_b32 s43, exec_lo, s43
; %bb.25:                               ;   in Loop: Header=BB203_23 Depth=3
	v_add_nc_u32_e32 v18, 1, v18
	s_mov_b32 s39, -1
                                        ; implicit-def: $vgpr19
	s_delay_alu instid0(VALU_DEP_1)
	v_and_b32_e32 v18, 0xff, v18
; %bb.26:                               ;   in Loop: Header=BB203_23 Depth=3
	s_and_not1_saveexec_b32 s43, s43
	s_cbranch_execz .LBB203_30
; %bb.27:                               ;   in Loop: Header=BB203_23 Depth=3
	v_mov_b32_e32 v20, s33
	s_mov_b32 s44, -1
	s_mov_b32 s45, exec_lo
	ds_cmpstore_rtn_b32 v20, v19, v15, v20
	s_waitcnt lgkmcnt(0)
	v_cmpx_eq_u32_e64 s33, v20
	s_cbranch_execz .LBB203_29
; %bb.28:                               ;   in Loop: Header=BB203_23 Depth=3
	v_lshl_add_u32 v19, v18, 2, v19
	s_xor_b32 s44, exec_lo, -1
	ds_add_f32 v19, v16 offset:1024
	ds_add_f32 v19, v17 offset:1028
.LBB203_29:                             ;   in Loop: Header=BB203_23 Depth=3
	s_or_b32 exec_lo, exec_lo, s45
	s_delay_alu instid0(SALU_CYCLE_1) | instskip(SKIP_1) | instid1(SALU_CYCLE_1)
	s_and_not1_b32 s39, s39, exec_lo
	s_and_b32 s44, s44, exec_lo
	s_or_b32 s39, s39, s44
.LBB203_30:                             ;   in Loop: Header=BB203_23 Depth=3
	s_or_b32 exec_lo, exec_lo, s43
	s_delay_alu instid0(SALU_CYCLE_1)
	s_and_b32 s39, s39, exec_lo
                                        ; implicit-def: $vgpr19
.LBB203_31:                             ;   in Loop: Header=BB203_23 Depth=3
	s_and_not1_saveexec_b32 s38, s38
	s_cbranch_execz .LBB203_22
; %bb.32:                               ;   in Loop: Header=BB203_23 Depth=3
	v_lshl_add_u32 v19, v18, 2, v19
	s_and_not1_b32 s39, s39, exec_lo
	ds_add_f32 v19, v16 offset:1024
	ds_add_f32 v19, v17 offset:1028
	s_branch .LBB203_22
.LBB203_33:
	s_or_b32 exec_lo, exec_lo, s1
.LBB203_34:
	s_delay_alu instid0(SALU_CYCLE_1)
	s_and_not1_b32 vcc_lo, exec_lo, s42
	s_cbranch_vccnz .LBB203_37
; %bb.35:
	s_waitcnt lgkmcnt(0)
	s_ashr_i32 s9, s8, 31
	v_sub_co_u32 v1, s1, v0, s27
	s_lshl_b64 s[4:5], s[8:9], 3
	v_sub_co_ci_u32_e64 v2, null, 0, 0, s1
	s_add_u32 s4, s10, s4
	s_addc_u32 s5, s11, s5
	s_mov_b32 s1, exec_lo
	s_load_b128 s[4:7], s[4:5], 0x0
	s_waitcnt lgkmcnt(0)
	v_add_co_u32 v1, vcc_lo, s4, v1
	v_add_co_ci_u32_e32 v2, vcc_lo, s5, v2, vcc_lo
	s_sub_u32 s4, s6, s27
	s_subb_u32 s5, s7, 0
	s_mov_b32 s6, 0
	s_delay_alu instid0(VALU_DEP_1)
	v_cmpx_gt_i64_e64 s[4:5], v[1:2]
	s_cbranch_execnz .LBB203_47
.LBB203_36:
	s_or_b32 exec_lo, exec_lo, s1
.LBB203_37:
	s_waitcnt lgkmcnt(0)
	s_barrier
	buffer_gl0_inv
	s_and_saveexec_b32 s4, s0
	s_cbranch_execz .LBB203_59
; %bb.38:
	v_mbcnt_lo_u32_b32 v1, -1, 0
	v_and_b32_e32 v2, 4, v10
	v_add3_u32 v4, v9, 0, 0x400
	v_mov_b32_e32 v9, 0
	v_cmp_lt_u32_e32 vcc_lo, 63, v0
	v_xor_b32_e32 v1, 63, v1
	v_dual_mov_b32 v6, 0 :: v_dual_add_nc_u32 v5, 0, v2
	v_cmp_eq_u32_e64 s0, 0x7f, v0
	s_mov_b32 s5, 0
	s_delay_alu instid0(VALU_DEP_3)
	v_lshrrev_b64 v[1:2], v1, -1
	s_branch .LBB203_40
.LBB203_39:                             ;   in Loop: Header=BB203_40 Depth=1
	s_or_b32 exec_lo, exec_lo, s1
	s_waitcnt lgkmcnt(0)
	s_barrier
	buffer_gl0_inv
	ds_load_b32 v2, v6 offset:3076
	v_add_co_u32 v7, s1, 0x80, v7
	s_delay_alu instid0(VALU_DEP_1) | instskip(SKIP_3) | instid1(SALU_CYCLE_1)
	s_xor_b32 s1, s1, -1
	v_add_nc_u32_e32 v4, 0x400, v4
	v_add_nc_u32_e32 v8, 0x200, v8
	s_and_b32 s1, exec_lo, s1
	s_or_b32 s5, s1, s5
	s_waitcnt lgkmcnt(0)
	v_add_nc_u32_e32 v9, v2, v9
	s_and_not1_b32 exec_lo, exec_lo, s5
	s_cbranch_execz .LBB203_59
.LBB203_40:                             ; =>This Inner Loop Header: Depth=1
	ds_load_b32 v10, v8
	ds_load_2addr_b32 v[2:3], v4 offset1:1
	s_waitcnt lgkmcnt(0)
	s_barrier
	buffer_gl0_inv
	v_cmp_gt_i32_e64 s1, s33, v10
	s_delay_alu instid0(VALU_DEP_1) | instskip(NEXT) | instid1(SALU_CYCLE_1)
	s_bcnt1_i32_b32 s6, s1
	v_dual_mov_b32 v12, s6 :: v_dual_and_b32 v11, s1, v1
	s_delay_alu instid0(VALU_DEP_1)
	v_bcnt_u32_b32 v11, v11, 0
	ds_store_b32 v5, v12 offset:3072
	s_waitcnt lgkmcnt(0)
	s_barrier
	buffer_gl0_inv
	s_and_saveexec_b32 s6, vcc_lo
	s_cbranch_execnz .LBB203_43
; %bb.41:                               ;   in Loop: Header=BB203_40 Depth=1
	s_or_b32 exec_lo, exec_lo, s6
	s_and_saveexec_b32 s6, s1
	s_cbranch_execnz .LBB203_44
.LBB203_42:                             ;   in Loop: Header=BB203_40 Depth=1
	s_or_b32 exec_lo, exec_lo, s6
	s_and_saveexec_b32 s1, s0
	s_cbranch_execz .LBB203_39
	s_branch .LBB203_45
.LBB203_43:                             ;   in Loop: Header=BB203_40 Depth=1
	ds_load_b32 v12, v6 offset:3072
	s_waitcnt lgkmcnt(0)
	v_add_nc_u32_e32 v11, v12, v11
	s_or_b32 exec_lo, exec_lo, s6
	s_and_saveexec_b32 s6, s1
	s_cbranch_execz .LBB203_42
.LBB203_44:                             ;   in Loop: Header=BB203_40 Depth=1
	s_delay_alu instid0(VALU_DEP_1) | instskip(NEXT) | instid1(VALU_DEP_1)
	v_add3_u32 v12, v9, -1, v11
	v_lshlrev_b32_e32 v13, 3, v12
	v_lshl_add_u32 v12, v12, 2, 0
	s_delay_alu instid0(VALU_DEP_2)
	v_add3_u32 v13, 0, v13, 0x400
	ds_store_b32 v12, v10
	ds_store_2addr_b32 v13, v2, v3 offset1:1
	s_or_b32 exec_lo, exec_lo, s6
	s_and_saveexec_b32 s1, s0
	s_cbranch_execz .LBB203_39
.LBB203_45:                             ;   in Loop: Header=BB203_40 Depth=1
	ds_store_b32 v6, v11 offset:3076
	s_branch .LBB203_39
.LBB203_46:                             ;   in Loop: Header=BB203_47 Depth=1
	s_or_b32 exec_lo, exec_lo, s7
	v_add_co_u32 v1, vcc_lo, 0x80, v1
	v_add_co_ci_u32_e32 v2, vcc_lo, 0, v2, vcc_lo
	s_delay_alu instid0(VALU_DEP_1) | instskip(SKIP_1) | instid1(SALU_CYCLE_1)
	v_cmp_le_i64_e32 vcc_lo, s[4:5], v[1:2]
	s_or_b32 s6, vcc_lo, s6
	s_and_not1_b32 exec_lo, exec_lo, s6
	s_cbranch_execz .LBB203_36
.LBB203_47:                             ; =>This Loop Header: Depth=1
                                        ;     Child Loop BB203_49 Depth 2
	v_lshlrev_b64 v[3:4], 2, v[1:2]
	v_lshlrev_b64 v[5:6], 3, v[1:2]
	s_mov_b32 s7, 0
	s_delay_alu instid0(VALU_DEP_2) | instskip(NEXT) | instid1(VALU_DEP_3)
	v_add_co_u32 v3, vcc_lo, s28, v3
	v_add_co_ci_u32_e32 v4, vcc_lo, s29, v4, vcc_lo
	global_load_b32 v13, v[3:4], off
	v_add_co_u32 v3, vcc_lo, s30, v5
	v_add_co_ci_u32_e32 v4, vcc_lo, s31, v6, vcc_lo
	global_load_b64 v[11:12], v[3:4], off
	s_waitcnt vmcnt(1)
	v_subrev_nc_u32_e32 v3, s27, v13
	s_delay_alu instid0(VALU_DEP_1) | instskip(SKIP_2) | instid1(VALU_DEP_1)
	v_mul_lo_u32 v6, 0x89, v3
	s_waitcnt vmcnt(0)
	v_mul_f32_e64 v4, v12, -s40
	v_dual_mul_f32 v5, s34, v12 :: v_dual_fmac_f32 v4, s34, v11
	s_delay_alu instid0(VALU_DEP_1)
	v_dual_fmac_f32 v5, s40, v11 :: v_dual_and_b32 v6, 0xff, v6
	s_branch .LBB203_49
.LBB203_48:                             ;   in Loop: Header=BB203_49 Depth=2
	s_or_b32 exec_lo, exec_lo, s9
	s_xor_b32 s9, s10, -1
	s_delay_alu instid0(SALU_CYCLE_1) | instskip(NEXT) | instid1(SALU_CYCLE_1)
	s_and_b32 s9, exec_lo, s9
	s_or_b32 s7, s9, s7
	s_delay_alu instid0(SALU_CYCLE_1)
	s_and_not1_b32 exec_lo, exec_lo, s7
	s_cbranch_execz .LBB203_46
.LBB203_49:                             ;   Parent Loop BB203_47 Depth=1
                                        ; =>  This Inner Loop Header: Depth=2
	s_delay_alu instid0(VALU_DEP_1)
	v_lshl_add_u32 v11, v6, 2, 0
	s_mov_b32 s9, exec_lo
                                        ; implicit-def: $sgpr10
	ds_load_b32 v12, v11
	s_waitcnt lgkmcnt(0)
	v_cmpx_ne_u32_e64 v12, v3
	s_xor_b32 s9, exec_lo, s9
	s_cbranch_execz .LBB203_57
; %bb.50:                               ;   in Loop: Header=BB203_49 Depth=2
	s_mov_b32 s11, exec_lo
                                        ; implicit-def: $sgpr10
	v_cmpx_ne_u32_e64 s33, v12
	s_xor_b32 s11, exec_lo, s11
; %bb.51:                               ;   in Loop: Header=BB203_49 Depth=2
	v_add_nc_u32_e32 v6, 1, v6
	s_mov_b32 s10, -1
                                        ; implicit-def: $vgpr11
	s_delay_alu instid0(VALU_DEP_1)
	v_and_b32_e32 v6, 0xff, v6
; %bb.52:                               ;   in Loop: Header=BB203_49 Depth=2
	s_and_not1_saveexec_b32 s11, s11
	s_cbranch_execz .LBB203_56
; %bb.53:                               ;   in Loop: Header=BB203_49 Depth=2
	v_mov_b32_e32 v12, s33
	s_mov_b32 s14, -1
	s_mov_b32 s15, exec_lo
	ds_cmpstore_rtn_b32 v12, v11, v3, v12
	s_waitcnt lgkmcnt(0)
	v_cmpx_eq_u32_e64 s33, v12
	s_cbranch_execz .LBB203_55
; %bb.54:                               ;   in Loop: Header=BB203_49 Depth=2
	v_lshl_add_u32 v11, v6, 2, v11
	s_xor_b32 s14, exec_lo, -1
	ds_add_f32 v11, v4 offset:1024
	ds_add_f32 v11, v5 offset:1028
.LBB203_55:                             ;   in Loop: Header=BB203_49 Depth=2
	s_or_b32 exec_lo, exec_lo, s15
	s_delay_alu instid0(SALU_CYCLE_1) | instskip(SKIP_1) | instid1(SALU_CYCLE_1)
	s_and_not1_b32 s10, s10, exec_lo
	s_and_b32 s14, s14, exec_lo
	s_or_b32 s10, s10, s14
.LBB203_56:                             ;   in Loop: Header=BB203_49 Depth=2
	s_or_b32 exec_lo, exec_lo, s11
	s_delay_alu instid0(SALU_CYCLE_1)
	s_and_b32 s10, s10, exec_lo
                                        ; implicit-def: $vgpr11
.LBB203_57:                             ;   in Loop: Header=BB203_49 Depth=2
	s_and_not1_saveexec_b32 s9, s9
	s_cbranch_execz .LBB203_48
; %bb.58:                               ;   in Loop: Header=BB203_49 Depth=2
	v_lshl_add_u32 v11, v6, 2, v11
	s_and_not1_b32 s10, s10, exec_lo
	ds_add_f32 v11, v4 offset:1024
	ds_add_f32 v11, v5 offset:1028
	s_branch .LBB203_48
.LBB203_59:
	s_or_b32 exec_lo, exec_lo, s4
	s_ashr_i32 s9, s8, 31
	s_mov_b32 s4, exec_lo
	s_lshl_b64 s[0:1], s[8:9], 3
	s_delay_alu instid0(SALU_CYCLE_1) | instskip(SKIP_4) | instid1(SALU_CYCLE_1)
	s_add_u32 s0, s2, s0
	s_addc_u32 s1, s3, s1
	s_load_b128 s[0:3], s[0:1], 0x0
	s_waitcnt lgkmcnt(0)
	s_sub_i32 s3, s2, s0
	v_cmpx_gt_i32_e64 s3, v0
	s_cbranch_execz .LBB203_69
; %bb.60:
	s_sub_u32 s4, s0, s26
	s_subb_u32 s5, s1, 0
	s_sub_i32 s0, s0, s2
	s_and_b32 s1, s3, 7
	s_cmp_lt_u32 s0, -7
	s_mov_b32 s8, 0
	s_cselect_b32 s2, -1, 0
	s_and_b32 s6, s3, -8
	s_cmp_lg_u32 s1, 0
	s_cselect_b32 s7, -1, 0
	s_branch .LBB203_62
.LBB203_61:                             ;   in Loop: Header=BB203_62 Depth=1
	s_delay_alu instid0(VALU_DEP_1) | instskip(SKIP_1) | instid1(VALU_DEP_1)
	v_lshlrev_b64 v[3:4], 3, v[3:4]
	v_add_nc_u32_e32 v0, 0x80, v0
	v_cmp_le_i32_e32 vcc_lo, s3, v0
	s_delay_alu instid0(VALU_DEP_3) | instskip(NEXT) | instid1(VALU_DEP_1)
	v_add_co_u32 v3, s0, s12, v3
	v_add_co_ci_u32_e64 v4, s0, s13, v4, s0
	s_or_b32 s8, vcc_lo, s8
	s_waitcnt lgkmcnt(0)
	global_store_b64 v[3:4], v[1:2], off
	s_and_not1_b32 exec_lo, exec_lo, s8
	s_cbranch_execz .LBB203_69
.LBB203_62:                             ; =>This Loop Header: Depth=1
                                        ;     Child Loop BB203_64 Depth 2
                                        ;     Child Loop BB203_68 Depth 2
	v_lshlrev_b32_e32 v1, 2, v0
	v_dual_mov_b32 v3, s4 :: v_dual_mov_b32 v4, s5
	s_and_not1_b32 vcc_lo, exec_lo, s2
	s_mov_b32 s0, 0
	s_delay_alu instid0(VALU_DEP_2) | instskip(NEXT) | instid1(VALU_DEP_1)
	v_add_nc_u32_e32 v2, 0, v1
	v_add3_u32 v1, v2, v1, 0x400
	ds_load_b32 v5, v2
	ds_load_2addr_b32 v[1:2], v1 offset1:1
	s_cbranch_vccnz .LBB203_66
; %bb.63:                               ;   in Loop: Header=BB203_62 Depth=1
	v_dual_mov_b32 v3, s4 :: v_dual_mov_b32 v4, s5
	s_mov_b32 s9, 0
	s_mov_b32 s10, 0
.LBB203_64:                             ;   Parent Loop BB203_62 Depth=1
                                        ; =>  This Inner Loop Header: Depth=2
	s_delay_alu instid0(SALU_CYCLE_1)
	v_mov_b32_e32 v12, s10
	s_add_i32 s9, s9, 8
	s_add_i32 s10, s10, 32
	s_cmp_eq_u32 s6, s9
	ds_load_2addr_b32 v[6:7], v12 offset1:1
	ds_load_2addr_b32 v[8:9], v12 offset0:2 offset1:3
	ds_load_2addr_b32 v[10:11], v12 offset0:4 offset1:5
	;; [unrolled: 1-line block ×3, first 2 shown]
	s_waitcnt lgkmcnt(3)
	v_cmp_gt_i32_e32 vcc_lo, v5, v6
	v_cndmask_b32_e64 v6, 0, 1, vcc_lo
	v_cmp_gt_i32_e32 vcc_lo, v5, v7
	v_cndmask_b32_e64 v7, 0, 1, vcc_lo
	s_waitcnt lgkmcnt(2)
	v_cmp_gt_i32_e32 vcc_lo, v5, v8
	v_cndmask_b32_e64 v8, 0, 1, vcc_lo
	v_cmp_gt_i32_e32 vcc_lo, v5, v9
	v_cndmask_b32_e64 v9, 0, 1, vcc_lo
	s_waitcnt lgkmcnt(1)
	v_cmp_gt_i32_e32 vcc_lo, v5, v10
	v_cndmask_b32_e64 v10, 0, 1, vcc_lo
	v_add_co_u32 v3, vcc_lo, v3, v6
	v_add_co_ci_u32_e32 v4, vcc_lo, 0, v4, vcc_lo
	v_cmp_gt_i32_e32 vcc_lo, v5, v11
	s_delay_alu instid0(VALU_DEP_3) | instskip(NEXT) | instid1(VALU_DEP_1)
	v_add_co_u32 v3, s0, v3, v7
	v_add_co_ci_u32_e64 v4, s0, 0, v4, s0
	v_cndmask_b32_e64 v6, 0, 1, vcc_lo
	s_delay_alu instid0(VALU_DEP_3) | instskip(NEXT) | instid1(VALU_DEP_3)
	v_add_co_u32 v3, vcc_lo, v3, v8
	v_add_co_ci_u32_e32 v4, vcc_lo, 0, v4, vcc_lo
	s_waitcnt lgkmcnt(0)
	v_cmp_gt_i32_e32 vcc_lo, v5, v12
	s_delay_alu instid0(VALU_DEP_3) | instskip(NEXT) | instid1(VALU_DEP_1)
	v_add_co_u32 v3, s0, v3, v9
	v_add_co_ci_u32_e64 v4, s0, 0, v4, s0
	v_cndmask_b32_e64 v7, 0, 1, vcc_lo
	s_delay_alu instid0(VALU_DEP_3) | instskip(NEXT) | instid1(VALU_DEP_3)
	v_add_co_u32 v3, vcc_lo, v3, v10
	v_add_co_ci_u32_e32 v4, vcc_lo, 0, v4, vcc_lo
	v_cmp_gt_i32_e32 vcc_lo, v5, v13
	s_delay_alu instid0(VALU_DEP_3) | instskip(NEXT) | instid1(VALU_DEP_1)
	v_add_co_u32 v3, s0, v3, v6
	v_add_co_ci_u32_e64 v4, s0, 0, v4, s0
	v_cndmask_b32_e64 v6, 0, 1, vcc_lo
	s_delay_alu instid0(VALU_DEP_3) | instskip(NEXT) | instid1(VALU_DEP_3)
	v_add_co_u32 v3, vcc_lo, v3, v7
	v_add_co_ci_u32_e32 v4, vcc_lo, 0, v4, vcc_lo
	s_delay_alu instid0(VALU_DEP_2) | instskip(NEXT) | instid1(VALU_DEP_2)
	v_add_co_u32 v3, vcc_lo, v3, v6
	v_add_co_ci_u32_e32 v4, vcc_lo, 0, v4, vcc_lo
	s_cbranch_scc0 .LBB203_64
; %bb.65:                               ;   in Loop: Header=BB203_62 Depth=1
	s_mov_b32 s0, s6
.LBB203_66:                             ;   in Loop: Header=BB203_62 Depth=1
	s_and_not1_b32 vcc_lo, exec_lo, s7
	s_cbranch_vccnz .LBB203_61
; %bb.67:                               ;   in Loop: Header=BB203_62 Depth=1
	s_lshl_b32 s0, s0, 2
	s_mov_b32 s9, s1
	s_add_i32 s0, s0, 0
.LBB203_68:                             ;   Parent Loop BB203_62 Depth=1
                                        ; =>  This Inner Loop Header: Depth=2
	s_delay_alu instid0(SALU_CYCLE_1)
	v_mov_b32_e32 v6, s0
	s_add_i32 s9, s9, -1
	s_add_i32 s0, s0, 4
	s_cmp_lg_u32 s9, 0
	ds_load_b32 v6, v6
	s_waitcnt lgkmcnt(0)
	v_cmp_gt_i32_e32 vcc_lo, v5, v6
	v_cndmask_b32_e64 v6, 0, 1, vcc_lo
	s_delay_alu instid0(VALU_DEP_1)
	v_add_co_u32 v3, vcc_lo, v3, v6
	v_add_co_ci_u32_e32 v4, vcc_lo, 0, v4, vcc_lo
	s_cbranch_scc1 .LBB203_68
	s_branch .LBB203_61
.LBB203_69:
	s_nop 0
	s_sendmsg sendmsg(MSG_DEALLOC_VGPRS)
	s_endpgm
	.section	.rodata,"a",@progbits
	.p2align	6, 0x0
	.amdhsa_kernel _ZN9rocsparseL41csrgemm_numeric_fill_block_per_row_kernelILj128ELj16ELj256ELj137ELj64Eli21rocsparse_complex_numIfEEEvT5_PKS3_S5_NS_24const_host_device_scalarIT6_EEPKT4_S5_PKS7_SB_S5_SD_S8_SB_S5_SD_SB_S5_PS7_21rocsparse_index_base_SF_SF_SF_bbb
		.amdhsa_group_segment_fixed_size 0
		.amdhsa_private_segment_fixed_size 0
		.amdhsa_kernarg_size 156
		.amdhsa_user_sgpr_count 15
		.amdhsa_user_sgpr_dispatch_ptr 0
		.amdhsa_user_sgpr_queue_ptr 0
		.amdhsa_user_sgpr_kernarg_segment_ptr 1
		.amdhsa_user_sgpr_dispatch_id 0
		.amdhsa_user_sgpr_private_segment_size 0
		.amdhsa_wavefront_size32 1
		.amdhsa_uses_dynamic_stack 0
		.amdhsa_enable_private_segment 0
		.amdhsa_system_sgpr_workgroup_id_x 1
		.amdhsa_system_sgpr_workgroup_id_y 0
		.amdhsa_system_sgpr_workgroup_id_z 0
		.amdhsa_system_sgpr_workgroup_info 0
		.amdhsa_system_vgpr_workitem_id 0
		.amdhsa_next_free_vgpr 21
		.amdhsa_next_free_sgpr 46
		.amdhsa_reserve_vcc 1
		.amdhsa_float_round_mode_32 0
		.amdhsa_float_round_mode_16_64 0
		.amdhsa_float_denorm_mode_32 3
		.amdhsa_float_denorm_mode_16_64 3
		.amdhsa_dx10_clamp 1
		.amdhsa_ieee_mode 1
		.amdhsa_fp16_overflow 0
		.amdhsa_workgroup_processor_mode 1
		.amdhsa_memory_ordered 1
		.amdhsa_forward_progress 0
		.amdhsa_shared_vgpr_count 0
		.amdhsa_exception_fp_ieee_invalid_op 0
		.amdhsa_exception_fp_denorm_src 0
		.amdhsa_exception_fp_ieee_div_zero 0
		.amdhsa_exception_fp_ieee_overflow 0
		.amdhsa_exception_fp_ieee_underflow 0
		.amdhsa_exception_fp_ieee_inexact 0
		.amdhsa_exception_int_div_zero 0
	.end_amdhsa_kernel
	.section	.text._ZN9rocsparseL41csrgemm_numeric_fill_block_per_row_kernelILj128ELj16ELj256ELj137ELj64Eli21rocsparse_complex_numIfEEEvT5_PKS3_S5_NS_24const_host_device_scalarIT6_EEPKT4_S5_PKS7_SB_S5_SD_S8_SB_S5_SD_SB_S5_PS7_21rocsparse_index_base_SF_SF_SF_bbb,"axG",@progbits,_ZN9rocsparseL41csrgemm_numeric_fill_block_per_row_kernelILj128ELj16ELj256ELj137ELj64Eli21rocsparse_complex_numIfEEEvT5_PKS3_S5_NS_24const_host_device_scalarIT6_EEPKT4_S5_PKS7_SB_S5_SD_S8_SB_S5_SD_SB_S5_PS7_21rocsparse_index_base_SF_SF_SF_bbb,comdat
.Lfunc_end203:
	.size	_ZN9rocsparseL41csrgemm_numeric_fill_block_per_row_kernelILj128ELj16ELj256ELj137ELj64Eli21rocsparse_complex_numIfEEEvT5_PKS3_S5_NS_24const_host_device_scalarIT6_EEPKT4_S5_PKS7_SB_S5_SD_S8_SB_S5_SD_SB_S5_PS7_21rocsparse_index_base_SF_SF_SF_bbb, .Lfunc_end203-_ZN9rocsparseL41csrgemm_numeric_fill_block_per_row_kernelILj128ELj16ELj256ELj137ELj64Eli21rocsparse_complex_numIfEEEvT5_PKS3_S5_NS_24const_host_device_scalarIT6_EEPKT4_S5_PKS7_SB_S5_SD_S8_SB_S5_SD_SB_S5_PS7_21rocsparse_index_base_SF_SF_SF_bbb
                                        ; -- End function
	.section	.AMDGPU.csdata,"",@progbits
; Kernel info:
; codeLenInByte = 2880
; NumSgprs: 48
; NumVgprs: 21
; ScratchSize: 0
; MemoryBound: 0
; FloatMode: 240
; IeeeMode: 1
; LDSByteSize: 0 bytes/workgroup (compile time only)
; SGPRBlocks: 5
; VGPRBlocks: 2
; NumSGPRsForWavesPerEU: 48
; NumVGPRsForWavesPerEU: 21
; Occupancy: 16
; WaveLimiterHint : 1
; COMPUTE_PGM_RSRC2:SCRATCH_EN: 0
; COMPUTE_PGM_RSRC2:USER_SGPR: 15
; COMPUTE_PGM_RSRC2:TRAP_HANDLER: 0
; COMPUTE_PGM_RSRC2:TGID_X_EN: 1
; COMPUTE_PGM_RSRC2:TGID_Y_EN: 0
; COMPUTE_PGM_RSRC2:TGID_Z_EN: 0
; COMPUTE_PGM_RSRC2:TIDIG_COMP_CNT: 0
	.section	.text._ZN9rocsparseL41csrgemm_numeric_fill_block_per_row_kernelILj256ELj32ELj512ELj137ELj32Eli21rocsparse_complex_numIfEEEvT5_PKS3_S5_NS_24const_host_device_scalarIT6_EEPKT4_S5_PKS7_SB_S5_SD_S8_SB_S5_SD_SB_S5_PS7_21rocsparse_index_base_SF_SF_SF_bbb,"axG",@progbits,_ZN9rocsparseL41csrgemm_numeric_fill_block_per_row_kernelILj256ELj32ELj512ELj137ELj32Eli21rocsparse_complex_numIfEEEvT5_PKS3_S5_NS_24const_host_device_scalarIT6_EEPKT4_S5_PKS7_SB_S5_SD_S8_SB_S5_SD_SB_S5_PS7_21rocsparse_index_base_SF_SF_SF_bbb,comdat
	.globl	_ZN9rocsparseL41csrgemm_numeric_fill_block_per_row_kernelILj256ELj32ELj512ELj137ELj32Eli21rocsparse_complex_numIfEEEvT5_PKS3_S5_NS_24const_host_device_scalarIT6_EEPKT4_S5_PKS7_SB_S5_SD_S8_SB_S5_SD_SB_S5_PS7_21rocsparse_index_base_SF_SF_SF_bbb ; -- Begin function _ZN9rocsparseL41csrgemm_numeric_fill_block_per_row_kernelILj256ELj32ELj512ELj137ELj32Eli21rocsparse_complex_numIfEEEvT5_PKS3_S5_NS_24const_host_device_scalarIT6_EEPKT4_S5_PKS7_SB_S5_SD_S8_SB_S5_SD_SB_S5_PS7_21rocsparse_index_base_SF_SF_SF_bbb
	.p2align	8
	.type	_ZN9rocsparseL41csrgemm_numeric_fill_block_per_row_kernelILj256ELj32ELj512ELj137ELj32Eli21rocsparse_complex_numIfEEEvT5_PKS3_S5_NS_24const_host_device_scalarIT6_EEPKT4_S5_PKS7_SB_S5_SD_S8_SB_S5_SD_SB_S5_PS7_21rocsparse_index_base_SF_SF_SF_bbb,@function
_ZN9rocsparseL41csrgemm_numeric_fill_block_per_row_kernelILj256ELj32ELj512ELj137ELj32Eli21rocsparse_complex_numIfEEEvT5_PKS3_S5_NS_24const_host_device_scalarIT6_EEPKT4_S5_PKS7_SB_S5_SD_S8_SB_S5_SD_SB_S5_PS7_21rocsparse_index_base_SF_SF_SF_bbb: ; @_ZN9rocsparseL41csrgemm_numeric_fill_block_per_row_kernelILj256ELj32ELj512ELj137ELj32Eli21rocsparse_complex_numIfEEEvT5_PKS3_S5_NS_24const_host_device_scalarIT6_EEPKT4_S5_PKS7_SB_S5_SD_S8_SB_S5_SD_SB_S5_PS7_21rocsparse_index_base_SF_SF_SF_bbb
; %bb.0:
	s_clause 0x7
	s_load_b32 s33, s[0:1], 0x98
	s_load_b64 s[34:35], s[0:1], 0x70
	s_load_b128 s[28:31], s[0:1], 0x60
	s_load_b256 s[4:11], s[0:1], 0x40
	s_load_b128 s[36:39], s[0:1], 0x8
	s_load_b256 s[16:23], s[0:1], 0x20
	s_load_b64 s[12:13], s[0:1], 0x80
	s_load_b128 s[24:27], s[0:1], 0x88
	s_mov_b32 s3, 0
	s_mov_b32 s42, 0
	s_waitcnt lgkmcnt(0)
	s_bitcmp1_b32 s33, 0
	s_cselect_b32 s14, -1, 0
	s_bitcmp1_b32 s33, 16
	s_cselect_b32 s2, -1, 0
	s_delay_alu instid0(SALU_CYCLE_1) | instskip(SKIP_2) | instid1(VALU_DEP_1)
	s_xor_b32 s40, s2, -1
	s_bitcmp0_b32 s33, 0
	v_cndmask_b32_e64 v1, 0, 1, s40
	v_cmp_ne_u32_e32 vcc_lo, 1, v1
	s_cbranch_scc1 .LBB204_5
; %bb.1:
	s_load_b64 s[2:3], s[0:1], 0x18
	s_and_b32 vcc_lo, exec_lo, vcc_lo
	s_waitcnt lgkmcnt(0)
	s_mov_b32 s42, s2
	s_cbranch_vccnz .LBB204_3
; %bb.2:
	s_load_b32 s42, s[2:3], 0x0
.LBB204_3:
	s_and_not1_b32 vcc_lo, exec_lo, s40
	s_cbranch_vccnz .LBB204_5
; %bb.4:
	s_load_b32 s3, s[2:3], 0x4
.LBB204_5:
	s_bitcmp1_b32 s33, 8
	s_mov_b32 s41, 0
	s_cselect_b32 s2, -1, 0
	s_bfe_u32 s33, s33, 0x10008
	s_mov_b32 s40, 0
	s_cmp_eq_u32 s33, 0
	s_cbranch_scc1 .LBB204_11
; %bb.6:
	v_cmp_ne_u32_e32 vcc_lo, 1, v1
	s_mov_b32 s40, s8
	s_cbranch_vccnz .LBB204_8
; %bb.7:
	s_load_b32 s40, s[8:9], 0x0
.LBB204_8:
	v_cmp_ne_u32_e32 vcc_lo, 1, v1
	s_cbranch_vccnz .LBB204_10
; %bb.9:
	s_load_b32 s9, s[8:9], 0x4
.LBB204_10:
	s_waitcnt lgkmcnt(0)
	s_mov_b32 s41, s9
.LBB204_11:
	s_load_b32 s33, s[0:1], 0x0
	v_cmp_gt_u32_e64 s0, 0x200, v0
	v_lshlrev_b32_e32 v9, 3, v0
	v_or_b32_e32 v7, 0xffffff00, v0
	v_lshl_add_u32 v8, v0, 2, 0
	s_delay_alu instid0(VALU_DEP_4)
	s_and_saveexec_b32 s1, s0
	s_cbranch_execz .LBB204_14
; %bb.12:
	v_add3_u32 v1, v9, 0, 0x800
	v_or_b32_e32 v2, 0xffffff00, v0
	v_lshl_add_u32 v3, v0, 2, 0
	s_waitcnt lgkmcnt(0)
	v_dual_mov_b32 v4, s33 :: v_dual_mov_b32 v5, 0
	s_mov_b32 s8, 0
.LBB204_13:                             ; =>This Inner Loop Header: Depth=1
	v_add_co_u32 v2, s9, 0x100, v2
	s_delay_alu instid0(VALU_DEP_1)
	s_xor_b32 s9, s9, -1
	ds_store_b32 v3, v4
	ds_store_2addr_b32 v1, v5, v5 offset1:1
	v_add_nc_u32_e32 v1, 0x800, v1
	v_add_nc_u32_e32 v3, 0x400, v3
	s_and_b32 s9, exec_lo, s9
	s_delay_alu instid0(SALU_CYCLE_1) | instskip(NEXT) | instid1(SALU_CYCLE_1)
	s_or_b32 s8, s9, s8
	s_and_not1_b32 exec_lo, exec_lo, s8
	s_cbranch_execnz .LBB204_13
.LBB204_14:
	s_or_b32 exec_lo, exec_lo, s1
	s_waitcnt lgkmcnt(0)
	s_barrier
	buffer_gl0_inv
	s_load_b32 s1, s[36:37], 0x0
	s_mov_b32 s9, 0
	v_lshrrev_b32_e32 v10, 5, v0
	s_waitcnt lgkmcnt(0)
	s_add_i32 s8, s1, s15
	s_delay_alu instid0(SALU_CYCLE_1) | instskip(NEXT) | instid1(SALU_CYCLE_1)
	s_lshl_b64 s[8:9], s[8:9], 2
	s_add_u32 s8, s38, s8
	s_addc_u32 s9, s39, s9
	s_and_b32 vcc_lo, exec_lo, s14
	s_load_b32 s8, s[8:9], 0x0
	s_cbranch_vccz .LBB204_34
; %bb.15:
	s_waitcnt lgkmcnt(0)
	s_ashr_i32 s9, s8, 31
	v_sub_co_u32 v1, s1, v10, s24
	s_lshl_b64 s[14:15], s[8:9], 3
	v_sub_co_ci_u32_e64 v2, null, 0, 0, s1
	s_add_u32 s14, s16, s14
	s_addc_u32 s15, s17, s15
	s_mov_b32 s1, exec_lo
	s_load_b128 s[36:39], s[14:15], 0x0
	s_waitcnt lgkmcnt(0)
	v_add_co_u32 v1, vcc_lo, s36, v1
	v_add_co_ci_u32_e32 v2, vcc_lo, s37, v2, vcc_lo
	s_sub_u32 s14, s38, s24
	s_subb_u32 s15, s39, 0
	s_delay_alu instid0(VALU_DEP_1) | instid1(SALU_CYCLE_1)
	v_cmpx_gt_i64_e64 s[14:15], v[1:2]
	s_cbranch_execz .LBB204_33
; %bb.16:
	v_and_b32_e32 v3, 31, v0
	s_mov_b32 s16, s25
	s_delay_alu instid0(VALU_DEP_1) | instskip(NEXT) | instid1(VALU_DEP_1)
	v_sub_co_u32 v11, s9, v3, s25
	v_sub_co_ci_u32_e64 v12, null, 0, 0, s9
	s_mov_b32 s9, 0
	s_branch .LBB204_18
.LBB204_17:                             ;   in Loop: Header=BB204_18 Depth=1
	s_or_b32 exec_lo, exec_lo, s17
	v_add_co_u32 v1, vcc_lo, v1, 8
	v_add_co_ci_u32_e32 v2, vcc_lo, 0, v2, vcc_lo
	s_delay_alu instid0(VALU_DEP_1) | instskip(SKIP_1) | instid1(SALU_CYCLE_1)
	v_cmp_le_i64_e32 vcc_lo, s[14:15], v[1:2]
	s_or_b32 s9, vcc_lo, s9
	s_and_not1_b32 exec_lo, exec_lo, s9
	s_cbranch_execz .LBB204_33
.LBB204_18:                             ; =>This Loop Header: Depth=1
                                        ;     Child Loop BB204_21 Depth 2
                                        ;       Child Loop BB204_23 Depth 3
	v_lshlrev_b64 v[3:4], 2, v[1:2]
	s_mov_b32 s17, exec_lo
	s_delay_alu instid0(VALU_DEP_1) | instskip(NEXT) | instid1(VALU_DEP_2)
	v_add_co_u32 v3, vcc_lo, s18, v3
	v_add_co_ci_u32_e32 v4, vcc_lo, s19, v4, vcc_lo
	global_load_b32 v3, v[3:4], off
	s_waitcnt vmcnt(0)
	v_subrev_nc_u32_e32 v3, s24, v3
	s_delay_alu instid0(VALU_DEP_1) | instskip(NEXT) | instid1(VALU_DEP_1)
	v_ashrrev_i32_e32 v4, 31, v3
	v_lshlrev_b64 v[3:4], 3, v[3:4]
	s_delay_alu instid0(VALU_DEP_1) | instskip(NEXT) | instid1(VALU_DEP_2)
	v_add_co_u32 v3, vcc_lo, s22, v3
	v_add_co_ci_u32_e32 v4, vcc_lo, s23, v4, vcc_lo
	global_load_b128 v[13:16], v[3:4], off
	s_waitcnt vmcnt(0)
	v_sub_co_u32 v3, vcc_lo, v15, s16
	v_subrev_co_ci_u32_e32 v4, vcc_lo, 0, v16, vcc_lo
	v_add_co_u32 v5, vcc_lo, v13, v11
	v_add_co_ci_u32_e32 v6, vcc_lo, v14, v12, vcc_lo
	s_delay_alu instid0(VALU_DEP_1)
	v_cmpx_lt_i64_e64 v[5:6], v[3:4]
	s_cbranch_execz .LBB204_17
; %bb.19:                               ;   in Loop: Header=BB204_18 Depth=1
	v_lshlrev_b64 v[13:14], 3, v[1:2]
	s_mov_b32 s36, 0
	s_delay_alu instid0(VALU_DEP_1) | instskip(NEXT) | instid1(VALU_DEP_2)
	v_add_co_u32 v13, vcc_lo, s20, v13
	v_add_co_ci_u32_e32 v14, vcc_lo, s21, v14, vcc_lo
	global_load_b64 v[15:16], v[13:14], off
	s_waitcnt vmcnt(0)
	v_mul_f32_e64 v13, v16, -s3
	s_delay_alu instid0(VALU_DEP_1) | instskip(NEXT) | instid1(VALU_DEP_1)
	v_dual_mul_f32 v14, s42, v16 :: v_dual_fmac_f32 v13, s42, v15
	v_fmac_f32_e32 v14, s3, v15
	s_branch .LBB204_21
.LBB204_20:                             ;   in Loop: Header=BB204_21 Depth=2
	s_or_b32 exec_lo, exec_lo, s37
	v_add_co_u32 v5, vcc_lo, v5, 32
	v_add_co_ci_u32_e32 v6, vcc_lo, 0, v6, vcc_lo
	s_delay_alu instid0(VALU_DEP_1) | instskip(SKIP_1) | instid1(SALU_CYCLE_1)
	v_cmp_ge_i64_e32 vcc_lo, v[5:6], v[3:4]
	s_or_b32 s36, vcc_lo, s36
	s_and_not1_b32 exec_lo, exec_lo, s36
	s_cbranch_execz .LBB204_17
.LBB204_21:                             ;   Parent Loop BB204_18 Depth=1
                                        ; =>  This Loop Header: Depth=2
                                        ;       Child Loop BB204_23 Depth 3
	v_lshlrev_b64 v[15:16], 2, v[5:6]
	v_lshlrev_b64 v[17:18], 3, v[5:6]
	s_mov_b32 s37, 0
	s_delay_alu instid0(VALU_DEP_2) | instskip(NEXT) | instid1(VALU_DEP_3)
	v_add_co_u32 v15, vcc_lo, s4, v15
	v_add_co_ci_u32_e32 v16, vcc_lo, s5, v16, vcc_lo
	global_load_b32 v20, v[15:16], off
	v_add_co_u32 v15, vcc_lo, s6, v17
	v_add_co_ci_u32_e32 v16, vcc_lo, s7, v18, vcc_lo
	global_load_b64 v[18:19], v[15:16], off
	s_waitcnt vmcnt(1)
	v_subrev_nc_u32_e32 v15, s25, v20
	s_delay_alu instid0(VALU_DEP_1) | instskip(SKIP_3) | instid1(VALU_DEP_2)
	v_mul_lo_u32 v20, 0x89, v15
	s_waitcnt vmcnt(0)
	v_mul_f32_e64 v16, v19, -v14
	v_mul_f32_e32 v17, v13, v19
	v_fmac_f32_e32 v16, v13, v18
	s_delay_alu instid0(VALU_DEP_2)
	v_dual_fmac_f32 v17, v14, v18 :: v_dual_and_b32 v18, 0x1ff, v20
	s_branch .LBB204_23
.LBB204_22:                             ;   in Loop: Header=BB204_23 Depth=3
	s_or_b32 exec_lo, exec_lo, s38
	s_xor_b32 s38, s39, -1
	s_delay_alu instid0(SALU_CYCLE_1) | instskip(NEXT) | instid1(SALU_CYCLE_1)
	s_and_b32 s38, exec_lo, s38
	s_or_b32 s37, s38, s37
	s_delay_alu instid0(SALU_CYCLE_1)
	s_and_not1_b32 exec_lo, exec_lo, s37
	s_cbranch_execz .LBB204_20
.LBB204_23:                             ;   Parent Loop BB204_18 Depth=1
                                        ;     Parent Loop BB204_21 Depth=2
                                        ; =>    This Inner Loop Header: Depth=3
	s_delay_alu instid0(VALU_DEP_1)
	v_lshl_add_u32 v19, v18, 2, 0
	s_mov_b32 s38, exec_lo
                                        ; implicit-def: $sgpr39
	ds_load_b32 v20, v19
	s_waitcnt lgkmcnt(0)
	v_cmpx_ne_u32_e64 v20, v15
	s_xor_b32 s38, exec_lo, s38
	s_cbranch_execz .LBB204_31
; %bb.24:                               ;   in Loop: Header=BB204_23 Depth=3
	s_mov_b32 s43, exec_lo
                                        ; implicit-def: $sgpr39
	v_cmpx_ne_u32_e64 s33, v20
	s_xor_b32 s43, exec_lo, s43
; %bb.25:                               ;   in Loop: Header=BB204_23 Depth=3
	v_add_nc_u32_e32 v18, 1, v18
	s_mov_b32 s39, -1
                                        ; implicit-def: $vgpr19
	s_delay_alu instid0(VALU_DEP_1)
	v_and_b32_e32 v18, 0x1ff, v18
; %bb.26:                               ;   in Loop: Header=BB204_23 Depth=3
	s_and_not1_saveexec_b32 s43, s43
	s_cbranch_execz .LBB204_30
; %bb.27:                               ;   in Loop: Header=BB204_23 Depth=3
	v_mov_b32_e32 v20, s33
	s_mov_b32 s44, -1
	s_mov_b32 s45, exec_lo
	ds_cmpstore_rtn_b32 v20, v19, v15, v20
	s_waitcnt lgkmcnt(0)
	v_cmpx_eq_u32_e64 s33, v20
	s_cbranch_execz .LBB204_29
; %bb.28:                               ;   in Loop: Header=BB204_23 Depth=3
	v_lshl_add_u32 v19, v18, 2, v19
	s_xor_b32 s44, exec_lo, -1
	ds_add_f32 v19, v16 offset:2048
	ds_add_f32 v19, v17 offset:2052
.LBB204_29:                             ;   in Loop: Header=BB204_23 Depth=3
	s_or_b32 exec_lo, exec_lo, s45
	s_delay_alu instid0(SALU_CYCLE_1) | instskip(SKIP_1) | instid1(SALU_CYCLE_1)
	s_and_not1_b32 s39, s39, exec_lo
	s_and_b32 s44, s44, exec_lo
	s_or_b32 s39, s39, s44
.LBB204_30:                             ;   in Loop: Header=BB204_23 Depth=3
	s_or_b32 exec_lo, exec_lo, s43
	s_delay_alu instid0(SALU_CYCLE_1)
	s_and_b32 s39, s39, exec_lo
                                        ; implicit-def: $vgpr19
.LBB204_31:                             ;   in Loop: Header=BB204_23 Depth=3
	s_and_not1_saveexec_b32 s38, s38
	s_cbranch_execz .LBB204_22
; %bb.32:                               ;   in Loop: Header=BB204_23 Depth=3
	v_lshl_add_u32 v19, v18, 2, v19
	s_and_not1_b32 s39, s39, exec_lo
	ds_add_f32 v19, v16 offset:2048
	ds_add_f32 v19, v17 offset:2052
	s_branch .LBB204_22
.LBB204_33:
	s_or_b32 exec_lo, exec_lo, s1
.LBB204_34:
	s_delay_alu instid0(SALU_CYCLE_1)
	s_and_not1_b32 vcc_lo, exec_lo, s2
	s_cbranch_vccnz .LBB204_37
; %bb.35:
	s_waitcnt lgkmcnt(0)
	s_ashr_i32 s9, s8, 31
	v_sub_co_u32 v1, s1, v0, s27
	s_lshl_b64 s[2:3], s[8:9], 3
	v_sub_co_ci_u32_e64 v2, null, 0, 0, s1
	s_add_u32 s2, s10, s2
	s_addc_u32 s3, s11, s3
	s_mov_b32 s1, exec_lo
	s_load_b128 s[4:7], s[2:3], 0x0
	s_waitcnt lgkmcnt(0)
	v_add_co_u32 v1, vcc_lo, s4, v1
	v_add_co_ci_u32_e32 v2, vcc_lo, s5, v2, vcc_lo
	s_sub_u32 s2, s6, s27
	s_subb_u32 s3, s7, 0
	s_mov_b32 s4, 0
	s_delay_alu instid0(VALU_DEP_1)
	v_cmpx_gt_i64_e64 s[2:3], v[1:2]
	s_cbranch_execnz .LBB204_59
.LBB204_36:
	s_or_b32 exec_lo, exec_lo, s1
.LBB204_37:
	s_waitcnt lgkmcnt(0)
	s_barrier
	buffer_gl0_inv
	s_and_saveexec_b32 s9, s0
	s_cbranch_execz .LBB204_71
; %bb.38:
	v_mbcnt_lo_u32_b32 v1, -1, 0
	v_lshl_add_u32 v4, v10, 2, 0
	v_cmp_eq_u32_e32 vcc_lo, 0xff, v0
	v_cmp_lt_u32_e64 s0, 31, v0
	v_cmp_lt_u32_e64 s1, 63, v0
	v_xor_b32_e32 v1, 63, v1
	v_cmp_lt_u32_e64 s2, 0x5f, v0
	v_cmp_lt_u32_e64 s3, 0x7f, v0
	v_cmp_lt_u32_e64 s4, 0x9f, v0
	v_cmp_lt_u32_e64 s5, 0xbf, v0
	v_lshrrev_b64 v[1:2], v1, -1
	v_cmp_lt_u32_e64 s6, 0xdf, v0
	v_add3_u32 v5, v9, 0, 0x800
	v_dual_mov_b32 v6, 0 :: v_dual_mov_b32 v9, 0
	s_mov_b32 s10, 0
	s_branch .LBB204_40
.LBB204_39:                             ;   in Loop: Header=BB204_40 Depth=1
	s_or_b32 exec_lo, exec_lo, s7
	s_waitcnt lgkmcnt(0)
	s_barrier
	buffer_gl0_inv
	ds_load_b32 v2, v6 offset:6172
	v_add_co_u32 v7, s7, 0x100, v7
	s_delay_alu instid0(VALU_DEP_1) | instskip(SKIP_3) | instid1(SALU_CYCLE_1)
	s_xor_b32 s7, s7, -1
	v_add_nc_u32_e32 v5, 0x800, v5
	v_add_nc_u32_e32 v8, 0x400, v8
	s_and_b32 s7, exec_lo, s7
	s_or_b32 s10, s7, s10
	s_waitcnt lgkmcnt(0)
	v_add_nc_u32_e32 v9, v2, v9
	s_and_not1_b32 exec_lo, exec_lo, s10
	s_cbranch_execz .LBB204_71
.LBB204_40:                             ; =>This Inner Loop Header: Depth=1
	ds_load_b32 v10, v8
	ds_load_2addr_b32 v[2:3], v5 offset1:1
	s_waitcnt lgkmcnt(0)
	s_barrier
	buffer_gl0_inv
	v_cmp_gt_i32_e64 s7, s33, v10
	s_delay_alu instid0(VALU_DEP_1) | instskip(NEXT) | instid1(SALU_CYCLE_1)
	s_bcnt1_i32_b32 s11, s7
	v_dual_mov_b32 v12, s11 :: v_dual_and_b32 v11, s7, v1
	s_delay_alu instid0(VALU_DEP_1)
	v_bcnt_u32_b32 v11, v11, 0
	ds_store_b32 v4, v12 offset:6144
	s_waitcnt lgkmcnt(0)
	s_barrier
	buffer_gl0_inv
	s_and_saveexec_b32 s11, s0
	s_cbranch_execnz .LBB204_49
; %bb.41:                               ;   in Loop: Header=BB204_40 Depth=1
	s_or_b32 exec_lo, exec_lo, s11
	s_and_saveexec_b32 s11, s1
	s_cbranch_execnz .LBB204_50
.LBB204_42:                             ;   in Loop: Header=BB204_40 Depth=1
	s_or_b32 exec_lo, exec_lo, s11
	s_and_saveexec_b32 s11, s2
	s_cbranch_execnz .LBB204_51
.LBB204_43:                             ;   in Loop: Header=BB204_40 Depth=1
	s_or_b32 exec_lo, exec_lo, s11
	s_and_saveexec_b32 s11, s3
	s_cbranch_execnz .LBB204_52
.LBB204_44:                             ;   in Loop: Header=BB204_40 Depth=1
	s_or_b32 exec_lo, exec_lo, s11
	s_and_saveexec_b32 s11, s4
	s_cbranch_execnz .LBB204_53
.LBB204_45:                             ;   in Loop: Header=BB204_40 Depth=1
	s_or_b32 exec_lo, exec_lo, s11
	s_and_saveexec_b32 s11, s5
	s_cbranch_execnz .LBB204_54
.LBB204_46:                             ;   in Loop: Header=BB204_40 Depth=1
	s_or_b32 exec_lo, exec_lo, s11
	s_and_saveexec_b32 s11, s6
	s_cbranch_execnz .LBB204_55
.LBB204_47:                             ;   in Loop: Header=BB204_40 Depth=1
	s_or_b32 exec_lo, exec_lo, s11
	s_and_saveexec_b32 s11, s7
	s_cbranch_execnz .LBB204_56
.LBB204_48:                             ;   in Loop: Header=BB204_40 Depth=1
	s_or_b32 exec_lo, exec_lo, s11
	s_and_saveexec_b32 s7, vcc_lo
	s_cbranch_execz .LBB204_39
	s_branch .LBB204_57
.LBB204_49:                             ;   in Loop: Header=BB204_40 Depth=1
	ds_load_b32 v12, v6 offset:6144
	s_waitcnt lgkmcnt(0)
	v_add_nc_u32_e32 v11, v12, v11
	s_or_b32 exec_lo, exec_lo, s11
	s_and_saveexec_b32 s11, s1
	s_cbranch_execz .LBB204_42
.LBB204_50:                             ;   in Loop: Header=BB204_40 Depth=1
	ds_load_b32 v12, v6 offset:6148
	s_waitcnt lgkmcnt(0)
	v_add_nc_u32_e32 v11, v12, v11
	s_or_b32 exec_lo, exec_lo, s11
	s_and_saveexec_b32 s11, s2
	s_cbranch_execz .LBB204_43
.LBB204_51:                             ;   in Loop: Header=BB204_40 Depth=1
	ds_load_b32 v12, v6 offset:6152
	s_waitcnt lgkmcnt(0)
	v_add_nc_u32_e32 v11, v12, v11
	s_or_b32 exec_lo, exec_lo, s11
	s_and_saveexec_b32 s11, s3
	s_cbranch_execz .LBB204_44
.LBB204_52:                             ;   in Loop: Header=BB204_40 Depth=1
	ds_load_b32 v12, v6 offset:6156
	s_waitcnt lgkmcnt(0)
	v_add_nc_u32_e32 v11, v12, v11
	s_or_b32 exec_lo, exec_lo, s11
	s_and_saveexec_b32 s11, s4
	s_cbranch_execz .LBB204_45
.LBB204_53:                             ;   in Loop: Header=BB204_40 Depth=1
	ds_load_b32 v12, v6 offset:6160
	s_waitcnt lgkmcnt(0)
	v_add_nc_u32_e32 v11, v12, v11
	s_or_b32 exec_lo, exec_lo, s11
	s_and_saveexec_b32 s11, s5
	s_cbranch_execz .LBB204_46
.LBB204_54:                             ;   in Loop: Header=BB204_40 Depth=1
	ds_load_b32 v12, v6 offset:6164
	s_waitcnt lgkmcnt(0)
	v_add_nc_u32_e32 v11, v12, v11
	s_or_b32 exec_lo, exec_lo, s11
	s_and_saveexec_b32 s11, s6
	s_cbranch_execz .LBB204_47
.LBB204_55:                             ;   in Loop: Header=BB204_40 Depth=1
	ds_load_b32 v12, v6 offset:6168
	s_waitcnt lgkmcnt(0)
	v_add_nc_u32_e32 v11, v12, v11
	s_or_b32 exec_lo, exec_lo, s11
	s_and_saveexec_b32 s11, s7
	s_cbranch_execz .LBB204_48
.LBB204_56:                             ;   in Loop: Header=BB204_40 Depth=1
	s_delay_alu instid0(VALU_DEP_1) | instskip(NEXT) | instid1(VALU_DEP_1)
	v_add3_u32 v12, v9, -1, v11
	v_lshlrev_b32_e32 v13, 3, v12
	v_lshl_add_u32 v12, v12, 2, 0
	s_delay_alu instid0(VALU_DEP_2)
	v_add3_u32 v13, 0, v13, 0x800
	ds_store_b32 v12, v10
	ds_store_2addr_b32 v13, v2, v3 offset1:1
	s_or_b32 exec_lo, exec_lo, s11
	s_and_saveexec_b32 s7, vcc_lo
	s_cbranch_execz .LBB204_39
.LBB204_57:                             ;   in Loop: Header=BB204_40 Depth=1
	ds_store_b32 v6, v11 offset:6172
	s_branch .LBB204_39
.LBB204_58:                             ;   in Loop: Header=BB204_59 Depth=1
	s_or_b32 exec_lo, exec_lo, s5
	v_add_co_u32 v1, vcc_lo, 0x100, v1
	v_add_co_ci_u32_e32 v2, vcc_lo, 0, v2, vcc_lo
	s_delay_alu instid0(VALU_DEP_1) | instskip(SKIP_1) | instid1(SALU_CYCLE_1)
	v_cmp_le_i64_e32 vcc_lo, s[2:3], v[1:2]
	s_or_b32 s4, vcc_lo, s4
	s_and_not1_b32 exec_lo, exec_lo, s4
	s_cbranch_execz .LBB204_36
.LBB204_59:                             ; =>This Loop Header: Depth=1
                                        ;     Child Loop BB204_61 Depth 2
	v_lshlrev_b64 v[3:4], 2, v[1:2]
	v_lshlrev_b64 v[5:6], 3, v[1:2]
	s_mov_b32 s5, 0
	s_delay_alu instid0(VALU_DEP_2) | instskip(NEXT) | instid1(VALU_DEP_3)
	v_add_co_u32 v3, vcc_lo, s28, v3
	v_add_co_ci_u32_e32 v4, vcc_lo, s29, v4, vcc_lo
	global_load_b32 v13, v[3:4], off
	v_add_co_u32 v3, vcc_lo, s30, v5
	v_add_co_ci_u32_e32 v4, vcc_lo, s31, v6, vcc_lo
	global_load_b64 v[11:12], v[3:4], off
	s_waitcnt vmcnt(1)
	v_subrev_nc_u32_e32 v3, s27, v13
	s_delay_alu instid0(VALU_DEP_1) | instskip(SKIP_2) | instid1(VALU_DEP_1)
	v_mul_lo_u32 v6, 0x89, v3
	s_waitcnt vmcnt(0)
	v_mul_f32_e64 v4, v12, -s41
	v_dual_mul_f32 v5, s40, v12 :: v_dual_fmac_f32 v4, s40, v11
	s_delay_alu instid0(VALU_DEP_1)
	v_dual_fmac_f32 v5, s41, v11 :: v_dual_and_b32 v6, 0x1ff, v6
	s_branch .LBB204_61
.LBB204_60:                             ;   in Loop: Header=BB204_61 Depth=2
	s_or_b32 exec_lo, exec_lo, s6
	s_xor_b32 s6, s7, -1
	s_delay_alu instid0(SALU_CYCLE_1) | instskip(NEXT) | instid1(SALU_CYCLE_1)
	s_and_b32 s6, exec_lo, s6
	s_or_b32 s5, s6, s5
	s_delay_alu instid0(SALU_CYCLE_1)
	s_and_not1_b32 exec_lo, exec_lo, s5
	s_cbranch_execz .LBB204_58
.LBB204_61:                             ;   Parent Loop BB204_59 Depth=1
                                        ; =>  This Inner Loop Header: Depth=2
	s_delay_alu instid0(VALU_DEP_1)
	v_lshl_add_u32 v11, v6, 2, 0
	s_mov_b32 s6, exec_lo
                                        ; implicit-def: $sgpr7
	ds_load_b32 v12, v11
	s_waitcnt lgkmcnt(0)
	v_cmpx_ne_u32_e64 v12, v3
	s_xor_b32 s6, exec_lo, s6
	s_cbranch_execz .LBB204_69
; %bb.62:                               ;   in Loop: Header=BB204_61 Depth=2
	s_mov_b32 s9, exec_lo
                                        ; implicit-def: $sgpr7
	v_cmpx_ne_u32_e64 s33, v12
	s_xor_b32 s9, exec_lo, s9
; %bb.63:                               ;   in Loop: Header=BB204_61 Depth=2
	v_add_nc_u32_e32 v6, 1, v6
	s_mov_b32 s7, -1
                                        ; implicit-def: $vgpr11
	s_delay_alu instid0(VALU_DEP_1)
	v_and_b32_e32 v6, 0x1ff, v6
; %bb.64:                               ;   in Loop: Header=BB204_61 Depth=2
	s_and_not1_saveexec_b32 s9, s9
	s_cbranch_execz .LBB204_68
; %bb.65:                               ;   in Loop: Header=BB204_61 Depth=2
	v_mov_b32_e32 v12, s33
	s_mov_b32 s10, -1
	s_mov_b32 s11, exec_lo
	ds_cmpstore_rtn_b32 v12, v11, v3, v12
	s_waitcnt lgkmcnt(0)
	v_cmpx_eq_u32_e64 s33, v12
	s_cbranch_execz .LBB204_67
; %bb.66:                               ;   in Loop: Header=BB204_61 Depth=2
	v_lshl_add_u32 v11, v6, 2, v11
	s_xor_b32 s10, exec_lo, -1
	ds_add_f32 v11, v4 offset:2048
	ds_add_f32 v11, v5 offset:2052
.LBB204_67:                             ;   in Loop: Header=BB204_61 Depth=2
	s_or_b32 exec_lo, exec_lo, s11
	s_delay_alu instid0(SALU_CYCLE_1) | instskip(SKIP_1) | instid1(SALU_CYCLE_1)
	s_and_not1_b32 s7, s7, exec_lo
	s_and_b32 s10, s10, exec_lo
	s_or_b32 s7, s7, s10
.LBB204_68:                             ;   in Loop: Header=BB204_61 Depth=2
	s_or_b32 exec_lo, exec_lo, s9
	s_delay_alu instid0(SALU_CYCLE_1)
	s_and_b32 s7, s7, exec_lo
                                        ; implicit-def: $vgpr11
.LBB204_69:                             ;   in Loop: Header=BB204_61 Depth=2
	s_and_not1_saveexec_b32 s6, s6
	s_cbranch_execz .LBB204_60
; %bb.70:                               ;   in Loop: Header=BB204_61 Depth=2
	v_lshl_add_u32 v11, v6, 2, v11
	s_and_not1_b32 s7, s7, exec_lo
	ds_add_f32 v11, v4 offset:2048
	ds_add_f32 v11, v5 offset:2052
	s_branch .LBB204_60
.LBB204_71:
	s_or_b32 exec_lo, exec_lo, s9
	s_ashr_i32 s9, s8, 31
	s_mov_b32 s4, exec_lo
	s_lshl_b64 s[0:1], s[8:9], 3
	s_delay_alu instid0(SALU_CYCLE_1) | instskip(SKIP_4) | instid1(SALU_CYCLE_1)
	s_add_u32 s0, s34, s0
	s_addc_u32 s1, s35, s1
	s_load_b128 s[0:3], s[0:1], 0x0
	s_waitcnt lgkmcnt(0)
	s_sub_i32 s3, s2, s0
	v_cmpx_gt_i32_e64 s3, v0
	s_cbranch_execz .LBB204_81
; %bb.72:
	s_sub_u32 s4, s0, s26
	s_subb_u32 s5, s1, 0
	s_sub_i32 s0, s0, s2
	s_and_b32 s1, s3, 7
	s_cmp_lt_u32 s0, -7
	s_mov_b32 s8, 0
	s_cselect_b32 s2, -1, 0
	s_and_b32 s6, s3, -8
	s_cmp_lg_u32 s1, 0
	s_cselect_b32 s7, -1, 0
	s_branch .LBB204_74
.LBB204_73:                             ;   in Loop: Header=BB204_74 Depth=1
	s_delay_alu instid0(VALU_DEP_1) | instskip(SKIP_1) | instid1(VALU_DEP_1)
	v_lshlrev_b64 v[3:4], 3, v[3:4]
	v_add_nc_u32_e32 v0, 0x100, v0
	v_cmp_le_i32_e32 vcc_lo, s3, v0
	s_delay_alu instid0(VALU_DEP_3) | instskip(NEXT) | instid1(VALU_DEP_1)
	v_add_co_u32 v3, s0, s12, v3
	v_add_co_ci_u32_e64 v4, s0, s13, v4, s0
	s_or_b32 s8, vcc_lo, s8
	s_waitcnt lgkmcnt(0)
	global_store_b64 v[3:4], v[1:2], off
	s_and_not1_b32 exec_lo, exec_lo, s8
	s_cbranch_execz .LBB204_81
.LBB204_74:                             ; =>This Loop Header: Depth=1
                                        ;     Child Loop BB204_76 Depth 2
                                        ;     Child Loop BB204_80 Depth 2
	v_lshlrev_b32_e32 v1, 2, v0
	v_dual_mov_b32 v3, s4 :: v_dual_mov_b32 v4, s5
	s_and_not1_b32 vcc_lo, exec_lo, s2
	s_mov_b32 s0, 0
	s_delay_alu instid0(VALU_DEP_2) | instskip(NEXT) | instid1(VALU_DEP_1)
	v_add_nc_u32_e32 v2, 0, v1
	v_add3_u32 v1, v2, v1, 0x800
	ds_load_b32 v5, v2
	ds_load_2addr_b32 v[1:2], v1 offset1:1
	s_cbranch_vccnz .LBB204_78
; %bb.75:                               ;   in Loop: Header=BB204_74 Depth=1
	v_dual_mov_b32 v3, s4 :: v_dual_mov_b32 v4, s5
	s_mov_b32 s9, 0
	s_mov_b32 s10, 0
.LBB204_76:                             ;   Parent Loop BB204_74 Depth=1
                                        ; =>  This Inner Loop Header: Depth=2
	s_delay_alu instid0(SALU_CYCLE_1)
	v_mov_b32_e32 v12, s10
	s_add_i32 s9, s9, 8
	s_add_i32 s10, s10, 32
	s_cmp_eq_u32 s6, s9
	ds_load_2addr_b32 v[6:7], v12 offset1:1
	ds_load_2addr_b32 v[8:9], v12 offset0:2 offset1:3
	ds_load_2addr_b32 v[10:11], v12 offset0:4 offset1:5
	;; [unrolled: 1-line block ×3, first 2 shown]
	s_waitcnt lgkmcnt(3)
	v_cmp_gt_i32_e32 vcc_lo, v5, v6
	v_cndmask_b32_e64 v6, 0, 1, vcc_lo
	v_cmp_gt_i32_e32 vcc_lo, v5, v7
	v_cndmask_b32_e64 v7, 0, 1, vcc_lo
	s_waitcnt lgkmcnt(2)
	v_cmp_gt_i32_e32 vcc_lo, v5, v8
	v_cndmask_b32_e64 v8, 0, 1, vcc_lo
	v_cmp_gt_i32_e32 vcc_lo, v5, v9
	v_cndmask_b32_e64 v9, 0, 1, vcc_lo
	s_waitcnt lgkmcnt(1)
	v_cmp_gt_i32_e32 vcc_lo, v5, v10
	v_cndmask_b32_e64 v10, 0, 1, vcc_lo
	v_add_co_u32 v3, vcc_lo, v3, v6
	v_add_co_ci_u32_e32 v4, vcc_lo, 0, v4, vcc_lo
	v_cmp_gt_i32_e32 vcc_lo, v5, v11
	s_delay_alu instid0(VALU_DEP_3) | instskip(NEXT) | instid1(VALU_DEP_1)
	v_add_co_u32 v3, s0, v3, v7
	v_add_co_ci_u32_e64 v4, s0, 0, v4, s0
	v_cndmask_b32_e64 v6, 0, 1, vcc_lo
	s_delay_alu instid0(VALU_DEP_3) | instskip(NEXT) | instid1(VALU_DEP_3)
	v_add_co_u32 v3, vcc_lo, v3, v8
	v_add_co_ci_u32_e32 v4, vcc_lo, 0, v4, vcc_lo
	s_waitcnt lgkmcnt(0)
	v_cmp_gt_i32_e32 vcc_lo, v5, v12
	s_delay_alu instid0(VALU_DEP_3) | instskip(NEXT) | instid1(VALU_DEP_1)
	v_add_co_u32 v3, s0, v3, v9
	v_add_co_ci_u32_e64 v4, s0, 0, v4, s0
	v_cndmask_b32_e64 v7, 0, 1, vcc_lo
	s_delay_alu instid0(VALU_DEP_3) | instskip(NEXT) | instid1(VALU_DEP_3)
	v_add_co_u32 v3, vcc_lo, v3, v10
	v_add_co_ci_u32_e32 v4, vcc_lo, 0, v4, vcc_lo
	v_cmp_gt_i32_e32 vcc_lo, v5, v13
	s_delay_alu instid0(VALU_DEP_3) | instskip(NEXT) | instid1(VALU_DEP_1)
	v_add_co_u32 v3, s0, v3, v6
	v_add_co_ci_u32_e64 v4, s0, 0, v4, s0
	v_cndmask_b32_e64 v6, 0, 1, vcc_lo
	s_delay_alu instid0(VALU_DEP_3) | instskip(NEXT) | instid1(VALU_DEP_3)
	v_add_co_u32 v3, vcc_lo, v3, v7
	v_add_co_ci_u32_e32 v4, vcc_lo, 0, v4, vcc_lo
	s_delay_alu instid0(VALU_DEP_2) | instskip(NEXT) | instid1(VALU_DEP_2)
	v_add_co_u32 v3, vcc_lo, v3, v6
	v_add_co_ci_u32_e32 v4, vcc_lo, 0, v4, vcc_lo
	s_cbranch_scc0 .LBB204_76
; %bb.77:                               ;   in Loop: Header=BB204_74 Depth=1
	s_mov_b32 s0, s6
.LBB204_78:                             ;   in Loop: Header=BB204_74 Depth=1
	s_and_not1_b32 vcc_lo, exec_lo, s7
	s_cbranch_vccnz .LBB204_73
; %bb.79:                               ;   in Loop: Header=BB204_74 Depth=1
	s_lshl_b32 s0, s0, 2
	s_mov_b32 s9, s1
	s_add_i32 s0, s0, 0
.LBB204_80:                             ;   Parent Loop BB204_74 Depth=1
                                        ; =>  This Inner Loop Header: Depth=2
	s_delay_alu instid0(SALU_CYCLE_1)
	v_mov_b32_e32 v6, s0
	s_add_i32 s9, s9, -1
	s_add_i32 s0, s0, 4
	s_cmp_lg_u32 s9, 0
	ds_load_b32 v6, v6
	s_waitcnt lgkmcnt(0)
	v_cmp_gt_i32_e32 vcc_lo, v5, v6
	v_cndmask_b32_e64 v6, 0, 1, vcc_lo
	s_delay_alu instid0(VALU_DEP_1)
	v_add_co_u32 v3, vcc_lo, v3, v6
	v_add_co_ci_u32_e32 v4, vcc_lo, 0, v4, vcc_lo
	s_cbranch_scc1 .LBB204_80
	s_branch .LBB204_73
.LBB204_81:
	s_nop 0
	s_sendmsg sendmsg(MSG_DEALLOC_VGPRS)
	s_endpgm
	.section	.rodata,"a",@progbits
	.p2align	6, 0x0
	.amdhsa_kernel _ZN9rocsparseL41csrgemm_numeric_fill_block_per_row_kernelILj256ELj32ELj512ELj137ELj32Eli21rocsparse_complex_numIfEEEvT5_PKS3_S5_NS_24const_host_device_scalarIT6_EEPKT4_S5_PKS7_SB_S5_SD_S8_SB_S5_SD_SB_S5_PS7_21rocsparse_index_base_SF_SF_SF_bbb
		.amdhsa_group_segment_fixed_size 0
		.amdhsa_private_segment_fixed_size 0
		.amdhsa_kernarg_size 156
		.amdhsa_user_sgpr_count 15
		.amdhsa_user_sgpr_dispatch_ptr 0
		.amdhsa_user_sgpr_queue_ptr 0
		.amdhsa_user_sgpr_kernarg_segment_ptr 1
		.amdhsa_user_sgpr_dispatch_id 0
		.amdhsa_user_sgpr_private_segment_size 0
		.amdhsa_wavefront_size32 1
		.amdhsa_uses_dynamic_stack 0
		.amdhsa_enable_private_segment 0
		.amdhsa_system_sgpr_workgroup_id_x 1
		.amdhsa_system_sgpr_workgroup_id_y 0
		.amdhsa_system_sgpr_workgroup_id_z 0
		.amdhsa_system_sgpr_workgroup_info 0
		.amdhsa_system_vgpr_workitem_id 0
		.amdhsa_next_free_vgpr 21
		.amdhsa_next_free_sgpr 46
		.amdhsa_reserve_vcc 1
		.amdhsa_float_round_mode_32 0
		.amdhsa_float_round_mode_16_64 0
		.amdhsa_float_denorm_mode_32 3
		.amdhsa_float_denorm_mode_16_64 3
		.amdhsa_dx10_clamp 1
		.amdhsa_ieee_mode 1
		.amdhsa_fp16_overflow 0
		.amdhsa_workgroup_processor_mode 1
		.amdhsa_memory_ordered 1
		.amdhsa_forward_progress 0
		.amdhsa_shared_vgpr_count 0
		.amdhsa_exception_fp_ieee_invalid_op 0
		.amdhsa_exception_fp_denorm_src 0
		.amdhsa_exception_fp_ieee_div_zero 0
		.amdhsa_exception_fp_ieee_overflow 0
		.amdhsa_exception_fp_ieee_underflow 0
		.amdhsa_exception_fp_ieee_inexact 0
		.amdhsa_exception_int_div_zero 0
	.end_amdhsa_kernel
	.section	.text._ZN9rocsparseL41csrgemm_numeric_fill_block_per_row_kernelILj256ELj32ELj512ELj137ELj32Eli21rocsparse_complex_numIfEEEvT5_PKS3_S5_NS_24const_host_device_scalarIT6_EEPKT4_S5_PKS7_SB_S5_SD_S8_SB_S5_SD_SB_S5_PS7_21rocsparse_index_base_SF_SF_SF_bbb,"axG",@progbits,_ZN9rocsparseL41csrgemm_numeric_fill_block_per_row_kernelILj256ELj32ELj512ELj137ELj32Eli21rocsparse_complex_numIfEEEvT5_PKS3_S5_NS_24const_host_device_scalarIT6_EEPKT4_S5_PKS7_SB_S5_SD_S8_SB_S5_SD_SB_S5_PS7_21rocsparse_index_base_SF_SF_SF_bbb,comdat
.Lfunc_end204:
	.size	_ZN9rocsparseL41csrgemm_numeric_fill_block_per_row_kernelILj256ELj32ELj512ELj137ELj32Eli21rocsparse_complex_numIfEEEvT5_PKS3_S5_NS_24const_host_device_scalarIT6_EEPKT4_S5_PKS7_SB_S5_SD_S8_SB_S5_SD_SB_S5_PS7_21rocsparse_index_base_SF_SF_SF_bbb, .Lfunc_end204-_ZN9rocsparseL41csrgemm_numeric_fill_block_per_row_kernelILj256ELj32ELj512ELj137ELj32Eli21rocsparse_complex_numIfEEEvT5_PKS3_S5_NS_24const_host_device_scalarIT6_EEPKT4_S5_PKS7_SB_S5_SD_S8_SB_S5_SD_SB_S5_PS7_21rocsparse_index_base_SF_SF_SF_bbb
                                        ; -- End function
	.section	.AMDGPU.csdata,"",@progbits
; Kernel info:
; codeLenInByte = 3184
; NumSgprs: 48
; NumVgprs: 21
; ScratchSize: 0
; MemoryBound: 0
; FloatMode: 240
; IeeeMode: 1
; LDSByteSize: 0 bytes/workgroup (compile time only)
; SGPRBlocks: 5
; VGPRBlocks: 2
; NumSGPRsForWavesPerEU: 48
; NumVGPRsForWavesPerEU: 21
; Occupancy: 16
; WaveLimiterHint : 1
; COMPUTE_PGM_RSRC2:SCRATCH_EN: 0
; COMPUTE_PGM_RSRC2:USER_SGPR: 15
; COMPUTE_PGM_RSRC2:TRAP_HANDLER: 0
; COMPUTE_PGM_RSRC2:TGID_X_EN: 1
; COMPUTE_PGM_RSRC2:TGID_Y_EN: 0
; COMPUTE_PGM_RSRC2:TGID_Z_EN: 0
; COMPUTE_PGM_RSRC2:TIDIG_COMP_CNT: 0
	.section	.text._ZN9rocsparseL41csrgemm_numeric_fill_block_per_row_kernelILj256ELj32ELj512ELj137ELj64Eli21rocsparse_complex_numIfEEEvT5_PKS3_S5_NS_24const_host_device_scalarIT6_EEPKT4_S5_PKS7_SB_S5_SD_S8_SB_S5_SD_SB_S5_PS7_21rocsparse_index_base_SF_SF_SF_bbb,"axG",@progbits,_ZN9rocsparseL41csrgemm_numeric_fill_block_per_row_kernelILj256ELj32ELj512ELj137ELj64Eli21rocsparse_complex_numIfEEEvT5_PKS3_S5_NS_24const_host_device_scalarIT6_EEPKT4_S5_PKS7_SB_S5_SD_S8_SB_S5_SD_SB_S5_PS7_21rocsparse_index_base_SF_SF_SF_bbb,comdat
	.globl	_ZN9rocsparseL41csrgemm_numeric_fill_block_per_row_kernelILj256ELj32ELj512ELj137ELj64Eli21rocsparse_complex_numIfEEEvT5_PKS3_S5_NS_24const_host_device_scalarIT6_EEPKT4_S5_PKS7_SB_S5_SD_S8_SB_S5_SD_SB_S5_PS7_21rocsparse_index_base_SF_SF_SF_bbb ; -- Begin function _ZN9rocsparseL41csrgemm_numeric_fill_block_per_row_kernelILj256ELj32ELj512ELj137ELj64Eli21rocsparse_complex_numIfEEEvT5_PKS3_S5_NS_24const_host_device_scalarIT6_EEPKT4_S5_PKS7_SB_S5_SD_S8_SB_S5_SD_SB_S5_PS7_21rocsparse_index_base_SF_SF_SF_bbb
	.p2align	8
	.type	_ZN9rocsparseL41csrgemm_numeric_fill_block_per_row_kernelILj256ELj32ELj512ELj137ELj64Eli21rocsparse_complex_numIfEEEvT5_PKS3_S5_NS_24const_host_device_scalarIT6_EEPKT4_S5_PKS7_SB_S5_SD_S8_SB_S5_SD_SB_S5_PS7_21rocsparse_index_base_SF_SF_SF_bbb,@function
_ZN9rocsparseL41csrgemm_numeric_fill_block_per_row_kernelILj256ELj32ELj512ELj137ELj64Eli21rocsparse_complex_numIfEEEvT5_PKS3_S5_NS_24const_host_device_scalarIT6_EEPKT4_S5_PKS7_SB_S5_SD_S8_SB_S5_SD_SB_S5_PS7_21rocsparse_index_base_SF_SF_SF_bbb: ; @_ZN9rocsparseL41csrgemm_numeric_fill_block_per_row_kernelILj256ELj32ELj512ELj137ELj64Eli21rocsparse_complex_numIfEEEvT5_PKS3_S5_NS_24const_host_device_scalarIT6_EEPKT4_S5_PKS7_SB_S5_SD_S8_SB_S5_SD_SB_S5_PS7_21rocsparse_index_base_SF_SF_SF_bbb
; %bb.0:
	s_clause 0x7
	s_load_b32 s33, s[0:1], 0x98
	s_load_b64 s[34:35], s[0:1], 0x70
	s_load_b128 s[28:31], s[0:1], 0x60
	s_load_b256 s[4:11], s[0:1], 0x40
	s_load_b128 s[36:39], s[0:1], 0x8
	s_load_b256 s[16:23], s[0:1], 0x20
	s_load_b64 s[12:13], s[0:1], 0x80
	s_load_b128 s[24:27], s[0:1], 0x88
	s_mov_b32 s3, 0
	s_mov_b32 s42, 0
	s_waitcnt lgkmcnt(0)
	s_bitcmp1_b32 s33, 0
	s_cselect_b32 s14, -1, 0
	s_bitcmp1_b32 s33, 16
	s_cselect_b32 s2, -1, 0
	s_delay_alu instid0(SALU_CYCLE_1) | instskip(SKIP_2) | instid1(VALU_DEP_1)
	s_xor_b32 s40, s2, -1
	s_bitcmp0_b32 s33, 0
	v_cndmask_b32_e64 v1, 0, 1, s40
	v_cmp_ne_u32_e32 vcc_lo, 1, v1
	s_cbranch_scc1 .LBB205_5
; %bb.1:
	s_load_b64 s[2:3], s[0:1], 0x18
	s_and_b32 vcc_lo, exec_lo, vcc_lo
	s_waitcnt lgkmcnt(0)
	s_mov_b32 s42, s2
	s_cbranch_vccnz .LBB205_3
; %bb.2:
	s_load_b32 s42, s[2:3], 0x0
.LBB205_3:
	s_and_not1_b32 vcc_lo, exec_lo, s40
	s_cbranch_vccnz .LBB205_5
; %bb.4:
	s_load_b32 s3, s[2:3], 0x4
.LBB205_5:
	s_bitcmp1_b32 s33, 8
	s_mov_b32 s41, 0
	s_cselect_b32 s2, -1, 0
	s_bfe_u32 s33, s33, 0x10008
	s_mov_b32 s40, 0
	s_cmp_eq_u32 s33, 0
	s_cbranch_scc1 .LBB205_11
; %bb.6:
	v_cmp_ne_u32_e32 vcc_lo, 1, v1
	s_mov_b32 s40, s8
	s_cbranch_vccnz .LBB205_8
; %bb.7:
	s_load_b32 s40, s[8:9], 0x0
.LBB205_8:
	v_cmp_ne_u32_e32 vcc_lo, 1, v1
	s_cbranch_vccnz .LBB205_10
; %bb.9:
	s_load_b32 s9, s[8:9], 0x4
.LBB205_10:
	s_waitcnt lgkmcnt(0)
	s_mov_b32 s41, s9
.LBB205_11:
	s_load_b32 s33, s[0:1], 0x0
	v_cmp_gt_u32_e64 s0, 0x200, v0
	v_lshlrev_b32_e32 v9, 3, v0
	v_or_b32_e32 v7, 0xffffff00, v0
	v_lshl_add_u32 v8, v0, 2, 0
	s_delay_alu instid0(VALU_DEP_4)
	s_and_saveexec_b32 s1, s0
	s_cbranch_execz .LBB205_14
; %bb.12:
	v_add3_u32 v1, v9, 0, 0x800
	v_or_b32_e32 v2, 0xffffff00, v0
	v_lshl_add_u32 v3, v0, 2, 0
	s_waitcnt lgkmcnt(0)
	v_dual_mov_b32 v4, s33 :: v_dual_mov_b32 v5, 0
	s_mov_b32 s8, 0
.LBB205_13:                             ; =>This Inner Loop Header: Depth=1
	v_add_co_u32 v2, s9, 0x100, v2
	s_delay_alu instid0(VALU_DEP_1)
	s_xor_b32 s9, s9, -1
	ds_store_b32 v3, v4
	ds_store_2addr_b32 v1, v5, v5 offset1:1
	v_add_nc_u32_e32 v1, 0x800, v1
	v_add_nc_u32_e32 v3, 0x400, v3
	s_and_b32 s9, exec_lo, s9
	s_delay_alu instid0(SALU_CYCLE_1) | instskip(NEXT) | instid1(SALU_CYCLE_1)
	s_or_b32 s8, s9, s8
	s_and_not1_b32 exec_lo, exec_lo, s8
	s_cbranch_execnz .LBB205_13
.LBB205_14:
	s_or_b32 exec_lo, exec_lo, s1
	s_waitcnt lgkmcnt(0)
	s_barrier
	buffer_gl0_inv
	s_load_b32 s1, s[36:37], 0x0
	s_mov_b32 s9, 0
	s_waitcnt lgkmcnt(0)
	s_add_i32 s8, s1, s15
	s_delay_alu instid0(SALU_CYCLE_1) | instskip(NEXT) | instid1(SALU_CYCLE_1)
	s_lshl_b64 s[8:9], s[8:9], 2
	s_add_u32 s8, s38, s8
	s_addc_u32 s9, s39, s9
	s_and_b32 vcc_lo, exec_lo, s14
	s_load_b32 s8, s[8:9], 0x0
	s_cbranch_vccz .LBB205_34
; %bb.15:
	s_waitcnt lgkmcnt(0)
	s_ashr_i32 s9, s8, 31
	v_lshrrev_b32_e32 v1, 5, v0
	s_lshl_b64 s[14:15], s[8:9], 3
	s_delay_alu instid0(SALU_CYCLE_1) | instskip(SKIP_1) | instid1(VALU_DEP_1)
	s_add_u32 s14, s16, s14
	s_addc_u32 s15, s17, s15
	v_sub_co_u32 v1, s1, v1, s24
	s_load_b128 s[36:39], s[14:15], 0x0
	v_sub_co_ci_u32_e64 v2, null, 0, 0, s1
	s_mov_b32 s1, exec_lo
	s_waitcnt lgkmcnt(0)
	v_add_co_u32 v1, vcc_lo, s36, v1
	s_delay_alu instid0(VALU_DEP_2)
	v_add_co_ci_u32_e32 v2, vcc_lo, s37, v2, vcc_lo
	s_sub_u32 s14, s38, s24
	s_subb_u32 s15, s39, 0
	s_delay_alu instid0(VALU_DEP_1) | instid1(SALU_CYCLE_1)
	v_cmpx_gt_i64_e64 s[14:15], v[1:2]
	s_cbranch_execz .LBB205_33
; %bb.16:
	v_and_b32_e32 v3, 31, v0
	s_mov_b32 s16, s25
	s_delay_alu instid0(VALU_DEP_1) | instskip(NEXT) | instid1(VALU_DEP_1)
	v_sub_co_u32 v10, s9, v3, s25
	v_sub_co_ci_u32_e64 v11, null, 0, 0, s9
	s_mov_b32 s9, 0
	s_branch .LBB205_18
.LBB205_17:                             ;   in Loop: Header=BB205_18 Depth=1
	s_or_b32 exec_lo, exec_lo, s17
	v_add_co_u32 v1, vcc_lo, v1, 8
	v_add_co_ci_u32_e32 v2, vcc_lo, 0, v2, vcc_lo
	s_delay_alu instid0(VALU_DEP_1) | instskip(SKIP_1) | instid1(SALU_CYCLE_1)
	v_cmp_le_i64_e32 vcc_lo, s[14:15], v[1:2]
	s_or_b32 s9, vcc_lo, s9
	s_and_not1_b32 exec_lo, exec_lo, s9
	s_cbranch_execz .LBB205_33
.LBB205_18:                             ; =>This Loop Header: Depth=1
                                        ;     Child Loop BB205_21 Depth 2
                                        ;       Child Loop BB205_23 Depth 3
	v_lshlrev_b64 v[3:4], 2, v[1:2]
	s_mov_b32 s17, exec_lo
	s_delay_alu instid0(VALU_DEP_1) | instskip(NEXT) | instid1(VALU_DEP_2)
	v_add_co_u32 v3, vcc_lo, s18, v3
	v_add_co_ci_u32_e32 v4, vcc_lo, s19, v4, vcc_lo
	global_load_b32 v3, v[3:4], off
	s_waitcnt vmcnt(0)
	v_subrev_nc_u32_e32 v3, s24, v3
	s_delay_alu instid0(VALU_DEP_1) | instskip(NEXT) | instid1(VALU_DEP_1)
	v_ashrrev_i32_e32 v4, 31, v3
	v_lshlrev_b64 v[3:4], 3, v[3:4]
	s_delay_alu instid0(VALU_DEP_1) | instskip(NEXT) | instid1(VALU_DEP_2)
	v_add_co_u32 v3, vcc_lo, s22, v3
	v_add_co_ci_u32_e32 v4, vcc_lo, s23, v4, vcc_lo
	global_load_b128 v[12:15], v[3:4], off
	s_waitcnt vmcnt(0)
	v_sub_co_u32 v3, vcc_lo, v14, s16
	v_subrev_co_ci_u32_e32 v4, vcc_lo, 0, v15, vcc_lo
	v_add_co_u32 v5, vcc_lo, v12, v10
	v_add_co_ci_u32_e32 v6, vcc_lo, v13, v11, vcc_lo
	s_delay_alu instid0(VALU_DEP_1)
	v_cmpx_lt_i64_e64 v[5:6], v[3:4]
	s_cbranch_execz .LBB205_17
; %bb.19:                               ;   in Loop: Header=BB205_18 Depth=1
	v_lshlrev_b64 v[12:13], 3, v[1:2]
	s_mov_b32 s36, 0
	s_delay_alu instid0(VALU_DEP_1) | instskip(NEXT) | instid1(VALU_DEP_2)
	v_add_co_u32 v12, vcc_lo, s20, v12
	v_add_co_ci_u32_e32 v13, vcc_lo, s21, v13, vcc_lo
	global_load_b64 v[14:15], v[12:13], off
	s_waitcnt vmcnt(0)
	v_mul_f32_e64 v12, v15, -s3
	s_delay_alu instid0(VALU_DEP_1) | instskip(NEXT) | instid1(VALU_DEP_1)
	v_dual_mul_f32 v13, s42, v15 :: v_dual_fmac_f32 v12, s42, v14
	v_fmac_f32_e32 v13, s3, v14
	s_branch .LBB205_21
.LBB205_20:                             ;   in Loop: Header=BB205_21 Depth=2
	s_or_b32 exec_lo, exec_lo, s37
	v_add_co_u32 v5, vcc_lo, v5, 32
	v_add_co_ci_u32_e32 v6, vcc_lo, 0, v6, vcc_lo
	s_delay_alu instid0(VALU_DEP_1) | instskip(SKIP_1) | instid1(SALU_CYCLE_1)
	v_cmp_ge_i64_e32 vcc_lo, v[5:6], v[3:4]
	s_or_b32 s36, vcc_lo, s36
	s_and_not1_b32 exec_lo, exec_lo, s36
	s_cbranch_execz .LBB205_17
.LBB205_21:                             ;   Parent Loop BB205_18 Depth=1
                                        ; =>  This Loop Header: Depth=2
                                        ;       Child Loop BB205_23 Depth 3
	v_lshlrev_b64 v[14:15], 2, v[5:6]
	v_lshlrev_b64 v[16:17], 3, v[5:6]
	s_mov_b32 s37, 0
	s_delay_alu instid0(VALU_DEP_2) | instskip(NEXT) | instid1(VALU_DEP_3)
	v_add_co_u32 v14, vcc_lo, s4, v14
	v_add_co_ci_u32_e32 v15, vcc_lo, s5, v15, vcc_lo
	global_load_b32 v19, v[14:15], off
	v_add_co_u32 v14, vcc_lo, s6, v16
	v_add_co_ci_u32_e32 v15, vcc_lo, s7, v17, vcc_lo
	global_load_b64 v[17:18], v[14:15], off
	s_waitcnt vmcnt(1)
	v_subrev_nc_u32_e32 v14, s25, v19
	s_delay_alu instid0(VALU_DEP_1) | instskip(SKIP_3) | instid1(VALU_DEP_2)
	v_mul_lo_u32 v19, 0x89, v14
	s_waitcnt vmcnt(0)
	v_mul_f32_e64 v15, v18, -v13
	v_mul_f32_e32 v16, v12, v18
	v_fmac_f32_e32 v15, v12, v17
	s_delay_alu instid0(VALU_DEP_2)
	v_dual_fmac_f32 v16, v13, v17 :: v_dual_and_b32 v17, 0x1ff, v19
	s_branch .LBB205_23
.LBB205_22:                             ;   in Loop: Header=BB205_23 Depth=3
	s_or_b32 exec_lo, exec_lo, s38
	s_xor_b32 s38, s39, -1
	s_delay_alu instid0(SALU_CYCLE_1) | instskip(NEXT) | instid1(SALU_CYCLE_1)
	s_and_b32 s38, exec_lo, s38
	s_or_b32 s37, s38, s37
	s_delay_alu instid0(SALU_CYCLE_1)
	s_and_not1_b32 exec_lo, exec_lo, s37
	s_cbranch_execz .LBB205_20
.LBB205_23:                             ;   Parent Loop BB205_18 Depth=1
                                        ;     Parent Loop BB205_21 Depth=2
                                        ; =>    This Inner Loop Header: Depth=3
	s_delay_alu instid0(VALU_DEP_1)
	v_lshl_add_u32 v18, v17, 2, 0
	s_mov_b32 s38, exec_lo
                                        ; implicit-def: $sgpr39
	ds_load_b32 v19, v18
	s_waitcnt lgkmcnt(0)
	v_cmpx_ne_u32_e64 v19, v14
	s_xor_b32 s38, exec_lo, s38
	s_cbranch_execz .LBB205_31
; %bb.24:                               ;   in Loop: Header=BB205_23 Depth=3
	s_mov_b32 s43, exec_lo
                                        ; implicit-def: $sgpr39
	v_cmpx_ne_u32_e64 s33, v19
	s_xor_b32 s43, exec_lo, s43
; %bb.25:                               ;   in Loop: Header=BB205_23 Depth=3
	v_add_nc_u32_e32 v17, 1, v17
	s_mov_b32 s39, -1
                                        ; implicit-def: $vgpr18
	s_delay_alu instid0(VALU_DEP_1)
	v_and_b32_e32 v17, 0x1ff, v17
; %bb.26:                               ;   in Loop: Header=BB205_23 Depth=3
	s_and_not1_saveexec_b32 s43, s43
	s_cbranch_execz .LBB205_30
; %bb.27:                               ;   in Loop: Header=BB205_23 Depth=3
	v_mov_b32_e32 v19, s33
	s_mov_b32 s44, -1
	s_mov_b32 s45, exec_lo
	ds_cmpstore_rtn_b32 v19, v18, v14, v19
	s_waitcnt lgkmcnt(0)
	v_cmpx_eq_u32_e64 s33, v19
	s_cbranch_execz .LBB205_29
; %bb.28:                               ;   in Loop: Header=BB205_23 Depth=3
	v_lshl_add_u32 v18, v17, 2, v18
	s_xor_b32 s44, exec_lo, -1
	ds_add_f32 v18, v15 offset:2048
	ds_add_f32 v18, v16 offset:2052
.LBB205_29:                             ;   in Loop: Header=BB205_23 Depth=3
	s_or_b32 exec_lo, exec_lo, s45
	s_delay_alu instid0(SALU_CYCLE_1) | instskip(SKIP_1) | instid1(SALU_CYCLE_1)
	s_and_not1_b32 s39, s39, exec_lo
	s_and_b32 s44, s44, exec_lo
	s_or_b32 s39, s39, s44
.LBB205_30:                             ;   in Loop: Header=BB205_23 Depth=3
	s_or_b32 exec_lo, exec_lo, s43
	s_delay_alu instid0(SALU_CYCLE_1)
	s_and_b32 s39, s39, exec_lo
                                        ; implicit-def: $vgpr18
.LBB205_31:                             ;   in Loop: Header=BB205_23 Depth=3
	s_and_not1_saveexec_b32 s38, s38
	s_cbranch_execz .LBB205_22
; %bb.32:                               ;   in Loop: Header=BB205_23 Depth=3
	v_lshl_add_u32 v18, v17, 2, v18
	s_and_not1_b32 s39, s39, exec_lo
	ds_add_f32 v18, v15 offset:2048
	ds_add_f32 v18, v16 offset:2052
	s_branch .LBB205_22
.LBB205_33:
	s_or_b32 exec_lo, exec_lo, s1
.LBB205_34:
	s_delay_alu instid0(SALU_CYCLE_1)
	s_and_not1_b32 vcc_lo, exec_lo, s2
	s_cbranch_vccnz .LBB205_37
; %bb.35:
	s_waitcnt lgkmcnt(0)
	s_ashr_i32 s9, s8, 31
	v_sub_co_u32 v1, s1, v0, s27
	s_lshl_b64 s[2:3], s[8:9], 3
	v_sub_co_ci_u32_e64 v2, null, 0, 0, s1
	s_add_u32 s2, s10, s2
	s_addc_u32 s3, s11, s3
	s_mov_b32 s1, exec_lo
	s_load_b128 s[4:7], s[2:3], 0x0
	s_waitcnt lgkmcnt(0)
	v_add_co_u32 v1, vcc_lo, s4, v1
	v_add_co_ci_u32_e32 v2, vcc_lo, s5, v2, vcc_lo
	s_sub_u32 s2, s6, s27
	s_subb_u32 s3, s7, 0
	s_mov_b32 s4, 0
	s_delay_alu instid0(VALU_DEP_1)
	v_cmpx_gt_i64_e64 s[2:3], v[1:2]
	s_cbranch_execnz .LBB205_51
.LBB205_36:
	s_or_b32 exec_lo, exec_lo, s1
.LBB205_37:
	s_waitcnt lgkmcnt(0)
	s_barrier
	buffer_gl0_inv
	s_and_saveexec_b32 s4, s0
	s_cbranch_execz .LBB205_63
; %bb.38:
	v_mbcnt_lo_u32_b32 v1, -1, 0
	v_lshrrev_b32_e32 v2, 4, v0
	v_cmp_eq_u32_e32 vcc_lo, 0xff, v0
	v_cmp_lt_u32_e64 s0, 63, v0
	v_cmp_lt_u32_e64 s1, 0x7f, v0
	v_xor_b32_e32 v1, 63, v1
	v_dual_mov_b32 v6, 0 :: v_dual_and_b32 v3, 12, v2
	v_cmp_lt_u32_e64 s2, 0xbf, v0
	v_add3_u32 v4, v9, 0, 0x800
	s_delay_alu instid0(VALU_DEP_4) | instskip(NEXT) | instid1(VALU_DEP_4)
	v_lshrrev_b64 v[1:2], v1, -1
	v_add_nc_u32_e32 v5, 0, v3
	v_mov_b32_e32 v9, 0
	s_mov_b32 s5, 0
	s_branch .LBB205_40
.LBB205_39:                             ;   in Loop: Header=BB205_40 Depth=1
	s_or_b32 exec_lo, exec_lo, s3
	s_waitcnt lgkmcnt(0)
	s_barrier
	buffer_gl0_inv
	ds_load_b32 v2, v6 offset:6156
	v_add_co_u32 v7, s3, 0x100, v7
	s_delay_alu instid0(VALU_DEP_1) | instskip(SKIP_3) | instid1(SALU_CYCLE_1)
	s_xor_b32 s3, s3, -1
	v_add_nc_u32_e32 v4, 0x800, v4
	v_add_nc_u32_e32 v8, 0x400, v8
	s_and_b32 s3, exec_lo, s3
	s_or_b32 s5, s3, s5
	s_waitcnt lgkmcnt(0)
	v_add_nc_u32_e32 v9, v2, v9
	s_and_not1_b32 exec_lo, exec_lo, s5
	s_cbranch_execz .LBB205_63
.LBB205_40:                             ; =>This Inner Loop Header: Depth=1
	ds_load_b32 v10, v8
	ds_load_2addr_b32 v[2:3], v4 offset1:1
	s_waitcnt lgkmcnt(0)
	s_barrier
	buffer_gl0_inv
	v_cmp_gt_i32_e64 s3, s33, v10
	s_delay_alu instid0(VALU_DEP_1) | instskip(NEXT) | instid1(SALU_CYCLE_1)
	s_bcnt1_i32_b32 s6, s3
	v_dual_mov_b32 v12, s6 :: v_dual_and_b32 v11, s3, v1
	s_delay_alu instid0(VALU_DEP_1)
	v_bcnt_u32_b32 v11, v11, 0
	ds_store_b32 v5, v12 offset:6144
	s_waitcnt lgkmcnt(0)
	s_barrier
	buffer_gl0_inv
	s_and_saveexec_b32 s6, s0
	s_cbranch_execnz .LBB205_45
; %bb.41:                               ;   in Loop: Header=BB205_40 Depth=1
	s_or_b32 exec_lo, exec_lo, s6
	s_and_saveexec_b32 s6, s1
	s_cbranch_execnz .LBB205_46
.LBB205_42:                             ;   in Loop: Header=BB205_40 Depth=1
	s_or_b32 exec_lo, exec_lo, s6
	s_and_saveexec_b32 s6, s2
	s_cbranch_execnz .LBB205_47
.LBB205_43:                             ;   in Loop: Header=BB205_40 Depth=1
	s_or_b32 exec_lo, exec_lo, s6
	s_and_saveexec_b32 s6, s3
	s_cbranch_execnz .LBB205_48
.LBB205_44:                             ;   in Loop: Header=BB205_40 Depth=1
	s_or_b32 exec_lo, exec_lo, s6
	s_and_saveexec_b32 s3, vcc_lo
	s_cbranch_execz .LBB205_39
	s_branch .LBB205_49
.LBB205_45:                             ;   in Loop: Header=BB205_40 Depth=1
	ds_load_b32 v12, v6 offset:6144
	s_waitcnt lgkmcnt(0)
	v_add_nc_u32_e32 v11, v12, v11
	s_or_b32 exec_lo, exec_lo, s6
	s_and_saveexec_b32 s6, s1
	s_cbranch_execz .LBB205_42
.LBB205_46:                             ;   in Loop: Header=BB205_40 Depth=1
	ds_load_b32 v12, v6 offset:6148
	s_waitcnt lgkmcnt(0)
	v_add_nc_u32_e32 v11, v12, v11
	s_or_b32 exec_lo, exec_lo, s6
	s_and_saveexec_b32 s6, s2
	s_cbranch_execz .LBB205_43
.LBB205_47:                             ;   in Loop: Header=BB205_40 Depth=1
	ds_load_b32 v12, v6 offset:6152
	s_waitcnt lgkmcnt(0)
	v_add_nc_u32_e32 v11, v12, v11
	s_or_b32 exec_lo, exec_lo, s6
	s_and_saveexec_b32 s6, s3
	s_cbranch_execz .LBB205_44
.LBB205_48:                             ;   in Loop: Header=BB205_40 Depth=1
	s_delay_alu instid0(VALU_DEP_1) | instskip(NEXT) | instid1(VALU_DEP_1)
	v_add3_u32 v12, v9, -1, v11
	v_lshlrev_b32_e32 v13, 3, v12
	v_lshl_add_u32 v12, v12, 2, 0
	s_delay_alu instid0(VALU_DEP_2)
	v_add3_u32 v13, 0, v13, 0x800
	ds_store_b32 v12, v10
	ds_store_2addr_b32 v13, v2, v3 offset1:1
	s_or_b32 exec_lo, exec_lo, s6
	s_and_saveexec_b32 s3, vcc_lo
	s_cbranch_execz .LBB205_39
.LBB205_49:                             ;   in Loop: Header=BB205_40 Depth=1
	ds_store_b32 v6, v11 offset:6156
	s_branch .LBB205_39
.LBB205_50:                             ;   in Loop: Header=BB205_51 Depth=1
	s_or_b32 exec_lo, exec_lo, s5
	v_add_co_u32 v1, vcc_lo, 0x100, v1
	v_add_co_ci_u32_e32 v2, vcc_lo, 0, v2, vcc_lo
	s_delay_alu instid0(VALU_DEP_1) | instskip(SKIP_1) | instid1(SALU_CYCLE_1)
	v_cmp_le_i64_e32 vcc_lo, s[2:3], v[1:2]
	s_or_b32 s4, vcc_lo, s4
	s_and_not1_b32 exec_lo, exec_lo, s4
	s_cbranch_execz .LBB205_36
.LBB205_51:                             ; =>This Loop Header: Depth=1
                                        ;     Child Loop BB205_53 Depth 2
	v_lshlrev_b64 v[3:4], 2, v[1:2]
	v_lshlrev_b64 v[5:6], 3, v[1:2]
	s_mov_b32 s5, 0
	s_delay_alu instid0(VALU_DEP_2) | instskip(NEXT) | instid1(VALU_DEP_3)
	v_add_co_u32 v3, vcc_lo, s28, v3
	v_add_co_ci_u32_e32 v4, vcc_lo, s29, v4, vcc_lo
	global_load_b32 v12, v[3:4], off
	v_add_co_u32 v3, vcc_lo, s30, v5
	v_add_co_ci_u32_e32 v4, vcc_lo, s31, v6, vcc_lo
	global_load_b64 v[10:11], v[3:4], off
	s_waitcnt vmcnt(1)
	v_subrev_nc_u32_e32 v3, s27, v12
	s_delay_alu instid0(VALU_DEP_1) | instskip(SKIP_2) | instid1(VALU_DEP_1)
	v_mul_lo_u32 v6, 0x89, v3
	s_waitcnt vmcnt(0)
	v_mul_f32_e64 v4, v11, -s41
	v_dual_mul_f32 v5, s40, v11 :: v_dual_fmac_f32 v4, s40, v10
	s_delay_alu instid0(VALU_DEP_1) | instskip(NEXT) | instid1(VALU_DEP_4)
	v_fmac_f32_e32 v5, s41, v10
	v_and_b32_e32 v6, 0x1ff, v6
	s_branch .LBB205_53
.LBB205_52:                             ;   in Loop: Header=BB205_53 Depth=2
	s_or_b32 exec_lo, exec_lo, s6
	s_xor_b32 s6, s7, -1
	s_delay_alu instid0(SALU_CYCLE_1) | instskip(NEXT) | instid1(SALU_CYCLE_1)
	s_and_b32 s6, exec_lo, s6
	s_or_b32 s5, s6, s5
	s_delay_alu instid0(SALU_CYCLE_1)
	s_and_not1_b32 exec_lo, exec_lo, s5
	s_cbranch_execz .LBB205_50
.LBB205_53:                             ;   Parent Loop BB205_51 Depth=1
                                        ; =>  This Inner Loop Header: Depth=2
	s_delay_alu instid0(VALU_DEP_1)
	v_lshl_add_u32 v10, v6, 2, 0
	s_mov_b32 s6, exec_lo
                                        ; implicit-def: $sgpr7
	ds_load_b32 v11, v10
	s_waitcnt lgkmcnt(0)
	v_cmpx_ne_u32_e64 v11, v3
	s_xor_b32 s6, exec_lo, s6
	s_cbranch_execz .LBB205_61
; %bb.54:                               ;   in Loop: Header=BB205_53 Depth=2
	s_mov_b32 s9, exec_lo
                                        ; implicit-def: $sgpr7
	v_cmpx_ne_u32_e64 s33, v11
	s_xor_b32 s9, exec_lo, s9
; %bb.55:                               ;   in Loop: Header=BB205_53 Depth=2
	v_add_nc_u32_e32 v6, 1, v6
	s_mov_b32 s7, -1
                                        ; implicit-def: $vgpr10
	s_delay_alu instid0(VALU_DEP_1)
	v_and_b32_e32 v6, 0x1ff, v6
; %bb.56:                               ;   in Loop: Header=BB205_53 Depth=2
	s_and_not1_saveexec_b32 s9, s9
	s_cbranch_execz .LBB205_60
; %bb.57:                               ;   in Loop: Header=BB205_53 Depth=2
	v_mov_b32_e32 v11, s33
	s_mov_b32 s10, -1
	s_mov_b32 s11, exec_lo
	ds_cmpstore_rtn_b32 v11, v10, v3, v11
	s_waitcnt lgkmcnt(0)
	v_cmpx_eq_u32_e64 s33, v11
	s_cbranch_execz .LBB205_59
; %bb.58:                               ;   in Loop: Header=BB205_53 Depth=2
	v_lshl_add_u32 v10, v6, 2, v10
	s_xor_b32 s10, exec_lo, -1
	ds_add_f32 v10, v4 offset:2048
	ds_add_f32 v10, v5 offset:2052
.LBB205_59:                             ;   in Loop: Header=BB205_53 Depth=2
	s_or_b32 exec_lo, exec_lo, s11
	s_delay_alu instid0(SALU_CYCLE_1) | instskip(SKIP_1) | instid1(SALU_CYCLE_1)
	s_and_not1_b32 s7, s7, exec_lo
	s_and_b32 s10, s10, exec_lo
	s_or_b32 s7, s7, s10
.LBB205_60:                             ;   in Loop: Header=BB205_53 Depth=2
	s_or_b32 exec_lo, exec_lo, s9
	s_delay_alu instid0(SALU_CYCLE_1)
	s_and_b32 s7, s7, exec_lo
                                        ; implicit-def: $vgpr10
.LBB205_61:                             ;   in Loop: Header=BB205_53 Depth=2
	s_and_not1_saveexec_b32 s6, s6
	s_cbranch_execz .LBB205_52
; %bb.62:                               ;   in Loop: Header=BB205_53 Depth=2
	v_lshl_add_u32 v10, v6, 2, v10
	s_and_not1_b32 s7, s7, exec_lo
	ds_add_f32 v10, v4 offset:2048
	ds_add_f32 v10, v5 offset:2052
	s_branch .LBB205_52
.LBB205_63:
	s_or_b32 exec_lo, exec_lo, s4
	s_ashr_i32 s9, s8, 31
	s_mov_b32 s4, exec_lo
	s_lshl_b64 s[0:1], s[8:9], 3
	s_delay_alu instid0(SALU_CYCLE_1) | instskip(SKIP_4) | instid1(SALU_CYCLE_1)
	s_add_u32 s0, s34, s0
	s_addc_u32 s1, s35, s1
	s_load_b128 s[0:3], s[0:1], 0x0
	s_waitcnt lgkmcnt(0)
	s_sub_i32 s3, s2, s0
	v_cmpx_gt_i32_e64 s3, v0
	s_cbranch_execz .LBB205_73
; %bb.64:
	s_sub_u32 s4, s0, s26
	s_subb_u32 s5, s1, 0
	s_sub_i32 s0, s0, s2
	s_and_b32 s1, s3, 7
	s_cmp_lt_u32 s0, -7
	s_mov_b32 s8, 0
	s_cselect_b32 s2, -1, 0
	s_and_b32 s6, s3, -8
	s_cmp_lg_u32 s1, 0
	s_cselect_b32 s7, -1, 0
	s_branch .LBB205_66
.LBB205_65:                             ;   in Loop: Header=BB205_66 Depth=1
	s_delay_alu instid0(VALU_DEP_1) | instskip(SKIP_1) | instid1(VALU_DEP_1)
	v_lshlrev_b64 v[3:4], 3, v[3:4]
	v_add_nc_u32_e32 v0, 0x100, v0
	v_cmp_le_i32_e32 vcc_lo, s3, v0
	s_delay_alu instid0(VALU_DEP_3) | instskip(NEXT) | instid1(VALU_DEP_1)
	v_add_co_u32 v3, s0, s12, v3
	v_add_co_ci_u32_e64 v4, s0, s13, v4, s0
	s_or_b32 s8, vcc_lo, s8
	s_waitcnt lgkmcnt(0)
	global_store_b64 v[3:4], v[1:2], off
	s_and_not1_b32 exec_lo, exec_lo, s8
	s_cbranch_execz .LBB205_73
.LBB205_66:                             ; =>This Loop Header: Depth=1
                                        ;     Child Loop BB205_68 Depth 2
                                        ;     Child Loop BB205_72 Depth 2
	v_lshlrev_b32_e32 v1, 2, v0
	v_dual_mov_b32 v3, s4 :: v_dual_mov_b32 v4, s5
	s_and_not1_b32 vcc_lo, exec_lo, s2
	s_mov_b32 s0, 0
	s_delay_alu instid0(VALU_DEP_2) | instskip(NEXT) | instid1(VALU_DEP_1)
	v_add_nc_u32_e32 v2, 0, v1
	v_add3_u32 v1, v2, v1, 0x800
	ds_load_b32 v5, v2
	ds_load_2addr_b32 v[1:2], v1 offset1:1
	s_cbranch_vccnz .LBB205_70
; %bb.67:                               ;   in Loop: Header=BB205_66 Depth=1
	v_dual_mov_b32 v3, s4 :: v_dual_mov_b32 v4, s5
	s_mov_b32 s9, 0
	s_mov_b32 s10, 0
.LBB205_68:                             ;   Parent Loop BB205_66 Depth=1
                                        ; =>  This Inner Loop Header: Depth=2
	s_delay_alu instid0(SALU_CYCLE_1)
	v_mov_b32_e32 v12, s10
	s_add_i32 s9, s9, 8
	s_add_i32 s10, s10, 32
	s_cmp_eq_u32 s6, s9
	ds_load_2addr_b32 v[6:7], v12 offset1:1
	ds_load_2addr_b32 v[8:9], v12 offset0:2 offset1:3
	ds_load_2addr_b32 v[10:11], v12 offset0:4 offset1:5
	;; [unrolled: 1-line block ×3, first 2 shown]
	s_waitcnt lgkmcnt(3)
	v_cmp_gt_i32_e32 vcc_lo, v5, v6
	v_cndmask_b32_e64 v6, 0, 1, vcc_lo
	v_cmp_gt_i32_e32 vcc_lo, v5, v7
	v_cndmask_b32_e64 v7, 0, 1, vcc_lo
	s_waitcnt lgkmcnt(2)
	v_cmp_gt_i32_e32 vcc_lo, v5, v8
	v_cndmask_b32_e64 v8, 0, 1, vcc_lo
	v_cmp_gt_i32_e32 vcc_lo, v5, v9
	v_cndmask_b32_e64 v9, 0, 1, vcc_lo
	s_waitcnt lgkmcnt(1)
	v_cmp_gt_i32_e32 vcc_lo, v5, v10
	v_cndmask_b32_e64 v10, 0, 1, vcc_lo
	v_add_co_u32 v3, vcc_lo, v3, v6
	v_add_co_ci_u32_e32 v4, vcc_lo, 0, v4, vcc_lo
	v_cmp_gt_i32_e32 vcc_lo, v5, v11
	s_delay_alu instid0(VALU_DEP_3) | instskip(NEXT) | instid1(VALU_DEP_1)
	v_add_co_u32 v3, s0, v3, v7
	v_add_co_ci_u32_e64 v4, s0, 0, v4, s0
	v_cndmask_b32_e64 v6, 0, 1, vcc_lo
	s_delay_alu instid0(VALU_DEP_3) | instskip(NEXT) | instid1(VALU_DEP_3)
	v_add_co_u32 v3, vcc_lo, v3, v8
	v_add_co_ci_u32_e32 v4, vcc_lo, 0, v4, vcc_lo
	s_waitcnt lgkmcnt(0)
	v_cmp_gt_i32_e32 vcc_lo, v5, v12
	s_delay_alu instid0(VALU_DEP_3) | instskip(NEXT) | instid1(VALU_DEP_1)
	v_add_co_u32 v3, s0, v3, v9
	v_add_co_ci_u32_e64 v4, s0, 0, v4, s0
	v_cndmask_b32_e64 v7, 0, 1, vcc_lo
	s_delay_alu instid0(VALU_DEP_3) | instskip(NEXT) | instid1(VALU_DEP_3)
	v_add_co_u32 v3, vcc_lo, v3, v10
	v_add_co_ci_u32_e32 v4, vcc_lo, 0, v4, vcc_lo
	v_cmp_gt_i32_e32 vcc_lo, v5, v13
	s_delay_alu instid0(VALU_DEP_3) | instskip(NEXT) | instid1(VALU_DEP_1)
	v_add_co_u32 v3, s0, v3, v6
	v_add_co_ci_u32_e64 v4, s0, 0, v4, s0
	v_cndmask_b32_e64 v6, 0, 1, vcc_lo
	s_delay_alu instid0(VALU_DEP_3) | instskip(NEXT) | instid1(VALU_DEP_3)
	v_add_co_u32 v3, vcc_lo, v3, v7
	v_add_co_ci_u32_e32 v4, vcc_lo, 0, v4, vcc_lo
	s_delay_alu instid0(VALU_DEP_2) | instskip(NEXT) | instid1(VALU_DEP_2)
	v_add_co_u32 v3, vcc_lo, v3, v6
	v_add_co_ci_u32_e32 v4, vcc_lo, 0, v4, vcc_lo
	s_cbranch_scc0 .LBB205_68
; %bb.69:                               ;   in Loop: Header=BB205_66 Depth=1
	s_mov_b32 s0, s6
.LBB205_70:                             ;   in Loop: Header=BB205_66 Depth=1
	s_and_not1_b32 vcc_lo, exec_lo, s7
	s_cbranch_vccnz .LBB205_65
; %bb.71:                               ;   in Loop: Header=BB205_66 Depth=1
	s_lshl_b32 s0, s0, 2
	s_mov_b32 s9, s1
	s_add_i32 s0, s0, 0
.LBB205_72:                             ;   Parent Loop BB205_66 Depth=1
                                        ; =>  This Inner Loop Header: Depth=2
	s_delay_alu instid0(SALU_CYCLE_1)
	v_mov_b32_e32 v6, s0
	s_add_i32 s9, s9, -1
	s_add_i32 s0, s0, 4
	s_cmp_lg_u32 s9, 0
	ds_load_b32 v6, v6
	s_waitcnt lgkmcnt(0)
	v_cmp_gt_i32_e32 vcc_lo, v5, v6
	v_cndmask_b32_e64 v6, 0, 1, vcc_lo
	s_delay_alu instid0(VALU_DEP_1)
	v_add_co_u32 v3, vcc_lo, v3, v6
	v_add_co_ci_u32_e32 v4, vcc_lo, 0, v4, vcc_lo
	s_cbranch_scc1 .LBB205_72
	s_branch .LBB205_65
.LBB205_73:
	s_nop 0
	s_sendmsg sendmsg(MSG_DEALLOC_VGPRS)
	s_endpgm
	.section	.rodata,"a",@progbits
	.p2align	6, 0x0
	.amdhsa_kernel _ZN9rocsparseL41csrgemm_numeric_fill_block_per_row_kernelILj256ELj32ELj512ELj137ELj64Eli21rocsparse_complex_numIfEEEvT5_PKS3_S5_NS_24const_host_device_scalarIT6_EEPKT4_S5_PKS7_SB_S5_SD_S8_SB_S5_SD_SB_S5_PS7_21rocsparse_index_base_SF_SF_SF_bbb
		.amdhsa_group_segment_fixed_size 0
		.amdhsa_private_segment_fixed_size 0
		.amdhsa_kernarg_size 156
		.amdhsa_user_sgpr_count 15
		.amdhsa_user_sgpr_dispatch_ptr 0
		.amdhsa_user_sgpr_queue_ptr 0
		.amdhsa_user_sgpr_kernarg_segment_ptr 1
		.amdhsa_user_sgpr_dispatch_id 0
		.amdhsa_user_sgpr_private_segment_size 0
		.amdhsa_wavefront_size32 1
		.amdhsa_uses_dynamic_stack 0
		.amdhsa_enable_private_segment 0
		.amdhsa_system_sgpr_workgroup_id_x 1
		.amdhsa_system_sgpr_workgroup_id_y 0
		.amdhsa_system_sgpr_workgroup_id_z 0
		.amdhsa_system_sgpr_workgroup_info 0
		.amdhsa_system_vgpr_workitem_id 0
		.amdhsa_next_free_vgpr 20
		.amdhsa_next_free_sgpr 46
		.amdhsa_reserve_vcc 1
		.amdhsa_float_round_mode_32 0
		.amdhsa_float_round_mode_16_64 0
		.amdhsa_float_denorm_mode_32 3
		.amdhsa_float_denorm_mode_16_64 3
		.amdhsa_dx10_clamp 1
		.amdhsa_ieee_mode 1
		.amdhsa_fp16_overflow 0
		.amdhsa_workgroup_processor_mode 1
		.amdhsa_memory_ordered 1
		.amdhsa_forward_progress 0
		.amdhsa_shared_vgpr_count 0
		.amdhsa_exception_fp_ieee_invalid_op 0
		.amdhsa_exception_fp_denorm_src 0
		.amdhsa_exception_fp_ieee_div_zero 0
		.amdhsa_exception_fp_ieee_overflow 0
		.amdhsa_exception_fp_ieee_underflow 0
		.amdhsa_exception_fp_ieee_inexact 0
		.amdhsa_exception_int_div_zero 0
	.end_amdhsa_kernel
	.section	.text._ZN9rocsparseL41csrgemm_numeric_fill_block_per_row_kernelILj256ELj32ELj512ELj137ELj64Eli21rocsparse_complex_numIfEEEvT5_PKS3_S5_NS_24const_host_device_scalarIT6_EEPKT4_S5_PKS7_SB_S5_SD_S8_SB_S5_SD_SB_S5_PS7_21rocsparse_index_base_SF_SF_SF_bbb,"axG",@progbits,_ZN9rocsparseL41csrgemm_numeric_fill_block_per_row_kernelILj256ELj32ELj512ELj137ELj64Eli21rocsparse_complex_numIfEEEvT5_PKS3_S5_NS_24const_host_device_scalarIT6_EEPKT4_S5_PKS7_SB_S5_SD_S8_SB_S5_SD_SB_S5_PS7_21rocsparse_index_base_SF_SF_SF_bbb,comdat
.Lfunc_end205:
	.size	_ZN9rocsparseL41csrgemm_numeric_fill_block_per_row_kernelILj256ELj32ELj512ELj137ELj64Eli21rocsparse_complex_numIfEEEvT5_PKS3_S5_NS_24const_host_device_scalarIT6_EEPKT4_S5_PKS7_SB_S5_SD_S8_SB_S5_SD_SB_S5_PS7_21rocsparse_index_base_SF_SF_SF_bbb, .Lfunc_end205-_ZN9rocsparseL41csrgemm_numeric_fill_block_per_row_kernelILj256ELj32ELj512ELj137ELj64Eli21rocsparse_complex_numIfEEEvT5_PKS3_S5_NS_24const_host_device_scalarIT6_EEPKT4_S5_PKS7_SB_S5_SD_S8_SB_S5_SD_SB_S5_PS7_21rocsparse_index_base_SF_SF_SF_bbb
                                        ; -- End function
	.section	.AMDGPU.csdata,"",@progbits
; Kernel info:
; codeLenInByte = 2996
; NumSgprs: 48
; NumVgprs: 20
; ScratchSize: 0
; MemoryBound: 0
; FloatMode: 240
; IeeeMode: 1
; LDSByteSize: 0 bytes/workgroup (compile time only)
; SGPRBlocks: 5
; VGPRBlocks: 2
; NumSGPRsForWavesPerEU: 48
; NumVGPRsForWavesPerEU: 20
; Occupancy: 16
; WaveLimiterHint : 1
; COMPUTE_PGM_RSRC2:SCRATCH_EN: 0
; COMPUTE_PGM_RSRC2:USER_SGPR: 15
; COMPUTE_PGM_RSRC2:TRAP_HANDLER: 0
; COMPUTE_PGM_RSRC2:TGID_X_EN: 1
; COMPUTE_PGM_RSRC2:TGID_Y_EN: 0
; COMPUTE_PGM_RSRC2:TGID_Z_EN: 0
; COMPUTE_PGM_RSRC2:TIDIG_COMP_CNT: 0
	.section	.text._ZN9rocsparseL41csrgemm_numeric_fill_block_per_row_kernelILj512ELj32ELj1024ELj137ELj32Eli21rocsparse_complex_numIfEEEvT5_PKS3_S5_NS_24const_host_device_scalarIT6_EEPKT4_S5_PKS7_SB_S5_SD_S8_SB_S5_SD_SB_S5_PS7_21rocsparse_index_base_SF_SF_SF_bbb,"axG",@progbits,_ZN9rocsparseL41csrgemm_numeric_fill_block_per_row_kernelILj512ELj32ELj1024ELj137ELj32Eli21rocsparse_complex_numIfEEEvT5_PKS3_S5_NS_24const_host_device_scalarIT6_EEPKT4_S5_PKS7_SB_S5_SD_S8_SB_S5_SD_SB_S5_PS7_21rocsparse_index_base_SF_SF_SF_bbb,comdat
	.globl	_ZN9rocsparseL41csrgemm_numeric_fill_block_per_row_kernelILj512ELj32ELj1024ELj137ELj32Eli21rocsparse_complex_numIfEEEvT5_PKS3_S5_NS_24const_host_device_scalarIT6_EEPKT4_S5_PKS7_SB_S5_SD_S8_SB_S5_SD_SB_S5_PS7_21rocsparse_index_base_SF_SF_SF_bbb ; -- Begin function _ZN9rocsparseL41csrgemm_numeric_fill_block_per_row_kernelILj512ELj32ELj1024ELj137ELj32Eli21rocsparse_complex_numIfEEEvT5_PKS3_S5_NS_24const_host_device_scalarIT6_EEPKT4_S5_PKS7_SB_S5_SD_S8_SB_S5_SD_SB_S5_PS7_21rocsparse_index_base_SF_SF_SF_bbb
	.p2align	8
	.type	_ZN9rocsparseL41csrgemm_numeric_fill_block_per_row_kernelILj512ELj32ELj1024ELj137ELj32Eli21rocsparse_complex_numIfEEEvT5_PKS3_S5_NS_24const_host_device_scalarIT6_EEPKT4_S5_PKS7_SB_S5_SD_S8_SB_S5_SD_SB_S5_PS7_21rocsparse_index_base_SF_SF_SF_bbb,@function
_ZN9rocsparseL41csrgemm_numeric_fill_block_per_row_kernelILj512ELj32ELj1024ELj137ELj32Eli21rocsparse_complex_numIfEEEvT5_PKS3_S5_NS_24const_host_device_scalarIT6_EEPKT4_S5_PKS7_SB_S5_SD_S8_SB_S5_SD_SB_S5_PS7_21rocsparse_index_base_SF_SF_SF_bbb: ; @_ZN9rocsparseL41csrgemm_numeric_fill_block_per_row_kernelILj512ELj32ELj1024ELj137ELj32Eli21rocsparse_complex_numIfEEEvT5_PKS3_S5_NS_24const_host_device_scalarIT6_EEPKT4_S5_PKS7_SB_S5_SD_S8_SB_S5_SD_SB_S5_PS7_21rocsparse_index_base_SF_SF_SF_bbb
; %bb.0:
	s_clause 0x7
	s_load_b32 s12, s[0:1], 0x98
	s_load_b64 s[40:41], s[0:1], 0x70
	s_load_b128 s[28:31], s[0:1], 0x60
	s_load_b256 s[4:11], s[0:1], 0x40
	s_load_b128 s[36:39], s[0:1], 0x8
	s_load_b256 s[16:23], s[0:1], 0x20
	s_load_b64 s[34:35], s[0:1], 0x80
	s_load_b128 s[24:27], s[0:1], 0x88
	s_mov_b32 s3, 0
	s_mov_b32 s13, 0
	s_waitcnt lgkmcnt(0)
	s_bitcmp1_b32 s12, 0
	s_cselect_b32 s42, -1, 0
	s_bitcmp1_b32 s12, 16
	s_cselect_b32 s2, -1, 0
	s_delay_alu instid0(SALU_CYCLE_1) | instskip(SKIP_2) | instid1(VALU_DEP_1)
	s_xor_b32 s14, s2, -1
	s_bitcmp0_b32 s12, 0
	v_cndmask_b32_e64 v1, 0, 1, s14
	v_cmp_ne_u32_e32 vcc_lo, 1, v1
	s_cbranch_scc1 .LBB206_5
; %bb.1:
	s_load_b64 s[2:3], s[0:1], 0x18
	s_and_b32 vcc_lo, exec_lo, vcc_lo
	s_waitcnt lgkmcnt(0)
	s_mov_b32 s13, s2
	s_cbranch_vccnz .LBB206_3
; %bb.2:
	s_load_b32 s13, s[2:3], 0x0
.LBB206_3:
	s_and_not1_b32 vcc_lo, exec_lo, s14
	s_cbranch_vccnz .LBB206_5
; %bb.4:
	s_load_b32 s3, s[2:3], 0x4
.LBB206_5:
	s_bitcmp1_b32 s12, 8
	s_cselect_b32 s14, -1, 0
	s_bfe_u32 s2, s12, 0x10008
	s_mov_b32 s12, 0
	s_cmp_eq_u32 s2, 0
	s_mov_b32 s2, 0
	s_cbranch_scc1 .LBB206_11
; %bb.6:
	v_cmp_ne_u32_e32 vcc_lo, 1, v1
	s_mov_b32 s2, s8
	s_cbranch_vccnz .LBB206_8
; %bb.7:
	s_load_b32 s2, s[8:9], 0x0
.LBB206_8:
	v_cmp_ne_u32_e32 vcc_lo, 1, v1
	s_cbranch_vccnz .LBB206_10
; %bb.9:
	s_load_b32 s9, s[8:9], 0x4
.LBB206_10:
	s_waitcnt lgkmcnt(0)
	s_mov_b32 s12, s9
.LBB206_11:
	s_load_b32 s33, s[0:1], 0x0
	v_lshl_add_u32 v7, v0, 2, 0
	v_lshlrev_b32_e32 v1, 3, v0
	v_or_b32_e32 v8, 0xfffffe00, v0
	s_mov_b32 s0, 0
	s_delay_alu instid0(VALU_DEP_3) | instskip(NEXT) | instid1(VALU_DEP_3)
	v_mov_b32_e32 v2, v7
	v_add3_u32 v9, v1, 0, 0x1000
	v_mov_b32_e32 v1, 0
	v_mov_b32_e32 v3, v8
	s_waitcnt lgkmcnt(0)
	s_delay_alu instid0(VALU_DEP_3)
	v_dual_mov_b32 v5, v9 :: v_dual_mov_b32 v4, s33
.LBB206_12:                             ; =>This Inner Loop Header: Depth=1
	s_delay_alu instid0(VALU_DEP_2) | instskip(NEXT) | instid1(VALU_DEP_1)
	v_add_co_u32 v3, s1, 0x200, v3
	s_xor_b32 s1, s1, -1
	ds_store_b32 v2, v4
	ds_store_2addr_b32 v5, v1, v1 offset1:1
	v_add_nc_u32_e32 v5, 0x1000, v5
	v_add_nc_u32_e32 v2, 0x800, v2
	s_and_b32 s1, exec_lo, s1
	s_delay_alu instid0(SALU_CYCLE_1) | instskip(NEXT) | instid1(SALU_CYCLE_1)
	s_or_b32 s0, s1, s0
	s_and_not1_b32 exec_lo, exec_lo, s0
	s_cbranch_execnz .LBB206_12
; %bb.13:
	s_or_b32 exec_lo, exec_lo, s0
	s_waitcnt lgkmcnt(0)
	s_barrier
	buffer_gl0_inv
	s_load_b32 s0, s[36:37], 0x0
	s_mov_b32 s1, 0
	v_lshrrev_b32_e32 v10, 5, v0
	s_waitcnt lgkmcnt(0)
	s_add_i32 s0, s0, s15
	s_delay_alu instid0(SALU_CYCLE_1) | instskip(NEXT) | instid1(SALU_CYCLE_1)
	s_lshl_b64 s[0:1], s[0:1], 2
	s_add_u32 s0, s38, s0
	s_addc_u32 s1, s39, s1
	s_and_b32 vcc_lo, exec_lo, s42
	s_load_b32 s36, s[0:1], 0x0
	s_cbranch_vccz .LBB206_33
; %bb.14:
	s_waitcnt lgkmcnt(0)
	s_ashr_i32 s37, s36, 31
	s_mov_b32 s8, exec_lo
	s_lshl_b64 s[0:1], s[36:37], 3
	s_delay_alu instid0(SALU_CYCLE_1) | instskip(SKIP_3) | instid1(VALU_DEP_1)
	s_add_u32 s0, s16, s0
	s_addc_u32 s1, s17, s1
	s_load_b128 s[44:47], s[0:1], 0x0
	v_sub_co_u32 v1, s0, v10, s24
	v_sub_co_ci_u32_e64 v2, null, 0, 0, s0
	s_waitcnt lgkmcnt(0)
	s_delay_alu instid0(VALU_DEP_2) | instskip(NEXT) | instid1(VALU_DEP_2)
	v_add_co_u32 v1, vcc_lo, s44, v1
	v_add_co_ci_u32_e32 v2, vcc_lo, s45, v2, vcc_lo
	s_sub_u32 s0, s46, s24
	s_subb_u32 s1, s47, 0
	s_delay_alu instid0(VALU_DEP_1) | instid1(SALU_CYCLE_1)
	v_cmpx_gt_i64_e64 s[0:1], v[1:2]
	s_cbranch_execz .LBB206_32
; %bb.15:
	v_and_b32_e32 v3, 31, v0
	s_mov_b32 s15, s25
	s_delay_alu instid0(VALU_DEP_1) | instskip(NEXT) | instid1(VALU_DEP_1)
	v_sub_co_u32 v11, s9, v3, s25
	v_sub_co_ci_u32_e64 v12, null, 0, 0, s9
	s_mov_b32 s9, 0
	s_branch .LBB206_17
.LBB206_16:                             ;   in Loop: Header=BB206_17 Depth=1
	s_or_b32 exec_lo, exec_lo, s16
	v_add_co_u32 v1, vcc_lo, v1, 16
	v_add_co_ci_u32_e32 v2, vcc_lo, 0, v2, vcc_lo
	s_delay_alu instid0(VALU_DEP_1) | instskip(SKIP_1) | instid1(SALU_CYCLE_1)
	v_cmp_le_i64_e32 vcc_lo, s[0:1], v[1:2]
	s_or_b32 s9, vcc_lo, s9
	s_and_not1_b32 exec_lo, exec_lo, s9
	s_cbranch_execz .LBB206_32
.LBB206_17:                             ; =>This Loop Header: Depth=1
                                        ;     Child Loop BB206_20 Depth 2
                                        ;       Child Loop BB206_22 Depth 3
	v_lshlrev_b64 v[3:4], 2, v[1:2]
	s_mov_b32 s16, exec_lo
	s_delay_alu instid0(VALU_DEP_1) | instskip(NEXT) | instid1(VALU_DEP_2)
	v_add_co_u32 v3, vcc_lo, s18, v3
	v_add_co_ci_u32_e32 v4, vcc_lo, s19, v4, vcc_lo
	global_load_b32 v3, v[3:4], off
	s_waitcnt vmcnt(0)
	v_subrev_nc_u32_e32 v3, s24, v3
	s_delay_alu instid0(VALU_DEP_1) | instskip(NEXT) | instid1(VALU_DEP_1)
	v_ashrrev_i32_e32 v4, 31, v3
	v_lshlrev_b64 v[3:4], 3, v[3:4]
	s_delay_alu instid0(VALU_DEP_1) | instskip(NEXT) | instid1(VALU_DEP_2)
	v_add_co_u32 v3, vcc_lo, s22, v3
	v_add_co_ci_u32_e32 v4, vcc_lo, s23, v4, vcc_lo
	global_load_b128 v[13:16], v[3:4], off
	s_waitcnt vmcnt(0)
	v_sub_co_u32 v3, vcc_lo, v15, s15
	v_subrev_co_ci_u32_e32 v4, vcc_lo, 0, v16, vcc_lo
	v_add_co_u32 v5, vcc_lo, v13, v11
	v_add_co_ci_u32_e32 v6, vcc_lo, v14, v12, vcc_lo
	s_delay_alu instid0(VALU_DEP_1)
	v_cmpx_lt_i64_e64 v[5:6], v[3:4]
	s_cbranch_execz .LBB206_16
; %bb.18:                               ;   in Loop: Header=BB206_17 Depth=1
	v_lshlrev_b64 v[13:14], 3, v[1:2]
	s_mov_b32 s17, 0
	s_delay_alu instid0(VALU_DEP_1) | instskip(NEXT) | instid1(VALU_DEP_2)
	v_add_co_u32 v13, vcc_lo, s20, v13
	v_add_co_ci_u32_e32 v14, vcc_lo, s21, v14, vcc_lo
	global_load_b64 v[15:16], v[13:14], off
	s_waitcnt vmcnt(0)
	v_mul_f32_e64 v13, v16, -s3
	s_delay_alu instid0(VALU_DEP_1) | instskip(NEXT) | instid1(VALU_DEP_1)
	v_dual_mul_f32 v14, s13, v16 :: v_dual_fmac_f32 v13, s13, v15
	v_fmac_f32_e32 v14, s3, v15
	s_branch .LBB206_20
.LBB206_19:                             ;   in Loop: Header=BB206_20 Depth=2
	s_or_b32 exec_lo, exec_lo, s37
	v_add_co_u32 v5, vcc_lo, v5, 32
	v_add_co_ci_u32_e32 v6, vcc_lo, 0, v6, vcc_lo
	s_delay_alu instid0(VALU_DEP_1) | instskip(SKIP_1) | instid1(SALU_CYCLE_1)
	v_cmp_ge_i64_e32 vcc_lo, v[5:6], v[3:4]
	s_or_b32 s17, vcc_lo, s17
	s_and_not1_b32 exec_lo, exec_lo, s17
	s_cbranch_execz .LBB206_16
.LBB206_20:                             ;   Parent Loop BB206_17 Depth=1
                                        ; =>  This Loop Header: Depth=2
                                        ;       Child Loop BB206_22 Depth 3
	v_lshlrev_b64 v[15:16], 2, v[5:6]
	v_lshlrev_b64 v[17:18], 3, v[5:6]
	s_mov_b32 s37, 0
	s_delay_alu instid0(VALU_DEP_2) | instskip(NEXT) | instid1(VALU_DEP_3)
	v_add_co_u32 v15, vcc_lo, s4, v15
	v_add_co_ci_u32_e32 v16, vcc_lo, s5, v16, vcc_lo
	global_load_b32 v20, v[15:16], off
	v_add_co_u32 v15, vcc_lo, s6, v17
	v_add_co_ci_u32_e32 v16, vcc_lo, s7, v18, vcc_lo
	global_load_b64 v[18:19], v[15:16], off
	s_waitcnt vmcnt(1)
	v_subrev_nc_u32_e32 v15, s25, v20
	s_delay_alu instid0(VALU_DEP_1) | instskip(SKIP_3) | instid1(VALU_DEP_2)
	v_mul_lo_u32 v20, 0x89, v15
	s_waitcnt vmcnt(0)
	v_mul_f32_e64 v16, v19, -v14
	v_mul_f32_e32 v17, v13, v19
	v_fmac_f32_e32 v16, v13, v18
	s_delay_alu instid0(VALU_DEP_2)
	v_dual_fmac_f32 v17, v14, v18 :: v_dual_and_b32 v18, 0x3ff, v20
	s_branch .LBB206_22
.LBB206_21:                             ;   in Loop: Header=BB206_22 Depth=3
	s_or_b32 exec_lo, exec_lo, s38
	s_xor_b32 s38, s39, -1
	s_delay_alu instid0(SALU_CYCLE_1) | instskip(NEXT) | instid1(SALU_CYCLE_1)
	s_and_b32 s38, exec_lo, s38
	s_or_b32 s37, s38, s37
	s_delay_alu instid0(SALU_CYCLE_1)
	s_and_not1_b32 exec_lo, exec_lo, s37
	s_cbranch_execz .LBB206_19
.LBB206_22:                             ;   Parent Loop BB206_17 Depth=1
                                        ;     Parent Loop BB206_20 Depth=2
                                        ; =>    This Inner Loop Header: Depth=3
	s_delay_alu instid0(VALU_DEP_1)
	v_lshl_add_u32 v19, v18, 2, 0
	s_mov_b32 s38, exec_lo
                                        ; implicit-def: $sgpr39
	ds_load_b32 v20, v19
	s_waitcnt lgkmcnt(0)
	v_cmpx_ne_u32_e64 v20, v15
	s_xor_b32 s38, exec_lo, s38
	s_cbranch_execz .LBB206_30
; %bb.23:                               ;   in Loop: Header=BB206_22 Depth=3
	s_mov_b32 s42, exec_lo
                                        ; implicit-def: $sgpr39
	v_cmpx_ne_u32_e64 s33, v20
	s_xor_b32 s42, exec_lo, s42
; %bb.24:                               ;   in Loop: Header=BB206_22 Depth=3
	v_add_nc_u32_e32 v18, 1, v18
	s_mov_b32 s39, -1
                                        ; implicit-def: $vgpr19
	s_delay_alu instid0(VALU_DEP_1)
	v_and_b32_e32 v18, 0x3ff, v18
; %bb.25:                               ;   in Loop: Header=BB206_22 Depth=3
	s_and_not1_saveexec_b32 s42, s42
	s_cbranch_execz .LBB206_29
; %bb.26:                               ;   in Loop: Header=BB206_22 Depth=3
	v_mov_b32_e32 v20, s33
	s_mov_b32 s43, -1
	s_mov_b32 s44, exec_lo
	ds_cmpstore_rtn_b32 v20, v19, v15, v20
	s_waitcnt lgkmcnt(0)
	v_cmpx_eq_u32_e64 s33, v20
	s_cbranch_execz .LBB206_28
; %bb.27:                               ;   in Loop: Header=BB206_22 Depth=3
	v_lshl_add_u32 v19, v18, 2, v19
	s_xor_b32 s43, exec_lo, -1
	ds_add_f32 v19, v16 offset:4096
	ds_add_f32 v19, v17 offset:4100
.LBB206_28:                             ;   in Loop: Header=BB206_22 Depth=3
	s_or_b32 exec_lo, exec_lo, s44
	s_delay_alu instid0(SALU_CYCLE_1) | instskip(SKIP_1) | instid1(SALU_CYCLE_1)
	s_and_not1_b32 s39, s39, exec_lo
	s_and_b32 s43, s43, exec_lo
	s_or_b32 s39, s39, s43
.LBB206_29:                             ;   in Loop: Header=BB206_22 Depth=3
	s_or_b32 exec_lo, exec_lo, s42
	s_delay_alu instid0(SALU_CYCLE_1)
	s_and_b32 s39, s39, exec_lo
                                        ; implicit-def: $vgpr19
.LBB206_30:                             ;   in Loop: Header=BB206_22 Depth=3
	s_and_not1_saveexec_b32 s38, s38
	s_cbranch_execz .LBB206_21
; %bb.31:                               ;   in Loop: Header=BB206_22 Depth=3
	v_lshl_add_u32 v19, v18, 2, v19
	s_and_not1_b32 s39, s39, exec_lo
	ds_add_f32 v19, v16 offset:4096
	ds_add_f32 v19, v17 offset:4100
	s_branch .LBB206_21
.LBB206_32:
	s_or_b32 exec_lo, exec_lo, s8
.LBB206_33:
	s_delay_alu instid0(SALU_CYCLE_1)
	s_and_not1_b32 vcc_lo, exec_lo, s14
	s_cbranch_vccnz .LBB206_36
; %bb.34:
	s_waitcnt lgkmcnt(0)
	s_ashr_i32 s37, s36, 31
	s_mov_b32 s3, exec_lo
	s_lshl_b64 s[0:1], s[36:37], 3
	s_delay_alu instid0(SALU_CYCLE_1) | instskip(SKIP_3) | instid1(VALU_DEP_1)
	s_add_u32 s0, s10, s0
	s_addc_u32 s1, s11, s1
	s_load_b128 s[4:7], s[0:1], 0x0
	v_sub_co_u32 v1, s0, v0, s27
	v_sub_co_ci_u32_e64 v2, null, 0, 0, s0
	s_waitcnt lgkmcnt(0)
	s_delay_alu instid0(VALU_DEP_2) | instskip(NEXT) | instid1(VALU_DEP_2)
	v_add_co_u32 v1, vcc_lo, s4, v1
	v_add_co_ci_u32_e32 v2, vcc_lo, s5, v2, vcc_lo
	s_sub_u32 s0, s6, s27
	s_subb_u32 s1, s7, 0
	s_mov_b32 s4, 0
	s_delay_alu instid0(VALU_DEP_1)
	v_cmpx_gt_i64_e64 s[0:1], v[1:2]
	s_cbranch_execnz .LBB206_73
.LBB206_35:
	s_or_b32 exec_lo, exec_lo, s3
.LBB206_36:
	v_mbcnt_lo_u32_b32 v1, -1, 0
	v_lshl_add_u32 v4, v10, 2, 0
	v_cmp_eq_u32_e32 vcc_lo, 0x1ff, v0
	v_cmp_lt_u32_e64 s0, 31, v0
	v_cmp_lt_u32_e64 s1, 63, v0
	v_xor_b32_e32 v1, 63, v1
	v_cmp_lt_u32_e64 s2, 0x5f, v0
	v_cmp_lt_u32_e64 s3, 0x7f, v0
	;; [unrolled: 1-line block ×4, first 2 shown]
	v_lshrrev_b64 v[1:2], v1, -1
	v_cmp_lt_u32_e64 s6, 0xdf, v0
	v_cmp_lt_u32_e64 s7, 0xff, v0
	;; [unrolled: 1-line block ×9, first 2 shown]
	v_dual_mov_b32 v5, 0 :: v_dual_mov_b32 v6, 0
	s_mov_b32 s16, 0
	s_waitcnt lgkmcnt(0)
	s_barrier
	buffer_gl0_inv
	s_branch .LBB206_38
.LBB206_37:                             ;   in Loop: Header=BB206_38 Depth=1
	s_or_b32 exec_lo, exec_lo, s15
	s_waitcnt lgkmcnt(0)
	s_barrier
	buffer_gl0_inv
	ds_load_b32 v2, v5 offset:12348
	v_add_co_u32 v8, s15, 0x200, v8
	s_delay_alu instid0(VALU_DEP_1) | instskip(SKIP_3) | instid1(SALU_CYCLE_1)
	s_xor_b32 s15, s15, -1
	v_add_nc_u32_e32 v9, 0x1000, v9
	v_add_nc_u32_e32 v7, 0x800, v7
	s_and_b32 s15, exec_lo, s15
	s_or_b32 s16, s15, s16
	s_waitcnt lgkmcnt(0)
	v_add_nc_u32_e32 v6, v2, v6
	s_and_not1_b32 exec_lo, exec_lo, s16
	s_cbranch_execz .LBB206_85
.LBB206_38:                             ; =>This Inner Loop Header: Depth=1
	ds_load_b32 v10, v7
	ds_load_2addr_b32 v[2:3], v9 offset1:1
	s_waitcnt lgkmcnt(0)
	s_barrier
	buffer_gl0_inv
	v_cmp_gt_i32_e64 s15, s33, v10
	s_delay_alu instid0(VALU_DEP_1) | instskip(NEXT) | instid1(SALU_CYCLE_1)
	s_bcnt1_i32_b32 s17, s15
	v_dual_mov_b32 v12, s17 :: v_dual_and_b32 v11, s15, v1
	s_delay_alu instid0(VALU_DEP_1)
	v_bcnt_u32_b32 v11, v11, 0
	ds_store_b32 v4, v12 offset:12288
	s_waitcnt lgkmcnt(0)
	s_barrier
	buffer_gl0_inv
	s_and_saveexec_b32 s17, s0
	s_cbranch_execnz .LBB206_55
; %bb.39:                               ;   in Loop: Header=BB206_38 Depth=1
	s_or_b32 exec_lo, exec_lo, s17
	s_and_saveexec_b32 s17, s1
	s_cbranch_execnz .LBB206_56
.LBB206_40:                             ;   in Loop: Header=BB206_38 Depth=1
	s_or_b32 exec_lo, exec_lo, s17
	s_and_saveexec_b32 s17, s2
	s_cbranch_execnz .LBB206_57
.LBB206_41:                             ;   in Loop: Header=BB206_38 Depth=1
	s_or_b32 exec_lo, exec_lo, s17
	s_and_saveexec_b32 s17, s3
	s_cbranch_execnz .LBB206_58
.LBB206_42:                             ;   in Loop: Header=BB206_38 Depth=1
	s_or_b32 exec_lo, exec_lo, s17
	s_and_saveexec_b32 s17, s4
	s_cbranch_execnz .LBB206_59
.LBB206_43:                             ;   in Loop: Header=BB206_38 Depth=1
	s_or_b32 exec_lo, exec_lo, s17
	s_and_saveexec_b32 s17, s5
	s_cbranch_execnz .LBB206_60
.LBB206_44:                             ;   in Loop: Header=BB206_38 Depth=1
	s_or_b32 exec_lo, exec_lo, s17
	s_and_saveexec_b32 s17, s6
	s_cbranch_execnz .LBB206_61
.LBB206_45:                             ;   in Loop: Header=BB206_38 Depth=1
	s_or_b32 exec_lo, exec_lo, s17
	s_and_saveexec_b32 s17, s7
	s_cbranch_execnz .LBB206_62
.LBB206_46:                             ;   in Loop: Header=BB206_38 Depth=1
	s_or_b32 exec_lo, exec_lo, s17
	s_and_saveexec_b32 s17, s8
	s_cbranch_execnz .LBB206_63
.LBB206_47:                             ;   in Loop: Header=BB206_38 Depth=1
	s_or_b32 exec_lo, exec_lo, s17
	s_and_saveexec_b32 s17, s9
	s_cbranch_execnz .LBB206_64
.LBB206_48:                             ;   in Loop: Header=BB206_38 Depth=1
	s_or_b32 exec_lo, exec_lo, s17
	s_and_saveexec_b32 s17, s10
	s_cbranch_execnz .LBB206_65
.LBB206_49:                             ;   in Loop: Header=BB206_38 Depth=1
	s_or_b32 exec_lo, exec_lo, s17
	s_and_saveexec_b32 s17, s11
	s_cbranch_execnz .LBB206_66
.LBB206_50:                             ;   in Loop: Header=BB206_38 Depth=1
	s_or_b32 exec_lo, exec_lo, s17
	s_and_saveexec_b32 s17, s12
	s_cbranch_execnz .LBB206_67
.LBB206_51:                             ;   in Loop: Header=BB206_38 Depth=1
	s_or_b32 exec_lo, exec_lo, s17
	s_and_saveexec_b32 s17, s13
	s_cbranch_execnz .LBB206_68
.LBB206_52:                             ;   in Loop: Header=BB206_38 Depth=1
	s_or_b32 exec_lo, exec_lo, s17
	s_and_saveexec_b32 s17, s14
	s_cbranch_execnz .LBB206_69
.LBB206_53:                             ;   in Loop: Header=BB206_38 Depth=1
	s_or_b32 exec_lo, exec_lo, s17
	s_and_saveexec_b32 s17, s15
	s_cbranch_execnz .LBB206_70
.LBB206_54:                             ;   in Loop: Header=BB206_38 Depth=1
	s_or_b32 exec_lo, exec_lo, s17
	s_and_saveexec_b32 s15, vcc_lo
	s_cbranch_execz .LBB206_37
	s_branch .LBB206_71
.LBB206_55:                             ;   in Loop: Header=BB206_38 Depth=1
	ds_load_b32 v12, v5 offset:12288
	s_waitcnt lgkmcnt(0)
	v_add_nc_u32_e32 v11, v12, v11
	s_or_b32 exec_lo, exec_lo, s17
	s_and_saveexec_b32 s17, s1
	s_cbranch_execz .LBB206_40
.LBB206_56:                             ;   in Loop: Header=BB206_38 Depth=1
	ds_load_b32 v12, v5 offset:12292
	s_waitcnt lgkmcnt(0)
	v_add_nc_u32_e32 v11, v12, v11
	s_or_b32 exec_lo, exec_lo, s17
	s_and_saveexec_b32 s17, s2
	s_cbranch_execz .LBB206_41
.LBB206_57:                             ;   in Loop: Header=BB206_38 Depth=1
	ds_load_b32 v12, v5 offset:12296
	s_waitcnt lgkmcnt(0)
	v_add_nc_u32_e32 v11, v12, v11
	s_or_b32 exec_lo, exec_lo, s17
	s_and_saveexec_b32 s17, s3
	s_cbranch_execz .LBB206_42
.LBB206_58:                             ;   in Loop: Header=BB206_38 Depth=1
	ds_load_b32 v12, v5 offset:12300
	s_waitcnt lgkmcnt(0)
	v_add_nc_u32_e32 v11, v12, v11
	s_or_b32 exec_lo, exec_lo, s17
	s_and_saveexec_b32 s17, s4
	s_cbranch_execz .LBB206_43
.LBB206_59:                             ;   in Loop: Header=BB206_38 Depth=1
	ds_load_b32 v12, v5 offset:12304
	s_waitcnt lgkmcnt(0)
	v_add_nc_u32_e32 v11, v12, v11
	s_or_b32 exec_lo, exec_lo, s17
	s_and_saveexec_b32 s17, s5
	s_cbranch_execz .LBB206_44
.LBB206_60:                             ;   in Loop: Header=BB206_38 Depth=1
	ds_load_b32 v12, v5 offset:12308
	s_waitcnt lgkmcnt(0)
	v_add_nc_u32_e32 v11, v12, v11
	s_or_b32 exec_lo, exec_lo, s17
	s_and_saveexec_b32 s17, s6
	s_cbranch_execz .LBB206_45
.LBB206_61:                             ;   in Loop: Header=BB206_38 Depth=1
	ds_load_b32 v12, v5 offset:12312
	s_waitcnt lgkmcnt(0)
	v_add_nc_u32_e32 v11, v12, v11
	s_or_b32 exec_lo, exec_lo, s17
	s_and_saveexec_b32 s17, s7
	s_cbranch_execz .LBB206_46
.LBB206_62:                             ;   in Loop: Header=BB206_38 Depth=1
	ds_load_b32 v12, v5 offset:12316
	s_waitcnt lgkmcnt(0)
	v_add_nc_u32_e32 v11, v12, v11
	s_or_b32 exec_lo, exec_lo, s17
	s_and_saveexec_b32 s17, s8
	s_cbranch_execz .LBB206_47
.LBB206_63:                             ;   in Loop: Header=BB206_38 Depth=1
	ds_load_b32 v12, v5 offset:12320
	s_waitcnt lgkmcnt(0)
	v_add_nc_u32_e32 v11, v12, v11
	s_or_b32 exec_lo, exec_lo, s17
	s_and_saveexec_b32 s17, s9
	s_cbranch_execz .LBB206_48
.LBB206_64:                             ;   in Loop: Header=BB206_38 Depth=1
	ds_load_b32 v12, v5 offset:12324
	s_waitcnt lgkmcnt(0)
	v_add_nc_u32_e32 v11, v12, v11
	s_or_b32 exec_lo, exec_lo, s17
	s_and_saveexec_b32 s17, s10
	s_cbranch_execz .LBB206_49
.LBB206_65:                             ;   in Loop: Header=BB206_38 Depth=1
	ds_load_b32 v12, v5 offset:12328
	s_waitcnt lgkmcnt(0)
	v_add_nc_u32_e32 v11, v12, v11
	s_or_b32 exec_lo, exec_lo, s17
	s_and_saveexec_b32 s17, s11
	s_cbranch_execz .LBB206_50
.LBB206_66:                             ;   in Loop: Header=BB206_38 Depth=1
	ds_load_b32 v12, v5 offset:12332
	s_waitcnt lgkmcnt(0)
	v_add_nc_u32_e32 v11, v12, v11
	s_or_b32 exec_lo, exec_lo, s17
	s_and_saveexec_b32 s17, s12
	s_cbranch_execz .LBB206_51
.LBB206_67:                             ;   in Loop: Header=BB206_38 Depth=1
	ds_load_b32 v12, v5 offset:12336
	s_waitcnt lgkmcnt(0)
	v_add_nc_u32_e32 v11, v12, v11
	s_or_b32 exec_lo, exec_lo, s17
	s_and_saveexec_b32 s17, s13
	s_cbranch_execz .LBB206_52
.LBB206_68:                             ;   in Loop: Header=BB206_38 Depth=1
	ds_load_b32 v12, v5 offset:12340
	s_waitcnt lgkmcnt(0)
	v_add_nc_u32_e32 v11, v12, v11
	s_or_b32 exec_lo, exec_lo, s17
	s_and_saveexec_b32 s17, s14
	s_cbranch_execz .LBB206_53
.LBB206_69:                             ;   in Loop: Header=BB206_38 Depth=1
	ds_load_b32 v12, v5 offset:12344
	s_waitcnt lgkmcnt(0)
	v_add_nc_u32_e32 v11, v12, v11
	s_or_b32 exec_lo, exec_lo, s17
	s_and_saveexec_b32 s17, s15
	s_cbranch_execz .LBB206_54
.LBB206_70:                             ;   in Loop: Header=BB206_38 Depth=1
	s_delay_alu instid0(VALU_DEP_1) | instskip(NEXT) | instid1(VALU_DEP_1)
	v_add3_u32 v12, v6, -1, v11
	v_lshlrev_b32_e32 v13, 3, v12
	v_lshl_add_u32 v12, v12, 2, 0
	s_delay_alu instid0(VALU_DEP_2)
	v_add3_u32 v13, 0, v13, 0x1000
	ds_store_b32 v12, v10
	ds_store_2addr_b32 v13, v2, v3 offset1:1
	s_or_b32 exec_lo, exec_lo, s17
	s_and_saveexec_b32 s15, vcc_lo
	s_cbranch_execz .LBB206_37
.LBB206_71:                             ;   in Loop: Header=BB206_38 Depth=1
	ds_store_b32 v5, v11 offset:12348
	s_branch .LBB206_37
.LBB206_72:                             ;   in Loop: Header=BB206_73 Depth=1
	s_or_b32 exec_lo, exec_lo, s5
	v_add_co_u32 v1, vcc_lo, 0x200, v1
	v_add_co_ci_u32_e32 v2, vcc_lo, 0, v2, vcc_lo
	s_delay_alu instid0(VALU_DEP_1) | instskip(SKIP_1) | instid1(SALU_CYCLE_1)
	v_cmp_le_i64_e32 vcc_lo, s[0:1], v[1:2]
	s_or_b32 s4, vcc_lo, s4
	s_and_not1_b32 exec_lo, exec_lo, s4
	s_cbranch_execz .LBB206_35
.LBB206_73:                             ; =>This Loop Header: Depth=1
                                        ;     Child Loop BB206_75 Depth 2
	v_lshlrev_b64 v[3:4], 2, v[1:2]
	v_lshlrev_b64 v[5:6], 3, v[1:2]
	s_mov_b32 s5, 0
	s_delay_alu instid0(VALU_DEP_2) | instskip(NEXT) | instid1(VALU_DEP_3)
	v_add_co_u32 v3, vcc_lo, s28, v3
	v_add_co_ci_u32_e32 v4, vcc_lo, s29, v4, vcc_lo
	global_load_b32 v13, v[3:4], off
	v_add_co_u32 v3, vcc_lo, s30, v5
	v_add_co_ci_u32_e32 v4, vcc_lo, s31, v6, vcc_lo
	global_load_b64 v[11:12], v[3:4], off
	s_waitcnt vmcnt(1)
	v_subrev_nc_u32_e32 v3, s27, v13
	s_delay_alu instid0(VALU_DEP_1) | instskip(SKIP_2) | instid1(VALU_DEP_1)
	v_mul_lo_u32 v6, 0x89, v3
	s_waitcnt vmcnt(0)
	v_mul_f32_e64 v4, v12, -s12
	v_dual_mul_f32 v5, s2, v12 :: v_dual_fmac_f32 v4, s2, v11
	s_delay_alu instid0(VALU_DEP_1)
	v_dual_fmac_f32 v5, s12, v11 :: v_dual_and_b32 v6, 0x3ff, v6
	s_branch .LBB206_75
.LBB206_74:                             ;   in Loop: Header=BB206_75 Depth=2
	s_or_b32 exec_lo, exec_lo, s6
	s_xor_b32 s6, s7, -1
	s_delay_alu instid0(SALU_CYCLE_1) | instskip(NEXT) | instid1(SALU_CYCLE_1)
	s_and_b32 s6, exec_lo, s6
	s_or_b32 s5, s6, s5
	s_delay_alu instid0(SALU_CYCLE_1)
	s_and_not1_b32 exec_lo, exec_lo, s5
	s_cbranch_execz .LBB206_72
.LBB206_75:                             ;   Parent Loop BB206_73 Depth=1
                                        ; =>  This Inner Loop Header: Depth=2
	s_delay_alu instid0(VALU_DEP_1)
	v_lshl_add_u32 v11, v6, 2, 0
	s_mov_b32 s6, exec_lo
                                        ; implicit-def: $sgpr7
	ds_load_b32 v12, v11
	s_waitcnt lgkmcnt(0)
	v_cmpx_ne_u32_e64 v12, v3
	s_xor_b32 s6, exec_lo, s6
	s_cbranch_execz .LBB206_83
; %bb.76:                               ;   in Loop: Header=BB206_75 Depth=2
	s_mov_b32 s8, exec_lo
                                        ; implicit-def: $sgpr7
	v_cmpx_ne_u32_e64 s33, v12
	s_xor_b32 s8, exec_lo, s8
; %bb.77:                               ;   in Loop: Header=BB206_75 Depth=2
	v_add_nc_u32_e32 v6, 1, v6
	s_mov_b32 s7, -1
                                        ; implicit-def: $vgpr11
	s_delay_alu instid0(VALU_DEP_1)
	v_and_b32_e32 v6, 0x3ff, v6
; %bb.78:                               ;   in Loop: Header=BB206_75 Depth=2
	s_and_not1_saveexec_b32 s8, s8
	s_cbranch_execz .LBB206_82
; %bb.79:                               ;   in Loop: Header=BB206_75 Depth=2
	v_mov_b32_e32 v12, s33
	s_mov_b32 s9, -1
	s_mov_b32 s10, exec_lo
	ds_cmpstore_rtn_b32 v12, v11, v3, v12
	s_waitcnt lgkmcnt(0)
	v_cmpx_eq_u32_e64 s33, v12
	s_cbranch_execz .LBB206_81
; %bb.80:                               ;   in Loop: Header=BB206_75 Depth=2
	v_lshl_add_u32 v11, v6, 2, v11
	s_xor_b32 s9, exec_lo, -1
	ds_add_f32 v11, v4 offset:4096
	ds_add_f32 v11, v5 offset:4100
.LBB206_81:                             ;   in Loop: Header=BB206_75 Depth=2
	s_or_b32 exec_lo, exec_lo, s10
	s_delay_alu instid0(SALU_CYCLE_1) | instskip(SKIP_1) | instid1(SALU_CYCLE_1)
	s_and_not1_b32 s7, s7, exec_lo
	s_and_b32 s9, s9, exec_lo
	s_or_b32 s7, s7, s9
.LBB206_82:                             ;   in Loop: Header=BB206_75 Depth=2
	s_or_b32 exec_lo, exec_lo, s8
	s_delay_alu instid0(SALU_CYCLE_1)
	s_and_b32 s7, s7, exec_lo
                                        ; implicit-def: $vgpr11
.LBB206_83:                             ;   in Loop: Header=BB206_75 Depth=2
	s_and_not1_saveexec_b32 s6, s6
	s_cbranch_execz .LBB206_74
; %bb.84:                               ;   in Loop: Header=BB206_75 Depth=2
	v_lshl_add_u32 v11, v6, 2, v11
	s_and_not1_b32 s7, s7, exec_lo
	ds_add_f32 v11, v4 offset:4096
	ds_add_f32 v11, v5 offset:4100
	s_branch .LBB206_74
.LBB206_85:
	s_or_b32 exec_lo, exec_lo, s16
	s_ashr_i32 s37, s36, 31
	s_mov_b32 s4, exec_lo
	s_lshl_b64 s[0:1], s[36:37], 3
	s_delay_alu instid0(SALU_CYCLE_1) | instskip(SKIP_4) | instid1(SALU_CYCLE_1)
	s_add_u32 s0, s40, s0
	s_addc_u32 s1, s41, s1
	s_load_b128 s[0:3], s[0:1], 0x0
	s_waitcnt lgkmcnt(0)
	s_sub_i32 s3, s2, s0
	v_cmpx_gt_i32_e64 s3, v0
	s_cbranch_execz .LBB206_95
; %bb.86:
	s_sub_u32 s4, s0, s26
	s_subb_u32 s5, s1, 0
	s_sub_i32 s0, s0, s2
	s_and_b32 s1, s3, 7
	s_cmp_lt_u32 s0, -7
	s_mov_b32 s8, 0
	s_cselect_b32 s2, -1, 0
	s_and_b32 s6, s3, -8
	s_cmp_lg_u32 s1, 0
	s_cselect_b32 s7, -1, 0
	s_branch .LBB206_88
.LBB206_87:                             ;   in Loop: Header=BB206_88 Depth=1
	s_delay_alu instid0(VALU_DEP_1) | instskip(SKIP_1) | instid1(VALU_DEP_1)
	v_lshlrev_b64 v[3:4], 3, v[3:4]
	v_add_nc_u32_e32 v0, 0x200, v0
	v_cmp_le_i32_e32 vcc_lo, s3, v0
	s_delay_alu instid0(VALU_DEP_3) | instskip(NEXT) | instid1(VALU_DEP_1)
	v_add_co_u32 v3, s0, s34, v3
	v_add_co_ci_u32_e64 v4, s0, s35, v4, s0
	s_or_b32 s8, vcc_lo, s8
	s_waitcnt lgkmcnt(0)
	global_store_b64 v[3:4], v[1:2], off
	s_and_not1_b32 exec_lo, exec_lo, s8
	s_cbranch_execz .LBB206_95
.LBB206_88:                             ; =>This Loop Header: Depth=1
                                        ;     Child Loop BB206_90 Depth 2
                                        ;     Child Loop BB206_94 Depth 2
	v_lshlrev_b32_e32 v1, 2, v0
	v_dual_mov_b32 v3, s4 :: v_dual_mov_b32 v4, s5
	s_and_not1_b32 vcc_lo, exec_lo, s2
	s_mov_b32 s0, 0
	s_delay_alu instid0(VALU_DEP_2) | instskip(NEXT) | instid1(VALU_DEP_1)
	v_add_nc_u32_e32 v2, 0, v1
	v_add3_u32 v1, v2, v1, 0x1000
	ds_load_b32 v5, v2
	ds_load_2addr_b32 v[1:2], v1 offset1:1
	s_cbranch_vccnz .LBB206_92
; %bb.89:                               ;   in Loop: Header=BB206_88 Depth=1
	v_dual_mov_b32 v3, s4 :: v_dual_mov_b32 v4, s5
	s_mov_b32 s9, 0
	s_mov_b32 s10, 0
.LBB206_90:                             ;   Parent Loop BB206_88 Depth=1
                                        ; =>  This Inner Loop Header: Depth=2
	s_delay_alu instid0(SALU_CYCLE_1)
	v_mov_b32_e32 v12, s10
	s_add_i32 s9, s9, 8
	s_add_i32 s10, s10, 32
	s_cmp_eq_u32 s6, s9
	ds_load_2addr_b32 v[6:7], v12 offset1:1
	ds_load_2addr_b32 v[8:9], v12 offset0:2 offset1:3
	ds_load_2addr_b32 v[10:11], v12 offset0:4 offset1:5
	;; [unrolled: 1-line block ×3, first 2 shown]
	s_waitcnt lgkmcnt(3)
	v_cmp_gt_i32_e32 vcc_lo, v5, v6
	v_cndmask_b32_e64 v6, 0, 1, vcc_lo
	v_cmp_gt_i32_e32 vcc_lo, v5, v7
	v_cndmask_b32_e64 v7, 0, 1, vcc_lo
	s_waitcnt lgkmcnt(2)
	v_cmp_gt_i32_e32 vcc_lo, v5, v8
	v_cndmask_b32_e64 v8, 0, 1, vcc_lo
	v_cmp_gt_i32_e32 vcc_lo, v5, v9
	v_cndmask_b32_e64 v9, 0, 1, vcc_lo
	s_waitcnt lgkmcnt(1)
	v_cmp_gt_i32_e32 vcc_lo, v5, v10
	v_cndmask_b32_e64 v10, 0, 1, vcc_lo
	v_add_co_u32 v3, vcc_lo, v3, v6
	v_add_co_ci_u32_e32 v4, vcc_lo, 0, v4, vcc_lo
	v_cmp_gt_i32_e32 vcc_lo, v5, v11
	s_delay_alu instid0(VALU_DEP_3) | instskip(NEXT) | instid1(VALU_DEP_1)
	v_add_co_u32 v3, s0, v3, v7
	v_add_co_ci_u32_e64 v4, s0, 0, v4, s0
	v_cndmask_b32_e64 v6, 0, 1, vcc_lo
	s_delay_alu instid0(VALU_DEP_3) | instskip(NEXT) | instid1(VALU_DEP_3)
	v_add_co_u32 v3, vcc_lo, v3, v8
	v_add_co_ci_u32_e32 v4, vcc_lo, 0, v4, vcc_lo
	s_waitcnt lgkmcnt(0)
	v_cmp_gt_i32_e32 vcc_lo, v5, v12
	s_delay_alu instid0(VALU_DEP_3) | instskip(NEXT) | instid1(VALU_DEP_1)
	v_add_co_u32 v3, s0, v3, v9
	v_add_co_ci_u32_e64 v4, s0, 0, v4, s0
	v_cndmask_b32_e64 v7, 0, 1, vcc_lo
	s_delay_alu instid0(VALU_DEP_3) | instskip(NEXT) | instid1(VALU_DEP_3)
	v_add_co_u32 v3, vcc_lo, v3, v10
	v_add_co_ci_u32_e32 v4, vcc_lo, 0, v4, vcc_lo
	v_cmp_gt_i32_e32 vcc_lo, v5, v13
	s_delay_alu instid0(VALU_DEP_3) | instskip(NEXT) | instid1(VALU_DEP_1)
	v_add_co_u32 v3, s0, v3, v6
	v_add_co_ci_u32_e64 v4, s0, 0, v4, s0
	v_cndmask_b32_e64 v6, 0, 1, vcc_lo
	s_delay_alu instid0(VALU_DEP_3) | instskip(NEXT) | instid1(VALU_DEP_3)
	v_add_co_u32 v3, vcc_lo, v3, v7
	v_add_co_ci_u32_e32 v4, vcc_lo, 0, v4, vcc_lo
	s_delay_alu instid0(VALU_DEP_2) | instskip(NEXT) | instid1(VALU_DEP_2)
	v_add_co_u32 v3, vcc_lo, v3, v6
	v_add_co_ci_u32_e32 v4, vcc_lo, 0, v4, vcc_lo
	s_cbranch_scc0 .LBB206_90
; %bb.91:                               ;   in Loop: Header=BB206_88 Depth=1
	s_mov_b32 s0, s6
.LBB206_92:                             ;   in Loop: Header=BB206_88 Depth=1
	s_and_not1_b32 vcc_lo, exec_lo, s7
	s_cbranch_vccnz .LBB206_87
; %bb.93:                               ;   in Loop: Header=BB206_88 Depth=1
	s_lshl_b32 s0, s0, 2
	s_mov_b32 s9, s1
	s_add_i32 s0, s0, 0
.LBB206_94:                             ;   Parent Loop BB206_88 Depth=1
                                        ; =>  This Inner Loop Header: Depth=2
	s_delay_alu instid0(SALU_CYCLE_1)
	v_mov_b32_e32 v6, s0
	s_add_i32 s9, s9, -1
	s_add_i32 s0, s0, 4
	s_cmp_lg_u32 s9, 0
	ds_load_b32 v6, v6
	s_waitcnt lgkmcnt(0)
	v_cmp_gt_i32_e32 vcc_lo, v5, v6
	v_cndmask_b32_e64 v6, 0, 1, vcc_lo
	s_delay_alu instid0(VALU_DEP_1)
	v_add_co_u32 v3, vcc_lo, v3, v6
	v_add_co_ci_u32_e32 v4, vcc_lo, 0, v4, vcc_lo
	s_cbranch_scc1 .LBB206_94
	s_branch .LBB206_87
.LBB206_95:
	s_nop 0
	s_sendmsg sendmsg(MSG_DEALLOC_VGPRS)
	s_endpgm
	.section	.rodata,"a",@progbits
	.p2align	6, 0x0
	.amdhsa_kernel _ZN9rocsparseL41csrgemm_numeric_fill_block_per_row_kernelILj512ELj32ELj1024ELj137ELj32Eli21rocsparse_complex_numIfEEEvT5_PKS3_S5_NS_24const_host_device_scalarIT6_EEPKT4_S5_PKS7_SB_S5_SD_S8_SB_S5_SD_SB_S5_PS7_21rocsparse_index_base_SF_SF_SF_bbb
		.amdhsa_group_segment_fixed_size 0
		.amdhsa_private_segment_fixed_size 0
		.amdhsa_kernarg_size 156
		.amdhsa_user_sgpr_count 15
		.amdhsa_user_sgpr_dispatch_ptr 0
		.amdhsa_user_sgpr_queue_ptr 0
		.amdhsa_user_sgpr_kernarg_segment_ptr 1
		.amdhsa_user_sgpr_dispatch_id 0
		.amdhsa_user_sgpr_private_segment_size 0
		.amdhsa_wavefront_size32 1
		.amdhsa_uses_dynamic_stack 0
		.amdhsa_enable_private_segment 0
		.amdhsa_system_sgpr_workgroup_id_x 1
		.amdhsa_system_sgpr_workgroup_id_y 0
		.amdhsa_system_sgpr_workgroup_id_z 0
		.amdhsa_system_sgpr_workgroup_info 0
		.amdhsa_system_vgpr_workitem_id 0
		.amdhsa_next_free_vgpr 21
		.amdhsa_next_free_sgpr 48
		.amdhsa_reserve_vcc 1
		.amdhsa_float_round_mode_32 0
		.amdhsa_float_round_mode_16_64 0
		.amdhsa_float_denorm_mode_32 3
		.amdhsa_float_denorm_mode_16_64 3
		.amdhsa_dx10_clamp 1
		.amdhsa_ieee_mode 1
		.amdhsa_fp16_overflow 0
		.amdhsa_workgroup_processor_mode 1
		.amdhsa_memory_ordered 1
		.amdhsa_forward_progress 0
		.amdhsa_shared_vgpr_count 0
		.amdhsa_exception_fp_ieee_invalid_op 0
		.amdhsa_exception_fp_denorm_src 0
		.amdhsa_exception_fp_ieee_div_zero 0
		.amdhsa_exception_fp_ieee_overflow 0
		.amdhsa_exception_fp_ieee_underflow 0
		.amdhsa_exception_fp_ieee_inexact 0
		.amdhsa_exception_int_div_zero 0
	.end_amdhsa_kernel
	.section	.text._ZN9rocsparseL41csrgemm_numeric_fill_block_per_row_kernelILj512ELj32ELj1024ELj137ELj32Eli21rocsparse_complex_numIfEEEvT5_PKS3_S5_NS_24const_host_device_scalarIT6_EEPKT4_S5_PKS7_SB_S5_SD_S8_SB_S5_SD_SB_S5_PS7_21rocsparse_index_base_SF_SF_SF_bbb,"axG",@progbits,_ZN9rocsparseL41csrgemm_numeric_fill_block_per_row_kernelILj512ELj32ELj1024ELj137ELj32Eli21rocsparse_complex_numIfEEEvT5_PKS3_S5_NS_24const_host_device_scalarIT6_EEPKT4_S5_PKS7_SB_S5_SD_S8_SB_S5_SD_SB_S5_PS7_21rocsparse_index_base_SF_SF_SF_bbb,comdat
.Lfunc_end206:
	.size	_ZN9rocsparseL41csrgemm_numeric_fill_block_per_row_kernelILj512ELj32ELj1024ELj137ELj32Eli21rocsparse_complex_numIfEEEvT5_PKS3_S5_NS_24const_host_device_scalarIT6_EEPKT4_S5_PKS7_SB_S5_SD_S8_SB_S5_SD_SB_S5_PS7_21rocsparse_index_base_SF_SF_SF_bbb, .Lfunc_end206-_ZN9rocsparseL41csrgemm_numeric_fill_block_per_row_kernelILj512ELj32ELj1024ELj137ELj32Eli21rocsparse_complex_numIfEEEvT5_PKS3_S5_NS_24const_host_device_scalarIT6_EEPKT4_S5_PKS7_SB_S5_SD_S8_SB_S5_SD_SB_S5_PS7_21rocsparse_index_base_SF_SF_SF_bbb
                                        ; -- End function
	.section	.AMDGPU.csdata,"",@progbits
; Kernel info:
; codeLenInByte = 3576
; NumSgprs: 50
; NumVgprs: 21
; ScratchSize: 0
; MemoryBound: 0
; FloatMode: 240
; IeeeMode: 1
; LDSByteSize: 0 bytes/workgroup (compile time only)
; SGPRBlocks: 6
; VGPRBlocks: 2
; NumSGPRsForWavesPerEU: 50
; NumVGPRsForWavesPerEU: 21
; Occupancy: 16
; WaveLimiterHint : 1
; COMPUTE_PGM_RSRC2:SCRATCH_EN: 0
; COMPUTE_PGM_RSRC2:USER_SGPR: 15
; COMPUTE_PGM_RSRC2:TRAP_HANDLER: 0
; COMPUTE_PGM_RSRC2:TGID_X_EN: 1
; COMPUTE_PGM_RSRC2:TGID_Y_EN: 0
; COMPUTE_PGM_RSRC2:TGID_Z_EN: 0
; COMPUTE_PGM_RSRC2:TIDIG_COMP_CNT: 0
	.section	.text._ZN9rocsparseL41csrgemm_numeric_fill_block_per_row_kernelILj512ELj32ELj1024ELj137ELj64Eli21rocsparse_complex_numIfEEEvT5_PKS3_S5_NS_24const_host_device_scalarIT6_EEPKT4_S5_PKS7_SB_S5_SD_S8_SB_S5_SD_SB_S5_PS7_21rocsparse_index_base_SF_SF_SF_bbb,"axG",@progbits,_ZN9rocsparseL41csrgemm_numeric_fill_block_per_row_kernelILj512ELj32ELj1024ELj137ELj64Eli21rocsparse_complex_numIfEEEvT5_PKS3_S5_NS_24const_host_device_scalarIT6_EEPKT4_S5_PKS7_SB_S5_SD_S8_SB_S5_SD_SB_S5_PS7_21rocsparse_index_base_SF_SF_SF_bbb,comdat
	.globl	_ZN9rocsparseL41csrgemm_numeric_fill_block_per_row_kernelILj512ELj32ELj1024ELj137ELj64Eli21rocsparse_complex_numIfEEEvT5_PKS3_S5_NS_24const_host_device_scalarIT6_EEPKT4_S5_PKS7_SB_S5_SD_S8_SB_S5_SD_SB_S5_PS7_21rocsparse_index_base_SF_SF_SF_bbb ; -- Begin function _ZN9rocsparseL41csrgemm_numeric_fill_block_per_row_kernelILj512ELj32ELj1024ELj137ELj64Eli21rocsparse_complex_numIfEEEvT5_PKS3_S5_NS_24const_host_device_scalarIT6_EEPKT4_S5_PKS7_SB_S5_SD_S8_SB_S5_SD_SB_S5_PS7_21rocsparse_index_base_SF_SF_SF_bbb
	.p2align	8
	.type	_ZN9rocsparseL41csrgemm_numeric_fill_block_per_row_kernelILj512ELj32ELj1024ELj137ELj64Eli21rocsparse_complex_numIfEEEvT5_PKS3_S5_NS_24const_host_device_scalarIT6_EEPKT4_S5_PKS7_SB_S5_SD_S8_SB_S5_SD_SB_S5_PS7_21rocsparse_index_base_SF_SF_SF_bbb,@function
_ZN9rocsparseL41csrgemm_numeric_fill_block_per_row_kernelILj512ELj32ELj1024ELj137ELj64Eli21rocsparse_complex_numIfEEEvT5_PKS3_S5_NS_24const_host_device_scalarIT6_EEPKT4_S5_PKS7_SB_S5_SD_S8_SB_S5_SD_SB_S5_PS7_21rocsparse_index_base_SF_SF_SF_bbb: ; @_ZN9rocsparseL41csrgemm_numeric_fill_block_per_row_kernelILj512ELj32ELj1024ELj137ELj64Eli21rocsparse_complex_numIfEEEvT5_PKS3_S5_NS_24const_host_device_scalarIT6_EEPKT4_S5_PKS7_SB_S5_SD_S8_SB_S5_SD_SB_S5_PS7_21rocsparse_index_base_SF_SF_SF_bbb
; %bb.0:
	s_clause 0x7
	s_load_b32 s14, s[0:1], 0x98
	s_load_b64 s[34:35], s[0:1], 0x70
	s_load_b128 s[28:31], s[0:1], 0x60
	s_load_b256 s[4:11], s[0:1], 0x40
	s_load_b128 s[36:39], s[0:1], 0x8
	s_load_b256 s[16:23], s[0:1], 0x20
	s_load_b64 s[12:13], s[0:1], 0x80
	s_load_b128 s[24:27], s[0:1], 0x88
	s_mov_b32 s3, 0
	s_mov_b32 s40, 0
	s_waitcnt lgkmcnt(0)
	s_bitcmp1_b32 s14, 0
	s_cselect_b32 s42, -1, 0
	s_bitcmp1_b32 s14, 16
	s_cselect_b32 s2, -1, 0
	s_delay_alu instid0(SALU_CYCLE_1) | instskip(SKIP_2) | instid1(VALU_DEP_1)
	s_xor_b32 s33, s2, -1
	s_bitcmp0_b32 s14, 0
	v_cndmask_b32_e64 v1, 0, 1, s33
	v_cmp_ne_u32_e32 vcc_lo, 1, v1
	s_cbranch_scc1 .LBB207_5
; %bb.1:
	s_load_b64 s[2:3], s[0:1], 0x18
	s_and_b32 vcc_lo, exec_lo, vcc_lo
	s_waitcnt lgkmcnt(0)
	s_mov_b32 s40, s2
	s_cbranch_vccnz .LBB207_3
; %bb.2:
	s_load_b32 s40, s[2:3], 0x0
.LBB207_3:
	s_and_not1_b32 vcc_lo, exec_lo, s33
	s_cbranch_vccnz .LBB207_5
; %bb.4:
	s_load_b32 s3, s[2:3], 0x4
.LBB207_5:
	s_bitcmp1_b32 s14, 8
	s_mov_b32 s33, 0
	s_cselect_b32 s41, -1, 0
	s_bfe_u32 s2, s14, 0x10008
	s_delay_alu instid0(SALU_CYCLE_1)
	s_cmp_eq_u32 s2, 0
	s_mov_b32 s2, 0
	s_cbranch_scc1 .LBB207_11
; %bb.6:
	v_cmp_ne_u32_e32 vcc_lo, 1, v1
	s_mov_b32 s2, s8
	s_cbranch_vccnz .LBB207_8
; %bb.7:
	s_load_b32 s2, s[8:9], 0x0
.LBB207_8:
	v_cmp_ne_u32_e32 vcc_lo, 1, v1
	s_cbranch_vccnz .LBB207_10
; %bb.9:
	s_load_b32 s9, s[8:9], 0x4
.LBB207_10:
	s_waitcnt lgkmcnt(0)
	s_mov_b32 s33, s9
.LBB207_11:
	s_load_b32 s14, s[0:1], 0x0
	v_lshl_add_u32 v7, v0, 2, 0
	v_lshlrev_b32_e32 v1, 3, v0
	v_or_b32_e32 v8, 0xfffffe00, v0
	s_mov_b32 s0, 0
	s_delay_alu instid0(VALU_DEP_3) | instskip(NEXT) | instid1(VALU_DEP_3)
	v_mov_b32_e32 v2, v7
	v_add3_u32 v9, v1, 0, 0x1000
	v_mov_b32_e32 v1, 0
	v_mov_b32_e32 v3, v8
	s_waitcnt lgkmcnt(0)
	s_delay_alu instid0(VALU_DEP_3)
	v_dual_mov_b32 v5, v9 :: v_dual_mov_b32 v4, s14
.LBB207_12:                             ; =>This Inner Loop Header: Depth=1
	s_delay_alu instid0(VALU_DEP_2) | instskip(NEXT) | instid1(VALU_DEP_1)
	v_add_co_u32 v3, s1, 0x200, v3
	s_xor_b32 s1, s1, -1
	ds_store_b32 v2, v4
	ds_store_2addr_b32 v5, v1, v1 offset1:1
	v_add_nc_u32_e32 v5, 0x1000, v5
	v_add_nc_u32_e32 v2, 0x800, v2
	s_and_b32 s1, exec_lo, s1
	s_delay_alu instid0(SALU_CYCLE_1) | instskip(NEXT) | instid1(SALU_CYCLE_1)
	s_or_b32 s0, s1, s0
	s_and_not1_b32 exec_lo, exec_lo, s0
	s_cbranch_execnz .LBB207_12
; %bb.13:
	s_or_b32 exec_lo, exec_lo, s0
	s_waitcnt lgkmcnt(0)
	s_barrier
	buffer_gl0_inv
	s_load_b32 s0, s[36:37], 0x0
	s_mov_b32 s1, 0
	s_waitcnt lgkmcnt(0)
	s_add_i32 s0, s0, s15
	s_delay_alu instid0(SALU_CYCLE_1) | instskip(NEXT) | instid1(SALU_CYCLE_1)
	s_lshl_b64 s[0:1], s[0:1], 2
	s_add_u32 s0, s38, s0
	s_addc_u32 s1, s39, s1
	s_and_b32 vcc_lo, exec_lo, s42
	s_load_b32 s8, s[0:1], 0x0
	s_cbranch_vccz .LBB207_33
; %bb.14:
	s_waitcnt lgkmcnt(0)
	s_ashr_i32 s9, s8, 31
	v_lshrrev_b32_e32 v1, 5, v0
	s_lshl_b64 s[0:1], s[8:9], 3
	s_mov_b32 s9, exec_lo
	s_add_u32 s0, s16, s0
	s_addc_u32 s1, s17, s1
	s_load_b128 s[36:39], s[0:1], 0x0
	v_sub_co_u32 v1, s0, v1, s24
	s_delay_alu instid0(VALU_DEP_1) | instskip(SKIP_1) | instid1(VALU_DEP_2)
	v_sub_co_ci_u32_e64 v2, null, 0, 0, s0
	s_waitcnt lgkmcnt(0)
	v_add_co_u32 v1, vcc_lo, s36, v1
	s_delay_alu instid0(VALU_DEP_2)
	v_add_co_ci_u32_e32 v2, vcc_lo, s37, v2, vcc_lo
	s_sub_u32 s0, s38, s24
	s_subb_u32 s1, s39, 0
	s_delay_alu instid0(VALU_DEP_1) | instid1(SALU_CYCLE_1)
	v_cmpx_gt_i64_e64 s[0:1], v[1:2]
	s_cbranch_execz .LBB207_32
; %bb.15:
	v_and_b32_e32 v3, 31, v0
	s_mov_b32 s16, s25
	s_delay_alu instid0(VALU_DEP_1) | instskip(NEXT) | instid1(VALU_DEP_1)
	v_sub_co_u32 v10, s15, v3, s25
	v_sub_co_ci_u32_e64 v11, null, 0, 0, s15
	s_mov_b32 s15, 0
	s_branch .LBB207_17
.LBB207_16:                             ;   in Loop: Header=BB207_17 Depth=1
	s_or_b32 exec_lo, exec_lo, s17
	v_add_co_u32 v1, vcc_lo, v1, 16
	v_add_co_ci_u32_e32 v2, vcc_lo, 0, v2, vcc_lo
	s_delay_alu instid0(VALU_DEP_1) | instskip(SKIP_1) | instid1(SALU_CYCLE_1)
	v_cmp_le_i64_e32 vcc_lo, s[0:1], v[1:2]
	s_or_b32 s15, vcc_lo, s15
	s_and_not1_b32 exec_lo, exec_lo, s15
	s_cbranch_execz .LBB207_32
.LBB207_17:                             ; =>This Loop Header: Depth=1
                                        ;     Child Loop BB207_20 Depth 2
                                        ;       Child Loop BB207_22 Depth 3
	v_lshlrev_b64 v[3:4], 2, v[1:2]
	s_mov_b32 s17, exec_lo
	s_delay_alu instid0(VALU_DEP_1) | instskip(NEXT) | instid1(VALU_DEP_2)
	v_add_co_u32 v3, vcc_lo, s18, v3
	v_add_co_ci_u32_e32 v4, vcc_lo, s19, v4, vcc_lo
	global_load_b32 v3, v[3:4], off
	s_waitcnt vmcnt(0)
	v_subrev_nc_u32_e32 v3, s24, v3
	s_delay_alu instid0(VALU_DEP_1) | instskip(NEXT) | instid1(VALU_DEP_1)
	v_ashrrev_i32_e32 v4, 31, v3
	v_lshlrev_b64 v[3:4], 3, v[3:4]
	s_delay_alu instid0(VALU_DEP_1) | instskip(NEXT) | instid1(VALU_DEP_2)
	v_add_co_u32 v3, vcc_lo, s22, v3
	v_add_co_ci_u32_e32 v4, vcc_lo, s23, v4, vcc_lo
	global_load_b128 v[12:15], v[3:4], off
	s_waitcnt vmcnt(0)
	v_sub_co_u32 v3, vcc_lo, v14, s16
	v_subrev_co_ci_u32_e32 v4, vcc_lo, 0, v15, vcc_lo
	v_add_co_u32 v5, vcc_lo, v12, v10
	v_add_co_ci_u32_e32 v6, vcc_lo, v13, v11, vcc_lo
	s_delay_alu instid0(VALU_DEP_1)
	v_cmpx_lt_i64_e64 v[5:6], v[3:4]
	s_cbranch_execz .LBB207_16
; %bb.18:                               ;   in Loop: Header=BB207_17 Depth=1
	v_lshlrev_b64 v[12:13], 3, v[1:2]
	s_mov_b32 s36, 0
	s_delay_alu instid0(VALU_DEP_1) | instskip(NEXT) | instid1(VALU_DEP_2)
	v_add_co_u32 v12, vcc_lo, s20, v12
	v_add_co_ci_u32_e32 v13, vcc_lo, s21, v13, vcc_lo
	global_load_b64 v[14:15], v[12:13], off
	s_waitcnt vmcnt(0)
	v_mul_f32_e64 v12, v15, -s3
	s_delay_alu instid0(VALU_DEP_1) | instskip(NEXT) | instid1(VALU_DEP_1)
	v_dual_mul_f32 v13, s40, v15 :: v_dual_fmac_f32 v12, s40, v14
	v_fmac_f32_e32 v13, s3, v14
	s_branch .LBB207_20
.LBB207_19:                             ;   in Loop: Header=BB207_20 Depth=2
	s_or_b32 exec_lo, exec_lo, s37
	v_add_co_u32 v5, vcc_lo, v5, 32
	v_add_co_ci_u32_e32 v6, vcc_lo, 0, v6, vcc_lo
	s_delay_alu instid0(VALU_DEP_1) | instskip(SKIP_1) | instid1(SALU_CYCLE_1)
	v_cmp_ge_i64_e32 vcc_lo, v[5:6], v[3:4]
	s_or_b32 s36, vcc_lo, s36
	s_and_not1_b32 exec_lo, exec_lo, s36
	s_cbranch_execz .LBB207_16
.LBB207_20:                             ;   Parent Loop BB207_17 Depth=1
                                        ; =>  This Loop Header: Depth=2
                                        ;       Child Loop BB207_22 Depth 3
	v_lshlrev_b64 v[14:15], 2, v[5:6]
	v_lshlrev_b64 v[16:17], 3, v[5:6]
	s_mov_b32 s37, 0
	s_delay_alu instid0(VALU_DEP_2) | instskip(NEXT) | instid1(VALU_DEP_3)
	v_add_co_u32 v14, vcc_lo, s4, v14
	v_add_co_ci_u32_e32 v15, vcc_lo, s5, v15, vcc_lo
	global_load_b32 v19, v[14:15], off
	v_add_co_u32 v14, vcc_lo, s6, v16
	v_add_co_ci_u32_e32 v15, vcc_lo, s7, v17, vcc_lo
	global_load_b64 v[17:18], v[14:15], off
	s_waitcnt vmcnt(1)
	v_subrev_nc_u32_e32 v14, s25, v19
	s_delay_alu instid0(VALU_DEP_1) | instskip(SKIP_3) | instid1(VALU_DEP_2)
	v_mul_lo_u32 v19, 0x89, v14
	s_waitcnt vmcnt(0)
	v_mul_f32_e64 v15, v18, -v13
	v_mul_f32_e32 v16, v12, v18
	v_fmac_f32_e32 v15, v12, v17
	s_delay_alu instid0(VALU_DEP_2)
	v_dual_fmac_f32 v16, v13, v17 :: v_dual_and_b32 v17, 0x3ff, v19
	s_branch .LBB207_22
.LBB207_21:                             ;   in Loop: Header=BB207_22 Depth=3
	s_or_b32 exec_lo, exec_lo, s38
	s_xor_b32 s38, s39, -1
	s_delay_alu instid0(SALU_CYCLE_1) | instskip(NEXT) | instid1(SALU_CYCLE_1)
	s_and_b32 s38, exec_lo, s38
	s_or_b32 s37, s38, s37
	s_delay_alu instid0(SALU_CYCLE_1)
	s_and_not1_b32 exec_lo, exec_lo, s37
	s_cbranch_execz .LBB207_19
.LBB207_22:                             ;   Parent Loop BB207_17 Depth=1
                                        ;     Parent Loop BB207_20 Depth=2
                                        ; =>    This Inner Loop Header: Depth=3
	s_delay_alu instid0(VALU_DEP_1)
	v_lshl_add_u32 v18, v17, 2, 0
	s_mov_b32 s38, exec_lo
                                        ; implicit-def: $sgpr39
	ds_load_b32 v19, v18
	s_waitcnt lgkmcnt(0)
	v_cmpx_ne_u32_e64 v19, v14
	s_xor_b32 s38, exec_lo, s38
	s_cbranch_execz .LBB207_30
; %bb.23:                               ;   in Loop: Header=BB207_22 Depth=3
	s_mov_b32 s42, exec_lo
                                        ; implicit-def: $sgpr39
	v_cmpx_ne_u32_e64 s14, v19
	s_xor_b32 s42, exec_lo, s42
; %bb.24:                               ;   in Loop: Header=BB207_22 Depth=3
	v_add_nc_u32_e32 v17, 1, v17
	s_mov_b32 s39, -1
                                        ; implicit-def: $vgpr18
	s_delay_alu instid0(VALU_DEP_1)
	v_and_b32_e32 v17, 0x3ff, v17
; %bb.25:                               ;   in Loop: Header=BB207_22 Depth=3
	s_and_not1_saveexec_b32 s42, s42
	s_cbranch_execz .LBB207_29
; %bb.26:                               ;   in Loop: Header=BB207_22 Depth=3
	v_mov_b32_e32 v19, s14
	s_mov_b32 s43, -1
	s_mov_b32 s44, exec_lo
	ds_cmpstore_rtn_b32 v19, v18, v14, v19
	s_waitcnt lgkmcnt(0)
	v_cmpx_eq_u32_e64 s14, v19
	s_cbranch_execz .LBB207_28
; %bb.27:                               ;   in Loop: Header=BB207_22 Depth=3
	v_lshl_add_u32 v18, v17, 2, v18
	s_xor_b32 s43, exec_lo, -1
	ds_add_f32 v18, v15 offset:4096
	ds_add_f32 v18, v16 offset:4100
.LBB207_28:                             ;   in Loop: Header=BB207_22 Depth=3
	s_or_b32 exec_lo, exec_lo, s44
	s_delay_alu instid0(SALU_CYCLE_1) | instskip(SKIP_1) | instid1(SALU_CYCLE_1)
	s_and_not1_b32 s39, s39, exec_lo
	s_and_b32 s43, s43, exec_lo
	s_or_b32 s39, s39, s43
.LBB207_29:                             ;   in Loop: Header=BB207_22 Depth=3
	s_or_b32 exec_lo, exec_lo, s42
	s_delay_alu instid0(SALU_CYCLE_1)
	s_and_b32 s39, s39, exec_lo
                                        ; implicit-def: $vgpr18
.LBB207_30:                             ;   in Loop: Header=BB207_22 Depth=3
	s_and_not1_saveexec_b32 s38, s38
	s_cbranch_execz .LBB207_21
; %bb.31:                               ;   in Loop: Header=BB207_22 Depth=3
	v_lshl_add_u32 v18, v17, 2, v18
	s_and_not1_b32 s39, s39, exec_lo
	ds_add_f32 v18, v15 offset:4096
	ds_add_f32 v18, v16 offset:4100
	s_branch .LBB207_21
.LBB207_32:
	s_or_b32 exec_lo, exec_lo, s9
.LBB207_33:
	s_delay_alu instid0(SALU_CYCLE_1)
	s_and_not1_b32 vcc_lo, exec_lo, s41
	s_cbranch_vccnz .LBB207_36
; %bb.34:
	s_waitcnt lgkmcnt(0)
	s_ashr_i32 s9, s8, 31
	s_mov_b32 s3, exec_lo
	s_lshl_b64 s[0:1], s[8:9], 3
	s_delay_alu instid0(SALU_CYCLE_1) | instskip(SKIP_3) | instid1(VALU_DEP_1)
	s_add_u32 s0, s10, s0
	s_addc_u32 s1, s11, s1
	s_load_b128 s[4:7], s[0:1], 0x0
	v_sub_co_u32 v1, s0, v0, s27
	v_sub_co_ci_u32_e64 v2, null, 0, 0, s0
	s_waitcnt lgkmcnt(0)
	s_delay_alu instid0(VALU_DEP_2) | instskip(NEXT) | instid1(VALU_DEP_2)
	v_add_co_u32 v1, vcc_lo, s4, v1
	v_add_co_ci_u32_e32 v2, vcc_lo, s5, v2, vcc_lo
	s_sub_u32 s0, s6, s27
	s_subb_u32 s1, s7, 0
	s_mov_b32 s4, 0
	s_delay_alu instid0(VALU_DEP_1)
	v_cmpx_gt_i64_e64 s[0:1], v[1:2]
	s_cbranch_execnz .LBB207_57
.LBB207_35:
	s_or_b32 exec_lo, exec_lo, s3
.LBB207_36:
	v_mbcnt_lo_u32_b32 v1, -1, 0
	v_lshrrev_b32_e32 v2, 4, v0
	v_cmp_eq_u32_e32 vcc_lo, 0x1ff, v0
	v_cmp_lt_u32_e64 s0, 63, v0
	v_cmp_lt_u32_e64 s1, 0x7f, v0
	v_xor_b32_e32 v1, 63, v1
	v_dual_mov_b32 v6, 0 :: v_dual_and_b32 v3, 28, v2
	v_cmp_lt_u32_e64 s2, 0xbf, v0
	v_cmp_lt_u32_e64 s3, 0xff, v0
	s_delay_alu instid0(VALU_DEP_4) | instskip(NEXT) | instid1(VALU_DEP_4)
	v_lshrrev_b64 v[1:2], v1, -1
	v_dual_mov_b32 v5, 0 :: v_dual_add_nc_u32 v4, 0, v3
	v_cmp_lt_u32_e64 s4, 0x13f, v0
	v_cmp_lt_u32_e64 s5, 0x17f, v0
	;; [unrolled: 1-line block ×3, first 2 shown]
	s_mov_b32 s9, 0
	s_waitcnt lgkmcnt(0)
	s_barrier
	buffer_gl0_inv
	s_branch .LBB207_38
.LBB207_37:                             ;   in Loop: Header=BB207_38 Depth=1
	s_or_b32 exec_lo, exec_lo, s7
	s_waitcnt lgkmcnt(0)
	s_barrier
	buffer_gl0_inv
	ds_load_b32 v2, v5 offset:12316
	v_add_co_u32 v8, s7, 0x200, v8
	s_delay_alu instid0(VALU_DEP_1) | instskip(SKIP_3) | instid1(SALU_CYCLE_1)
	s_xor_b32 s7, s7, -1
	v_add_nc_u32_e32 v9, 0x1000, v9
	v_add_nc_u32_e32 v7, 0x800, v7
	s_and_b32 s7, exec_lo, s7
	s_or_b32 s9, s7, s9
	s_waitcnt lgkmcnt(0)
	v_add_nc_u32_e32 v6, v2, v6
	s_and_not1_b32 exec_lo, exec_lo, s9
	s_cbranch_execz .LBB207_69
.LBB207_38:                             ; =>This Inner Loop Header: Depth=1
	ds_load_b32 v10, v7
	ds_load_2addr_b32 v[2:3], v9 offset1:1
	s_waitcnt lgkmcnt(0)
	s_barrier
	buffer_gl0_inv
	v_cmp_gt_i32_e64 s7, s14, v10
	s_delay_alu instid0(VALU_DEP_1) | instskip(NEXT) | instid1(SALU_CYCLE_1)
	s_bcnt1_i32_b32 s10, s7
	v_dual_mov_b32 v12, s10 :: v_dual_and_b32 v11, s7, v1
	s_delay_alu instid0(VALU_DEP_1)
	v_bcnt_u32_b32 v11, v11, 0
	ds_store_b32 v4, v12 offset:12288
	s_waitcnt lgkmcnt(0)
	s_barrier
	buffer_gl0_inv
	s_and_saveexec_b32 s10, s0
	s_cbranch_execnz .LBB207_47
; %bb.39:                               ;   in Loop: Header=BB207_38 Depth=1
	s_or_b32 exec_lo, exec_lo, s10
	s_and_saveexec_b32 s10, s1
	s_cbranch_execnz .LBB207_48
.LBB207_40:                             ;   in Loop: Header=BB207_38 Depth=1
	s_or_b32 exec_lo, exec_lo, s10
	s_and_saveexec_b32 s10, s2
	s_cbranch_execnz .LBB207_49
.LBB207_41:                             ;   in Loop: Header=BB207_38 Depth=1
	s_or_b32 exec_lo, exec_lo, s10
	s_and_saveexec_b32 s10, s3
	s_cbranch_execnz .LBB207_50
.LBB207_42:                             ;   in Loop: Header=BB207_38 Depth=1
	s_or_b32 exec_lo, exec_lo, s10
	s_and_saveexec_b32 s10, s4
	s_cbranch_execnz .LBB207_51
.LBB207_43:                             ;   in Loop: Header=BB207_38 Depth=1
	s_or_b32 exec_lo, exec_lo, s10
	s_and_saveexec_b32 s10, s5
	s_cbranch_execnz .LBB207_52
.LBB207_44:                             ;   in Loop: Header=BB207_38 Depth=1
	s_or_b32 exec_lo, exec_lo, s10
	s_and_saveexec_b32 s10, s6
	s_cbranch_execnz .LBB207_53
.LBB207_45:                             ;   in Loop: Header=BB207_38 Depth=1
	s_or_b32 exec_lo, exec_lo, s10
	s_and_saveexec_b32 s10, s7
	s_cbranch_execnz .LBB207_54
.LBB207_46:                             ;   in Loop: Header=BB207_38 Depth=1
	s_or_b32 exec_lo, exec_lo, s10
	s_and_saveexec_b32 s7, vcc_lo
	s_cbranch_execz .LBB207_37
	s_branch .LBB207_55
.LBB207_47:                             ;   in Loop: Header=BB207_38 Depth=1
	ds_load_b32 v12, v5 offset:12288
	s_waitcnt lgkmcnt(0)
	v_add_nc_u32_e32 v11, v12, v11
	s_or_b32 exec_lo, exec_lo, s10
	s_and_saveexec_b32 s10, s1
	s_cbranch_execz .LBB207_40
.LBB207_48:                             ;   in Loop: Header=BB207_38 Depth=1
	ds_load_b32 v12, v5 offset:12292
	s_waitcnt lgkmcnt(0)
	v_add_nc_u32_e32 v11, v12, v11
	s_or_b32 exec_lo, exec_lo, s10
	s_and_saveexec_b32 s10, s2
	s_cbranch_execz .LBB207_41
.LBB207_49:                             ;   in Loop: Header=BB207_38 Depth=1
	ds_load_b32 v12, v5 offset:12296
	s_waitcnt lgkmcnt(0)
	v_add_nc_u32_e32 v11, v12, v11
	s_or_b32 exec_lo, exec_lo, s10
	s_and_saveexec_b32 s10, s3
	s_cbranch_execz .LBB207_42
.LBB207_50:                             ;   in Loop: Header=BB207_38 Depth=1
	ds_load_b32 v12, v5 offset:12300
	s_waitcnt lgkmcnt(0)
	v_add_nc_u32_e32 v11, v12, v11
	s_or_b32 exec_lo, exec_lo, s10
	s_and_saveexec_b32 s10, s4
	s_cbranch_execz .LBB207_43
.LBB207_51:                             ;   in Loop: Header=BB207_38 Depth=1
	ds_load_b32 v12, v5 offset:12304
	s_waitcnt lgkmcnt(0)
	v_add_nc_u32_e32 v11, v12, v11
	s_or_b32 exec_lo, exec_lo, s10
	s_and_saveexec_b32 s10, s5
	s_cbranch_execz .LBB207_44
.LBB207_52:                             ;   in Loop: Header=BB207_38 Depth=1
	ds_load_b32 v12, v5 offset:12308
	s_waitcnt lgkmcnt(0)
	v_add_nc_u32_e32 v11, v12, v11
	s_or_b32 exec_lo, exec_lo, s10
	s_and_saveexec_b32 s10, s6
	s_cbranch_execz .LBB207_45
.LBB207_53:                             ;   in Loop: Header=BB207_38 Depth=1
	ds_load_b32 v12, v5 offset:12312
	s_waitcnt lgkmcnt(0)
	v_add_nc_u32_e32 v11, v12, v11
	s_or_b32 exec_lo, exec_lo, s10
	s_and_saveexec_b32 s10, s7
	s_cbranch_execz .LBB207_46
.LBB207_54:                             ;   in Loop: Header=BB207_38 Depth=1
	s_delay_alu instid0(VALU_DEP_1) | instskip(NEXT) | instid1(VALU_DEP_1)
	v_add3_u32 v12, v6, -1, v11
	v_lshlrev_b32_e32 v13, 3, v12
	v_lshl_add_u32 v12, v12, 2, 0
	s_delay_alu instid0(VALU_DEP_2)
	v_add3_u32 v13, 0, v13, 0x1000
	ds_store_b32 v12, v10
	ds_store_2addr_b32 v13, v2, v3 offset1:1
	s_or_b32 exec_lo, exec_lo, s10
	s_and_saveexec_b32 s7, vcc_lo
	s_cbranch_execz .LBB207_37
.LBB207_55:                             ;   in Loop: Header=BB207_38 Depth=1
	ds_store_b32 v5, v11 offset:12316
	s_branch .LBB207_37
.LBB207_56:                             ;   in Loop: Header=BB207_57 Depth=1
	s_or_b32 exec_lo, exec_lo, s5
	v_add_co_u32 v1, vcc_lo, 0x200, v1
	v_add_co_ci_u32_e32 v2, vcc_lo, 0, v2, vcc_lo
	s_delay_alu instid0(VALU_DEP_1) | instskip(SKIP_1) | instid1(SALU_CYCLE_1)
	v_cmp_le_i64_e32 vcc_lo, s[0:1], v[1:2]
	s_or_b32 s4, vcc_lo, s4
	s_and_not1_b32 exec_lo, exec_lo, s4
	s_cbranch_execz .LBB207_35
.LBB207_57:                             ; =>This Loop Header: Depth=1
                                        ;     Child Loop BB207_59 Depth 2
	v_lshlrev_b64 v[3:4], 2, v[1:2]
	v_lshlrev_b64 v[5:6], 3, v[1:2]
	s_mov_b32 s5, 0
	s_delay_alu instid0(VALU_DEP_2) | instskip(NEXT) | instid1(VALU_DEP_3)
	v_add_co_u32 v3, vcc_lo, s28, v3
	v_add_co_ci_u32_e32 v4, vcc_lo, s29, v4, vcc_lo
	global_load_b32 v12, v[3:4], off
	v_add_co_u32 v3, vcc_lo, s30, v5
	v_add_co_ci_u32_e32 v4, vcc_lo, s31, v6, vcc_lo
	global_load_b64 v[10:11], v[3:4], off
	s_waitcnt vmcnt(1)
	v_subrev_nc_u32_e32 v3, s27, v12
	s_delay_alu instid0(VALU_DEP_1) | instskip(SKIP_2) | instid1(VALU_DEP_1)
	v_mul_lo_u32 v6, 0x89, v3
	s_waitcnt vmcnt(0)
	v_mul_f32_e64 v4, v11, -s33
	v_dual_mul_f32 v5, s2, v11 :: v_dual_fmac_f32 v4, s2, v10
	s_delay_alu instid0(VALU_DEP_1) | instskip(NEXT) | instid1(VALU_DEP_4)
	v_fmac_f32_e32 v5, s33, v10
	v_and_b32_e32 v6, 0x3ff, v6
	s_branch .LBB207_59
.LBB207_58:                             ;   in Loop: Header=BB207_59 Depth=2
	s_or_b32 exec_lo, exec_lo, s6
	s_xor_b32 s6, s7, -1
	s_delay_alu instid0(SALU_CYCLE_1) | instskip(NEXT) | instid1(SALU_CYCLE_1)
	s_and_b32 s6, exec_lo, s6
	s_or_b32 s5, s6, s5
	s_delay_alu instid0(SALU_CYCLE_1)
	s_and_not1_b32 exec_lo, exec_lo, s5
	s_cbranch_execz .LBB207_56
.LBB207_59:                             ;   Parent Loop BB207_57 Depth=1
                                        ; =>  This Inner Loop Header: Depth=2
	s_delay_alu instid0(VALU_DEP_1)
	v_lshl_add_u32 v10, v6, 2, 0
	s_mov_b32 s6, exec_lo
                                        ; implicit-def: $sgpr7
	ds_load_b32 v11, v10
	s_waitcnt lgkmcnt(0)
	v_cmpx_ne_u32_e64 v11, v3
	s_xor_b32 s6, exec_lo, s6
	s_cbranch_execz .LBB207_67
; %bb.60:                               ;   in Loop: Header=BB207_59 Depth=2
	s_mov_b32 s9, exec_lo
                                        ; implicit-def: $sgpr7
	v_cmpx_ne_u32_e64 s14, v11
	s_xor_b32 s9, exec_lo, s9
; %bb.61:                               ;   in Loop: Header=BB207_59 Depth=2
	v_add_nc_u32_e32 v6, 1, v6
	s_mov_b32 s7, -1
                                        ; implicit-def: $vgpr10
	s_delay_alu instid0(VALU_DEP_1)
	v_and_b32_e32 v6, 0x3ff, v6
; %bb.62:                               ;   in Loop: Header=BB207_59 Depth=2
	s_and_not1_saveexec_b32 s9, s9
	s_cbranch_execz .LBB207_66
; %bb.63:                               ;   in Loop: Header=BB207_59 Depth=2
	v_mov_b32_e32 v11, s14
	s_mov_b32 s10, -1
	s_mov_b32 s11, exec_lo
	ds_cmpstore_rtn_b32 v11, v10, v3, v11
	s_waitcnt lgkmcnt(0)
	v_cmpx_eq_u32_e64 s14, v11
	s_cbranch_execz .LBB207_65
; %bb.64:                               ;   in Loop: Header=BB207_59 Depth=2
	v_lshl_add_u32 v10, v6, 2, v10
	s_xor_b32 s10, exec_lo, -1
	ds_add_f32 v10, v4 offset:4096
	ds_add_f32 v10, v5 offset:4100
.LBB207_65:                             ;   in Loop: Header=BB207_59 Depth=2
	s_or_b32 exec_lo, exec_lo, s11
	s_delay_alu instid0(SALU_CYCLE_1) | instskip(SKIP_1) | instid1(SALU_CYCLE_1)
	s_and_not1_b32 s7, s7, exec_lo
	s_and_b32 s10, s10, exec_lo
	s_or_b32 s7, s7, s10
.LBB207_66:                             ;   in Loop: Header=BB207_59 Depth=2
	s_or_b32 exec_lo, exec_lo, s9
	s_delay_alu instid0(SALU_CYCLE_1)
	s_and_b32 s7, s7, exec_lo
                                        ; implicit-def: $vgpr10
.LBB207_67:                             ;   in Loop: Header=BB207_59 Depth=2
	s_and_not1_saveexec_b32 s6, s6
	s_cbranch_execz .LBB207_58
; %bb.68:                               ;   in Loop: Header=BB207_59 Depth=2
	v_lshl_add_u32 v10, v6, 2, v10
	s_and_not1_b32 s7, s7, exec_lo
	ds_add_f32 v10, v4 offset:4096
	ds_add_f32 v10, v5 offset:4100
	s_branch .LBB207_58
.LBB207_69:
	s_or_b32 exec_lo, exec_lo, s9
	s_ashr_i32 s9, s8, 31
	s_mov_b32 s4, exec_lo
	s_lshl_b64 s[0:1], s[8:9], 3
	s_delay_alu instid0(SALU_CYCLE_1) | instskip(SKIP_4) | instid1(SALU_CYCLE_1)
	s_add_u32 s0, s34, s0
	s_addc_u32 s1, s35, s1
	s_load_b128 s[0:3], s[0:1], 0x0
	s_waitcnt lgkmcnt(0)
	s_sub_i32 s3, s2, s0
	v_cmpx_gt_i32_e64 s3, v0
	s_cbranch_execz .LBB207_79
; %bb.70:
	s_sub_u32 s4, s0, s26
	s_subb_u32 s5, s1, 0
	s_sub_i32 s0, s0, s2
	s_and_b32 s1, s3, 7
	s_cmp_lt_u32 s0, -7
	s_mov_b32 s8, 0
	s_cselect_b32 s2, -1, 0
	s_and_b32 s6, s3, -8
	s_cmp_lg_u32 s1, 0
	s_cselect_b32 s7, -1, 0
	s_branch .LBB207_72
.LBB207_71:                             ;   in Loop: Header=BB207_72 Depth=1
	s_delay_alu instid0(VALU_DEP_1) | instskip(SKIP_1) | instid1(VALU_DEP_1)
	v_lshlrev_b64 v[3:4], 3, v[3:4]
	v_add_nc_u32_e32 v0, 0x200, v0
	v_cmp_le_i32_e32 vcc_lo, s3, v0
	s_delay_alu instid0(VALU_DEP_3) | instskip(NEXT) | instid1(VALU_DEP_1)
	v_add_co_u32 v3, s0, s12, v3
	v_add_co_ci_u32_e64 v4, s0, s13, v4, s0
	s_or_b32 s8, vcc_lo, s8
	s_waitcnt lgkmcnt(0)
	global_store_b64 v[3:4], v[1:2], off
	s_and_not1_b32 exec_lo, exec_lo, s8
	s_cbranch_execz .LBB207_79
.LBB207_72:                             ; =>This Loop Header: Depth=1
                                        ;     Child Loop BB207_74 Depth 2
                                        ;     Child Loop BB207_78 Depth 2
	v_lshlrev_b32_e32 v1, 2, v0
	v_dual_mov_b32 v3, s4 :: v_dual_mov_b32 v4, s5
	s_and_not1_b32 vcc_lo, exec_lo, s2
	s_mov_b32 s0, 0
	s_delay_alu instid0(VALU_DEP_2) | instskip(NEXT) | instid1(VALU_DEP_1)
	v_add_nc_u32_e32 v2, 0, v1
	v_add3_u32 v1, v2, v1, 0x1000
	ds_load_b32 v5, v2
	ds_load_2addr_b32 v[1:2], v1 offset1:1
	s_cbranch_vccnz .LBB207_76
; %bb.73:                               ;   in Loop: Header=BB207_72 Depth=1
	v_dual_mov_b32 v3, s4 :: v_dual_mov_b32 v4, s5
	s_mov_b32 s9, 0
	s_mov_b32 s10, 0
.LBB207_74:                             ;   Parent Loop BB207_72 Depth=1
                                        ; =>  This Inner Loop Header: Depth=2
	s_delay_alu instid0(SALU_CYCLE_1)
	v_mov_b32_e32 v12, s10
	s_add_i32 s9, s9, 8
	s_add_i32 s10, s10, 32
	s_cmp_eq_u32 s6, s9
	ds_load_2addr_b32 v[6:7], v12 offset1:1
	ds_load_2addr_b32 v[8:9], v12 offset0:2 offset1:3
	ds_load_2addr_b32 v[10:11], v12 offset0:4 offset1:5
	;; [unrolled: 1-line block ×3, first 2 shown]
	s_waitcnt lgkmcnt(3)
	v_cmp_gt_i32_e32 vcc_lo, v5, v6
	v_cndmask_b32_e64 v6, 0, 1, vcc_lo
	v_cmp_gt_i32_e32 vcc_lo, v5, v7
	v_cndmask_b32_e64 v7, 0, 1, vcc_lo
	s_waitcnt lgkmcnt(2)
	v_cmp_gt_i32_e32 vcc_lo, v5, v8
	v_cndmask_b32_e64 v8, 0, 1, vcc_lo
	v_cmp_gt_i32_e32 vcc_lo, v5, v9
	v_cndmask_b32_e64 v9, 0, 1, vcc_lo
	s_waitcnt lgkmcnt(1)
	v_cmp_gt_i32_e32 vcc_lo, v5, v10
	v_cndmask_b32_e64 v10, 0, 1, vcc_lo
	v_add_co_u32 v3, vcc_lo, v3, v6
	v_add_co_ci_u32_e32 v4, vcc_lo, 0, v4, vcc_lo
	v_cmp_gt_i32_e32 vcc_lo, v5, v11
	s_delay_alu instid0(VALU_DEP_3) | instskip(NEXT) | instid1(VALU_DEP_1)
	v_add_co_u32 v3, s0, v3, v7
	v_add_co_ci_u32_e64 v4, s0, 0, v4, s0
	v_cndmask_b32_e64 v6, 0, 1, vcc_lo
	s_delay_alu instid0(VALU_DEP_3) | instskip(NEXT) | instid1(VALU_DEP_3)
	v_add_co_u32 v3, vcc_lo, v3, v8
	v_add_co_ci_u32_e32 v4, vcc_lo, 0, v4, vcc_lo
	s_waitcnt lgkmcnt(0)
	v_cmp_gt_i32_e32 vcc_lo, v5, v12
	s_delay_alu instid0(VALU_DEP_3) | instskip(NEXT) | instid1(VALU_DEP_1)
	v_add_co_u32 v3, s0, v3, v9
	v_add_co_ci_u32_e64 v4, s0, 0, v4, s0
	v_cndmask_b32_e64 v7, 0, 1, vcc_lo
	s_delay_alu instid0(VALU_DEP_3) | instskip(NEXT) | instid1(VALU_DEP_3)
	v_add_co_u32 v3, vcc_lo, v3, v10
	v_add_co_ci_u32_e32 v4, vcc_lo, 0, v4, vcc_lo
	v_cmp_gt_i32_e32 vcc_lo, v5, v13
	s_delay_alu instid0(VALU_DEP_3) | instskip(NEXT) | instid1(VALU_DEP_1)
	v_add_co_u32 v3, s0, v3, v6
	v_add_co_ci_u32_e64 v4, s0, 0, v4, s0
	v_cndmask_b32_e64 v6, 0, 1, vcc_lo
	s_delay_alu instid0(VALU_DEP_3) | instskip(NEXT) | instid1(VALU_DEP_3)
	v_add_co_u32 v3, vcc_lo, v3, v7
	v_add_co_ci_u32_e32 v4, vcc_lo, 0, v4, vcc_lo
	s_delay_alu instid0(VALU_DEP_2) | instskip(NEXT) | instid1(VALU_DEP_2)
	v_add_co_u32 v3, vcc_lo, v3, v6
	v_add_co_ci_u32_e32 v4, vcc_lo, 0, v4, vcc_lo
	s_cbranch_scc0 .LBB207_74
; %bb.75:                               ;   in Loop: Header=BB207_72 Depth=1
	s_mov_b32 s0, s6
.LBB207_76:                             ;   in Loop: Header=BB207_72 Depth=1
	s_and_not1_b32 vcc_lo, exec_lo, s7
	s_cbranch_vccnz .LBB207_71
; %bb.77:                               ;   in Loop: Header=BB207_72 Depth=1
	s_lshl_b32 s0, s0, 2
	s_mov_b32 s9, s1
	s_add_i32 s0, s0, 0
.LBB207_78:                             ;   Parent Loop BB207_72 Depth=1
                                        ; =>  This Inner Loop Header: Depth=2
	s_delay_alu instid0(SALU_CYCLE_1)
	v_mov_b32_e32 v6, s0
	s_add_i32 s9, s9, -1
	s_add_i32 s0, s0, 4
	s_cmp_lg_u32 s9, 0
	ds_load_b32 v6, v6
	s_waitcnt lgkmcnt(0)
	v_cmp_gt_i32_e32 vcc_lo, v5, v6
	v_cndmask_b32_e64 v6, 0, 1, vcc_lo
	s_delay_alu instid0(VALU_DEP_1)
	v_add_co_u32 v3, vcc_lo, v3, v6
	v_add_co_ci_u32_e32 v4, vcc_lo, 0, v4, vcc_lo
	s_cbranch_scc1 .LBB207_78
	s_branch .LBB207_71
.LBB207_79:
	s_nop 0
	s_sendmsg sendmsg(MSG_DEALLOC_VGPRS)
	s_endpgm
	.section	.rodata,"a",@progbits
	.p2align	6, 0x0
	.amdhsa_kernel _ZN9rocsparseL41csrgemm_numeric_fill_block_per_row_kernelILj512ELj32ELj1024ELj137ELj64Eli21rocsparse_complex_numIfEEEvT5_PKS3_S5_NS_24const_host_device_scalarIT6_EEPKT4_S5_PKS7_SB_S5_SD_S8_SB_S5_SD_SB_S5_PS7_21rocsparse_index_base_SF_SF_SF_bbb
		.amdhsa_group_segment_fixed_size 0
		.amdhsa_private_segment_fixed_size 0
		.amdhsa_kernarg_size 156
		.amdhsa_user_sgpr_count 15
		.amdhsa_user_sgpr_dispatch_ptr 0
		.amdhsa_user_sgpr_queue_ptr 0
		.amdhsa_user_sgpr_kernarg_segment_ptr 1
		.amdhsa_user_sgpr_dispatch_id 0
		.amdhsa_user_sgpr_private_segment_size 0
		.amdhsa_wavefront_size32 1
		.amdhsa_uses_dynamic_stack 0
		.amdhsa_enable_private_segment 0
		.amdhsa_system_sgpr_workgroup_id_x 1
		.amdhsa_system_sgpr_workgroup_id_y 0
		.amdhsa_system_sgpr_workgroup_id_z 0
		.amdhsa_system_sgpr_workgroup_info 0
		.amdhsa_system_vgpr_workitem_id 0
		.amdhsa_next_free_vgpr 20
		.amdhsa_next_free_sgpr 45
		.amdhsa_reserve_vcc 1
		.amdhsa_float_round_mode_32 0
		.amdhsa_float_round_mode_16_64 0
		.amdhsa_float_denorm_mode_32 3
		.amdhsa_float_denorm_mode_16_64 3
		.amdhsa_dx10_clamp 1
		.amdhsa_ieee_mode 1
		.amdhsa_fp16_overflow 0
		.amdhsa_workgroup_processor_mode 1
		.amdhsa_memory_ordered 1
		.amdhsa_forward_progress 0
		.amdhsa_shared_vgpr_count 0
		.amdhsa_exception_fp_ieee_invalid_op 0
		.amdhsa_exception_fp_denorm_src 0
		.amdhsa_exception_fp_ieee_div_zero 0
		.amdhsa_exception_fp_ieee_overflow 0
		.amdhsa_exception_fp_ieee_underflow 0
		.amdhsa_exception_fp_ieee_inexact 0
		.amdhsa_exception_int_div_zero 0
	.end_amdhsa_kernel
	.section	.text._ZN9rocsparseL41csrgemm_numeric_fill_block_per_row_kernelILj512ELj32ELj1024ELj137ELj64Eli21rocsparse_complex_numIfEEEvT5_PKS3_S5_NS_24const_host_device_scalarIT6_EEPKT4_S5_PKS7_SB_S5_SD_S8_SB_S5_SD_SB_S5_PS7_21rocsparse_index_base_SF_SF_SF_bbb,"axG",@progbits,_ZN9rocsparseL41csrgemm_numeric_fill_block_per_row_kernelILj512ELj32ELj1024ELj137ELj64Eli21rocsparse_complex_numIfEEEvT5_PKS3_S5_NS_24const_host_device_scalarIT6_EEPKT4_S5_PKS7_SB_S5_SD_S8_SB_S5_SD_SB_S5_PS7_21rocsparse_index_base_SF_SF_SF_bbb,comdat
.Lfunc_end207:
	.size	_ZN9rocsparseL41csrgemm_numeric_fill_block_per_row_kernelILj512ELj32ELj1024ELj137ELj64Eli21rocsparse_complex_numIfEEEvT5_PKS3_S5_NS_24const_host_device_scalarIT6_EEPKT4_S5_PKS7_SB_S5_SD_S8_SB_S5_SD_SB_S5_PS7_21rocsparse_index_base_SF_SF_SF_bbb, .Lfunc_end207-_ZN9rocsparseL41csrgemm_numeric_fill_block_per_row_kernelILj512ELj32ELj1024ELj137ELj64Eli21rocsparse_complex_numIfEEEvT5_PKS3_S5_NS_24const_host_device_scalarIT6_EEPKT4_S5_PKS7_SB_S5_SD_S8_SB_S5_SD_SB_S5_PS7_21rocsparse_index_base_SF_SF_SF_bbb
                                        ; -- End function
	.section	.AMDGPU.csdata,"",@progbits
; Kernel info:
; codeLenInByte = 3176
; NumSgprs: 47
; NumVgprs: 20
; ScratchSize: 0
; MemoryBound: 0
; FloatMode: 240
; IeeeMode: 1
; LDSByteSize: 0 bytes/workgroup (compile time only)
; SGPRBlocks: 5
; VGPRBlocks: 2
; NumSGPRsForWavesPerEU: 47
; NumVGPRsForWavesPerEU: 20
; Occupancy: 16
; WaveLimiterHint : 1
; COMPUTE_PGM_RSRC2:SCRATCH_EN: 0
; COMPUTE_PGM_RSRC2:USER_SGPR: 15
; COMPUTE_PGM_RSRC2:TRAP_HANDLER: 0
; COMPUTE_PGM_RSRC2:TGID_X_EN: 1
; COMPUTE_PGM_RSRC2:TGID_Y_EN: 0
; COMPUTE_PGM_RSRC2:TGID_Z_EN: 0
; COMPUTE_PGM_RSRC2:TIDIG_COMP_CNT: 0
	.section	.text._ZN9rocsparseL41csrgemm_numeric_fill_block_per_row_kernelILj1024ELj32ELj2048ELj137ELj32Eli21rocsparse_complex_numIfEEEvT5_PKS3_S5_NS_24const_host_device_scalarIT6_EEPKT4_S5_PKS7_SB_S5_SD_S8_SB_S5_SD_SB_S5_PS7_21rocsparse_index_base_SF_SF_SF_bbb,"axG",@progbits,_ZN9rocsparseL41csrgemm_numeric_fill_block_per_row_kernelILj1024ELj32ELj2048ELj137ELj32Eli21rocsparse_complex_numIfEEEvT5_PKS3_S5_NS_24const_host_device_scalarIT6_EEPKT4_S5_PKS7_SB_S5_SD_S8_SB_S5_SD_SB_S5_PS7_21rocsparse_index_base_SF_SF_SF_bbb,comdat
	.globl	_ZN9rocsparseL41csrgemm_numeric_fill_block_per_row_kernelILj1024ELj32ELj2048ELj137ELj32Eli21rocsparse_complex_numIfEEEvT5_PKS3_S5_NS_24const_host_device_scalarIT6_EEPKT4_S5_PKS7_SB_S5_SD_S8_SB_S5_SD_SB_S5_PS7_21rocsparse_index_base_SF_SF_SF_bbb ; -- Begin function _ZN9rocsparseL41csrgemm_numeric_fill_block_per_row_kernelILj1024ELj32ELj2048ELj137ELj32Eli21rocsparse_complex_numIfEEEvT5_PKS3_S5_NS_24const_host_device_scalarIT6_EEPKT4_S5_PKS7_SB_S5_SD_S8_SB_S5_SD_SB_S5_PS7_21rocsparse_index_base_SF_SF_SF_bbb
	.p2align	8
	.type	_ZN9rocsparseL41csrgemm_numeric_fill_block_per_row_kernelILj1024ELj32ELj2048ELj137ELj32Eli21rocsparse_complex_numIfEEEvT5_PKS3_S5_NS_24const_host_device_scalarIT6_EEPKT4_S5_PKS7_SB_S5_SD_S8_SB_S5_SD_SB_S5_PS7_21rocsparse_index_base_SF_SF_SF_bbb,@function
_ZN9rocsparseL41csrgemm_numeric_fill_block_per_row_kernelILj1024ELj32ELj2048ELj137ELj32Eli21rocsparse_complex_numIfEEEvT5_PKS3_S5_NS_24const_host_device_scalarIT6_EEPKT4_S5_PKS7_SB_S5_SD_S8_SB_S5_SD_SB_S5_PS7_21rocsparse_index_base_SF_SF_SF_bbb: ; @_ZN9rocsparseL41csrgemm_numeric_fill_block_per_row_kernelILj1024ELj32ELj2048ELj137ELj32Eli21rocsparse_complex_numIfEEEvT5_PKS3_S5_NS_24const_host_device_scalarIT6_EEPKT4_S5_PKS7_SB_S5_SD_S8_SB_S5_SD_SB_S5_PS7_21rocsparse_index_base_SF_SF_SF_bbb
; %bb.0:
	s_clause 0x7
	s_load_b32 s12, s[0:1], 0x98
	s_load_b64 s[40:41], s[0:1], 0x70
	s_load_b128 s[24:27], s[0:1], 0x60
	s_load_b256 s[4:11], s[0:1], 0x40
	s_load_b128 s[28:31], s[0:1], 0x8
	s_load_b256 s[16:23], s[0:1], 0x20
	s_load_b64 s[34:35], s[0:1], 0x80
	s_load_b128 s[36:39], s[0:1], 0x88
	s_mov_b32 s3, 0
	s_mov_b32 s13, 0
	s_waitcnt lgkmcnt(0)
	s_bitcmp1_b32 s12, 0
	s_cselect_b32 s43, -1, 0
	s_bitcmp1_b32 s12, 16
	s_cselect_b32 s2, -1, 0
	s_delay_alu instid0(SALU_CYCLE_1) | instskip(SKIP_2) | instid1(VALU_DEP_1)
	s_xor_b32 s14, s2, -1
	s_bitcmp0_b32 s12, 0
	v_cndmask_b32_e64 v1, 0, 1, s14
	v_cmp_ne_u32_e32 vcc_lo, 1, v1
	s_cbranch_scc1 .LBB208_5
; %bb.1:
	s_load_b64 s[2:3], s[0:1], 0x18
	s_and_b32 vcc_lo, exec_lo, vcc_lo
	s_waitcnt lgkmcnt(0)
	s_mov_b32 s13, s2
	s_cbranch_vccnz .LBB208_3
; %bb.2:
	s_load_b32 s13, s[2:3], 0x0
.LBB208_3:
	s_and_not1_b32 vcc_lo, exec_lo, s14
	s_cbranch_vccnz .LBB208_5
; %bb.4:
	s_load_b32 s3, s[2:3], 0x4
.LBB208_5:
	s_bitcmp1_b32 s12, 8
	s_cselect_b32 s14, -1, 0
	s_bfe_u32 s2, s12, 0x10008
	s_mov_b32 s12, 0
	s_cmp_eq_u32 s2, 0
	s_mov_b32 s2, 0
	s_cbranch_scc1 .LBB208_11
; %bb.6:
	v_cmp_ne_u32_e32 vcc_lo, 1, v1
	s_mov_b32 s2, s8
	s_cbranch_vccnz .LBB208_8
; %bb.7:
	s_load_b32 s2, s[8:9], 0x0
.LBB208_8:
	v_cmp_ne_u32_e32 vcc_lo, 1, v1
	s_cbranch_vccnz .LBB208_10
; %bb.9:
	s_load_b32 s9, s[8:9], 0x4
.LBB208_10:
	s_waitcnt lgkmcnt(0)
	s_mov_b32 s12, s9
.LBB208_11:
	s_load_b32 s33, s[0:1], 0x0
	v_lshl_add_u32 v7, v0, 2, 0
	v_lshlrev_b32_e32 v1, 3, v0
	v_or_b32_e32 v8, 0xfffffc00, v0
	s_mov_b32 s0, 0
	s_delay_alu instid0(VALU_DEP_3) | instskip(NEXT) | instid1(VALU_DEP_3)
	v_mov_b32_e32 v2, v7
	v_add3_u32 v9, v1, 0, 0x2000
	v_mov_b32_e32 v1, 0
	v_mov_b32_e32 v3, v8
	s_waitcnt lgkmcnt(0)
	s_delay_alu instid0(VALU_DEP_3)
	v_dual_mov_b32 v5, v9 :: v_dual_mov_b32 v4, s33
.LBB208_12:                             ; =>This Inner Loop Header: Depth=1
	s_delay_alu instid0(VALU_DEP_2) | instskip(NEXT) | instid1(VALU_DEP_1)
	v_add_co_u32 v3, s1, 0x400, v3
	s_xor_b32 s1, s1, -1
	ds_store_b32 v2, v4
	ds_store_2addr_b32 v5, v1, v1 offset1:1
	v_add_nc_u32_e32 v5, 0x2000, v5
	v_add_nc_u32_e32 v2, 0x1000, v2
	s_and_b32 s1, exec_lo, s1
	s_delay_alu instid0(SALU_CYCLE_1) | instskip(NEXT) | instid1(SALU_CYCLE_1)
	s_or_b32 s0, s1, s0
	s_and_not1_b32 exec_lo, exec_lo, s0
	s_cbranch_execnz .LBB208_12
; %bb.13:
	s_or_b32 exec_lo, exec_lo, s0
	s_waitcnt lgkmcnt(0)
	s_barrier
	buffer_gl0_inv
	s_load_b32 s0, s[28:29], 0x0
	s_mov_b32 s1, 0
	v_lshrrev_b32_e32 v10, 5, v0
	s_waitcnt lgkmcnt(0)
	s_add_i32 s0, s0, s15
	s_delay_alu instid0(SALU_CYCLE_1) | instskip(NEXT) | instid1(SALU_CYCLE_1)
	s_lshl_b64 s[0:1], s[0:1], 2
	s_add_u32 s0, s30, s0
	s_addc_u32 s1, s31, s1
	s_and_b32 vcc_lo, exec_lo, s43
	s_load_b32 s42, s[0:1], 0x0
	s_cbranch_vccz .LBB208_33
; %bb.14:
	s_waitcnt lgkmcnt(0)
	s_ashr_i32 s43, s42, 31
	s_mov_b32 s8, exec_lo
	s_lshl_b64 s[0:1], s[42:43], 3
	s_delay_alu instid0(SALU_CYCLE_1) | instskip(SKIP_3) | instid1(VALU_DEP_1)
	s_add_u32 s0, s16, s0
	s_addc_u32 s1, s17, s1
	s_load_b128 s[28:31], s[0:1], 0x0
	v_sub_co_u32 v1, s0, v10, s36
	v_sub_co_ci_u32_e64 v2, null, 0, 0, s0
	s_waitcnt lgkmcnt(0)
	s_delay_alu instid0(VALU_DEP_2) | instskip(NEXT) | instid1(VALU_DEP_2)
	v_add_co_u32 v1, vcc_lo, s28, v1
	v_add_co_ci_u32_e32 v2, vcc_lo, s29, v2, vcc_lo
	s_sub_u32 s0, s30, s36
	s_subb_u32 s1, s31, 0
	s_delay_alu instid0(VALU_DEP_1) | instid1(SALU_CYCLE_1)
	v_cmpx_gt_i64_e64 s[0:1], v[1:2]
	s_cbranch_execz .LBB208_32
; %bb.15:
	v_and_b32_e32 v3, 31, v0
	s_mov_b32 s15, s37
	s_delay_alu instid0(VALU_DEP_1) | instskip(NEXT) | instid1(VALU_DEP_1)
	v_sub_co_u32 v11, s9, v3, s37
	v_sub_co_ci_u32_e64 v12, null, 0, 0, s9
	s_mov_b32 s9, 0
	s_branch .LBB208_17
.LBB208_16:                             ;   in Loop: Header=BB208_17 Depth=1
	s_or_b32 exec_lo, exec_lo, s16
	v_add_co_u32 v1, vcc_lo, v1, 32
	v_add_co_ci_u32_e32 v2, vcc_lo, 0, v2, vcc_lo
	s_delay_alu instid0(VALU_DEP_1) | instskip(SKIP_1) | instid1(SALU_CYCLE_1)
	v_cmp_le_i64_e32 vcc_lo, s[0:1], v[1:2]
	s_or_b32 s9, vcc_lo, s9
	s_and_not1_b32 exec_lo, exec_lo, s9
	s_cbranch_execz .LBB208_32
.LBB208_17:                             ; =>This Loop Header: Depth=1
                                        ;     Child Loop BB208_20 Depth 2
                                        ;       Child Loop BB208_22 Depth 3
	v_lshlrev_b64 v[3:4], 2, v[1:2]
	s_mov_b32 s16, exec_lo
	s_delay_alu instid0(VALU_DEP_1) | instskip(NEXT) | instid1(VALU_DEP_2)
	v_add_co_u32 v3, vcc_lo, s18, v3
	v_add_co_ci_u32_e32 v4, vcc_lo, s19, v4, vcc_lo
	global_load_b32 v3, v[3:4], off
	s_waitcnt vmcnt(0)
	v_subrev_nc_u32_e32 v3, s36, v3
	s_delay_alu instid0(VALU_DEP_1) | instskip(NEXT) | instid1(VALU_DEP_1)
	v_ashrrev_i32_e32 v4, 31, v3
	v_lshlrev_b64 v[3:4], 3, v[3:4]
	s_delay_alu instid0(VALU_DEP_1) | instskip(NEXT) | instid1(VALU_DEP_2)
	v_add_co_u32 v3, vcc_lo, s22, v3
	v_add_co_ci_u32_e32 v4, vcc_lo, s23, v4, vcc_lo
	global_load_b128 v[13:16], v[3:4], off
	s_waitcnt vmcnt(0)
	v_sub_co_u32 v3, vcc_lo, v15, s15
	v_subrev_co_ci_u32_e32 v4, vcc_lo, 0, v16, vcc_lo
	v_add_co_u32 v5, vcc_lo, v13, v11
	v_add_co_ci_u32_e32 v6, vcc_lo, v14, v12, vcc_lo
	s_delay_alu instid0(VALU_DEP_1)
	v_cmpx_lt_i64_e64 v[5:6], v[3:4]
	s_cbranch_execz .LBB208_16
; %bb.18:                               ;   in Loop: Header=BB208_17 Depth=1
	v_lshlrev_b64 v[13:14], 3, v[1:2]
	s_mov_b32 s17, 0
	s_delay_alu instid0(VALU_DEP_1) | instskip(NEXT) | instid1(VALU_DEP_2)
	v_add_co_u32 v13, vcc_lo, s20, v13
	v_add_co_ci_u32_e32 v14, vcc_lo, s21, v14, vcc_lo
	global_load_b64 v[15:16], v[13:14], off
	s_waitcnt vmcnt(0)
	v_mul_f32_e64 v13, v16, -s3
	s_delay_alu instid0(VALU_DEP_1) | instskip(NEXT) | instid1(VALU_DEP_1)
	v_dual_mul_f32 v14, s13, v16 :: v_dual_fmac_f32 v13, s13, v15
	v_fmac_f32_e32 v14, s3, v15
	s_branch .LBB208_20
.LBB208_19:                             ;   in Loop: Header=BB208_20 Depth=2
	s_or_b32 exec_lo, exec_lo, s28
	v_add_co_u32 v5, vcc_lo, v5, 32
	v_add_co_ci_u32_e32 v6, vcc_lo, 0, v6, vcc_lo
	s_delay_alu instid0(VALU_DEP_1) | instskip(SKIP_1) | instid1(SALU_CYCLE_1)
	v_cmp_ge_i64_e32 vcc_lo, v[5:6], v[3:4]
	s_or_b32 s17, vcc_lo, s17
	s_and_not1_b32 exec_lo, exec_lo, s17
	s_cbranch_execz .LBB208_16
.LBB208_20:                             ;   Parent Loop BB208_17 Depth=1
                                        ; =>  This Loop Header: Depth=2
                                        ;       Child Loop BB208_22 Depth 3
	v_lshlrev_b64 v[15:16], 2, v[5:6]
	v_lshlrev_b64 v[17:18], 3, v[5:6]
	s_mov_b32 s28, 0
	s_delay_alu instid0(VALU_DEP_2) | instskip(NEXT) | instid1(VALU_DEP_3)
	v_add_co_u32 v15, vcc_lo, s4, v15
	v_add_co_ci_u32_e32 v16, vcc_lo, s5, v16, vcc_lo
	global_load_b32 v20, v[15:16], off
	v_add_co_u32 v15, vcc_lo, s6, v17
	v_add_co_ci_u32_e32 v16, vcc_lo, s7, v18, vcc_lo
	global_load_b64 v[18:19], v[15:16], off
	s_waitcnt vmcnt(1)
	v_subrev_nc_u32_e32 v15, s37, v20
	s_delay_alu instid0(VALU_DEP_1) | instskip(SKIP_3) | instid1(VALU_DEP_2)
	v_mul_lo_u32 v20, 0x89, v15
	s_waitcnt vmcnt(0)
	v_mul_f32_e64 v16, v19, -v14
	v_mul_f32_e32 v17, v13, v19
	v_fmac_f32_e32 v16, v13, v18
	s_delay_alu instid0(VALU_DEP_2)
	v_dual_fmac_f32 v17, v14, v18 :: v_dual_and_b32 v18, 0x7ff, v20
	s_branch .LBB208_22
.LBB208_21:                             ;   in Loop: Header=BB208_22 Depth=3
	s_or_b32 exec_lo, exec_lo, s29
	s_xor_b32 s29, s30, -1
	s_delay_alu instid0(SALU_CYCLE_1) | instskip(NEXT) | instid1(SALU_CYCLE_1)
	s_and_b32 s29, exec_lo, s29
	s_or_b32 s28, s29, s28
	s_delay_alu instid0(SALU_CYCLE_1)
	s_and_not1_b32 exec_lo, exec_lo, s28
	s_cbranch_execz .LBB208_19
.LBB208_22:                             ;   Parent Loop BB208_17 Depth=1
                                        ;     Parent Loop BB208_20 Depth=2
                                        ; =>    This Inner Loop Header: Depth=3
	s_delay_alu instid0(VALU_DEP_1)
	v_lshl_add_u32 v19, v18, 2, 0
	s_mov_b32 s29, exec_lo
                                        ; implicit-def: $sgpr30
	ds_load_b32 v20, v19
	s_waitcnt lgkmcnt(0)
	v_cmpx_ne_u32_e64 v20, v15
	s_xor_b32 s29, exec_lo, s29
	s_cbranch_execz .LBB208_30
; %bb.23:                               ;   in Loop: Header=BB208_22 Depth=3
	s_mov_b32 s31, exec_lo
                                        ; implicit-def: $sgpr30
	v_cmpx_ne_u32_e64 s33, v20
	s_xor_b32 s31, exec_lo, s31
; %bb.24:                               ;   in Loop: Header=BB208_22 Depth=3
	v_add_nc_u32_e32 v18, 1, v18
	s_mov_b32 s30, -1
                                        ; implicit-def: $vgpr19
	s_delay_alu instid0(VALU_DEP_1)
	v_and_b32_e32 v18, 0x7ff, v18
; %bb.25:                               ;   in Loop: Header=BB208_22 Depth=3
	s_and_not1_saveexec_b32 s31, s31
	s_cbranch_execz .LBB208_29
; %bb.26:                               ;   in Loop: Header=BB208_22 Depth=3
	v_mov_b32_e32 v20, s33
	s_mov_b32 s43, -1
	s_mov_b32 s44, exec_lo
	ds_cmpstore_rtn_b32 v20, v19, v15, v20
	s_waitcnt lgkmcnt(0)
	v_cmpx_eq_u32_e64 s33, v20
	s_cbranch_execz .LBB208_28
; %bb.27:                               ;   in Loop: Header=BB208_22 Depth=3
	v_lshl_add_u32 v19, v18, 2, v19
	s_xor_b32 s43, exec_lo, -1
	ds_add_f32 v19, v16 offset:8192
	ds_add_f32 v19, v17 offset:8196
.LBB208_28:                             ;   in Loop: Header=BB208_22 Depth=3
	s_or_b32 exec_lo, exec_lo, s44
	s_delay_alu instid0(SALU_CYCLE_1) | instskip(SKIP_1) | instid1(SALU_CYCLE_1)
	s_and_not1_b32 s30, s30, exec_lo
	s_and_b32 s43, s43, exec_lo
	s_or_b32 s30, s30, s43
.LBB208_29:                             ;   in Loop: Header=BB208_22 Depth=3
	s_or_b32 exec_lo, exec_lo, s31
	s_delay_alu instid0(SALU_CYCLE_1)
	s_and_b32 s30, s30, exec_lo
                                        ; implicit-def: $vgpr19
.LBB208_30:                             ;   in Loop: Header=BB208_22 Depth=3
	s_and_not1_saveexec_b32 s29, s29
	s_cbranch_execz .LBB208_21
; %bb.31:                               ;   in Loop: Header=BB208_22 Depth=3
	v_lshl_add_u32 v19, v18, 2, v19
	s_and_not1_b32 s30, s30, exec_lo
	ds_add_f32 v19, v16 offset:8192
	ds_add_f32 v19, v17 offset:8196
	s_branch .LBB208_21
.LBB208_32:
	s_or_b32 exec_lo, exec_lo, s8
.LBB208_33:
	s_delay_alu instid0(SALU_CYCLE_1)
	s_and_not1_b32 vcc_lo, exec_lo, s14
	s_cbranch_vccnz .LBB208_36
; %bb.34:
	s_waitcnt lgkmcnt(0)
	s_ashr_i32 s43, s42, 31
	s_mov_b32 s3, exec_lo
	s_lshl_b64 s[0:1], s[42:43], 3
	s_delay_alu instid0(SALU_CYCLE_1) | instskip(SKIP_3) | instid1(VALU_DEP_1)
	s_add_u32 s0, s10, s0
	s_addc_u32 s1, s11, s1
	s_load_b128 s[4:7], s[0:1], 0x0
	v_sub_co_u32 v1, s0, v0, s39
	v_sub_co_ci_u32_e64 v2, null, 0, 0, s0
	s_waitcnt lgkmcnt(0)
	s_delay_alu instid0(VALU_DEP_2) | instskip(NEXT) | instid1(VALU_DEP_2)
	v_add_co_u32 v1, vcc_lo, s4, v1
	v_add_co_ci_u32_e32 v2, vcc_lo, s5, v2, vcc_lo
	s_sub_u32 s0, s6, s39
	s_subb_u32 s1, s7, 0
	s_mov_b32 s4, 0
	s_delay_alu instid0(VALU_DEP_1)
	v_cmpx_gt_i64_e64 s[0:1], v[1:2]
	s_cbranch_execnz .LBB208_105
.LBB208_35:
	s_or_b32 exec_lo, exec_lo, s3
.LBB208_36:
	v_mbcnt_lo_u32_b32 v1, -1, 0
	v_lshl_add_u32 v4, v10, 2, 0
	v_cmp_eq_u32_e32 vcc_lo, 0x3ff, v0
	v_cmp_lt_u32_e64 s0, 31, v0
	v_cmp_lt_u32_e64 s1, 63, v0
	v_xor_b32_e32 v1, 63, v1
	v_cmp_lt_u32_e64 s2, 0x5f, v0
	v_cmp_lt_u32_e64 s3, 0x7f, v0
	;; [unrolled: 1-line block ×4, first 2 shown]
	v_lshrrev_b64 v[1:2], v1, -1
	v_cmp_lt_u32_e64 s6, 0xdf, v0
	v_cmp_lt_u32_e64 s7, 0xff, v0
	;; [unrolled: 1-line block ×25, first 2 shown]
	v_dual_mov_b32 v5, 0 :: v_dual_mov_b32 v6, 0
	s_mov_b32 s36, 0
	s_waitcnt lgkmcnt(0)
	s_barrier
	buffer_gl0_inv
	s_branch .LBB208_38
.LBB208_37:                             ;   in Loop: Header=BB208_38 Depth=1
	s_or_b32 exec_lo, exec_lo, s31
	s_waitcnt lgkmcnt(0)
	s_barrier
	buffer_gl0_inv
	ds_load_b32 v2, v5 offset:24700
	v_add_co_u32 v8, s31, 0x400, v8
	s_delay_alu instid0(VALU_DEP_1) | instskip(SKIP_3) | instid1(SALU_CYCLE_1)
	s_xor_b32 s31, s31, -1
	v_add_nc_u32_e32 v9, 0x2000, v9
	v_add_nc_u32_e32 v7, 0x1000, v7
	s_and_b32 s31, exec_lo, s31
	s_or_b32 s36, s31, s36
	s_waitcnt lgkmcnt(0)
	v_add_nc_u32_e32 v6, v2, v6
	s_and_not1_b32 exec_lo, exec_lo, s36
	s_cbranch_execz .LBB208_117
.LBB208_38:                             ; =>This Inner Loop Header: Depth=1
	ds_load_b32 v10, v7
	ds_load_2addr_b32 v[2:3], v9 offset1:1
	s_waitcnt lgkmcnt(0)
	s_barrier
	buffer_gl0_inv
	v_cmp_gt_i32_e64 s31, s33, v10
	s_delay_alu instid0(VALU_DEP_1) | instskip(NEXT) | instid1(SALU_CYCLE_1)
	s_bcnt1_i32_b32 s37, s31
	v_dual_mov_b32 v12, s37 :: v_dual_and_b32 v11, s31, v1
	s_delay_alu instid0(VALU_DEP_1)
	v_bcnt_u32_b32 v11, v11, 0
	ds_store_b32 v4, v12 offset:24576
	s_waitcnt lgkmcnt(0)
	s_barrier
	buffer_gl0_inv
	s_and_saveexec_b32 s37, s0
	s_cbranch_execnz .LBB208_71
; %bb.39:                               ;   in Loop: Header=BB208_38 Depth=1
	s_or_b32 exec_lo, exec_lo, s37
	s_and_saveexec_b32 s37, s1
	s_cbranch_execnz .LBB208_72
.LBB208_40:                             ;   in Loop: Header=BB208_38 Depth=1
	s_or_b32 exec_lo, exec_lo, s37
	s_and_saveexec_b32 s37, s2
	s_cbranch_execnz .LBB208_73
.LBB208_41:                             ;   in Loop: Header=BB208_38 Depth=1
	s_or_b32 exec_lo, exec_lo, s37
	s_and_saveexec_b32 s37, s3
	s_cbranch_execnz .LBB208_74
.LBB208_42:                             ;   in Loop: Header=BB208_38 Depth=1
	s_or_b32 exec_lo, exec_lo, s37
	s_and_saveexec_b32 s37, s4
	s_cbranch_execnz .LBB208_75
.LBB208_43:                             ;   in Loop: Header=BB208_38 Depth=1
	s_or_b32 exec_lo, exec_lo, s37
	s_and_saveexec_b32 s37, s5
	s_cbranch_execnz .LBB208_76
.LBB208_44:                             ;   in Loop: Header=BB208_38 Depth=1
	s_or_b32 exec_lo, exec_lo, s37
	s_and_saveexec_b32 s37, s6
	s_cbranch_execnz .LBB208_77
.LBB208_45:                             ;   in Loop: Header=BB208_38 Depth=1
	s_or_b32 exec_lo, exec_lo, s37
	s_and_saveexec_b32 s37, s7
	s_cbranch_execnz .LBB208_78
.LBB208_46:                             ;   in Loop: Header=BB208_38 Depth=1
	s_or_b32 exec_lo, exec_lo, s37
	s_and_saveexec_b32 s37, s8
	s_cbranch_execnz .LBB208_79
.LBB208_47:                             ;   in Loop: Header=BB208_38 Depth=1
	s_or_b32 exec_lo, exec_lo, s37
	s_and_saveexec_b32 s37, s9
	s_cbranch_execnz .LBB208_80
.LBB208_48:                             ;   in Loop: Header=BB208_38 Depth=1
	s_or_b32 exec_lo, exec_lo, s37
	s_and_saveexec_b32 s37, s10
	s_cbranch_execnz .LBB208_81
.LBB208_49:                             ;   in Loop: Header=BB208_38 Depth=1
	s_or_b32 exec_lo, exec_lo, s37
	s_and_saveexec_b32 s37, s11
	s_cbranch_execnz .LBB208_82
.LBB208_50:                             ;   in Loop: Header=BB208_38 Depth=1
	s_or_b32 exec_lo, exec_lo, s37
	s_and_saveexec_b32 s37, s12
	s_cbranch_execnz .LBB208_83
.LBB208_51:                             ;   in Loop: Header=BB208_38 Depth=1
	s_or_b32 exec_lo, exec_lo, s37
	s_and_saveexec_b32 s37, s13
	s_cbranch_execnz .LBB208_84
.LBB208_52:                             ;   in Loop: Header=BB208_38 Depth=1
	s_or_b32 exec_lo, exec_lo, s37
	s_and_saveexec_b32 s37, s14
	s_cbranch_execnz .LBB208_85
.LBB208_53:                             ;   in Loop: Header=BB208_38 Depth=1
	s_or_b32 exec_lo, exec_lo, s37
	s_and_saveexec_b32 s37, s15
	s_cbranch_execnz .LBB208_86
.LBB208_54:                             ;   in Loop: Header=BB208_38 Depth=1
	s_or_b32 exec_lo, exec_lo, s37
	s_and_saveexec_b32 s37, s16
	s_cbranch_execnz .LBB208_87
.LBB208_55:                             ;   in Loop: Header=BB208_38 Depth=1
	s_or_b32 exec_lo, exec_lo, s37
	s_and_saveexec_b32 s37, s17
	s_cbranch_execnz .LBB208_88
.LBB208_56:                             ;   in Loop: Header=BB208_38 Depth=1
	s_or_b32 exec_lo, exec_lo, s37
	s_and_saveexec_b32 s37, s18
	s_cbranch_execnz .LBB208_89
.LBB208_57:                             ;   in Loop: Header=BB208_38 Depth=1
	s_or_b32 exec_lo, exec_lo, s37
	s_and_saveexec_b32 s37, s19
	s_cbranch_execnz .LBB208_90
.LBB208_58:                             ;   in Loop: Header=BB208_38 Depth=1
	s_or_b32 exec_lo, exec_lo, s37
	s_and_saveexec_b32 s37, s20
	s_cbranch_execnz .LBB208_91
.LBB208_59:                             ;   in Loop: Header=BB208_38 Depth=1
	s_or_b32 exec_lo, exec_lo, s37
	s_and_saveexec_b32 s37, s21
	s_cbranch_execnz .LBB208_92
.LBB208_60:                             ;   in Loop: Header=BB208_38 Depth=1
	s_or_b32 exec_lo, exec_lo, s37
	s_and_saveexec_b32 s37, s22
	s_cbranch_execnz .LBB208_93
.LBB208_61:                             ;   in Loop: Header=BB208_38 Depth=1
	s_or_b32 exec_lo, exec_lo, s37
	s_and_saveexec_b32 s37, s23
	s_cbranch_execnz .LBB208_94
.LBB208_62:                             ;   in Loop: Header=BB208_38 Depth=1
	s_or_b32 exec_lo, exec_lo, s37
	s_and_saveexec_b32 s37, s24
	s_cbranch_execnz .LBB208_95
.LBB208_63:                             ;   in Loop: Header=BB208_38 Depth=1
	s_or_b32 exec_lo, exec_lo, s37
	s_and_saveexec_b32 s37, s25
	s_cbranch_execnz .LBB208_96
.LBB208_64:                             ;   in Loop: Header=BB208_38 Depth=1
	s_or_b32 exec_lo, exec_lo, s37
	s_and_saveexec_b32 s37, s26
	s_cbranch_execnz .LBB208_97
.LBB208_65:                             ;   in Loop: Header=BB208_38 Depth=1
	s_or_b32 exec_lo, exec_lo, s37
	s_and_saveexec_b32 s37, s27
	s_cbranch_execnz .LBB208_98
.LBB208_66:                             ;   in Loop: Header=BB208_38 Depth=1
	s_or_b32 exec_lo, exec_lo, s37
	s_and_saveexec_b32 s37, s28
	s_cbranch_execnz .LBB208_99
.LBB208_67:                             ;   in Loop: Header=BB208_38 Depth=1
	s_or_b32 exec_lo, exec_lo, s37
	s_and_saveexec_b32 s37, s29
	s_cbranch_execnz .LBB208_100
.LBB208_68:                             ;   in Loop: Header=BB208_38 Depth=1
	s_or_b32 exec_lo, exec_lo, s37
	s_and_saveexec_b32 s37, s30
	s_cbranch_execnz .LBB208_101
.LBB208_69:                             ;   in Loop: Header=BB208_38 Depth=1
	s_or_b32 exec_lo, exec_lo, s37
	s_and_saveexec_b32 s37, s31
	s_cbranch_execnz .LBB208_102
.LBB208_70:                             ;   in Loop: Header=BB208_38 Depth=1
	s_or_b32 exec_lo, exec_lo, s37
	s_and_saveexec_b32 s31, vcc_lo
	s_cbranch_execz .LBB208_37
	s_branch .LBB208_103
.LBB208_71:                             ;   in Loop: Header=BB208_38 Depth=1
	ds_load_b32 v12, v5 offset:24576
	s_waitcnt lgkmcnt(0)
	v_add_nc_u32_e32 v11, v12, v11
	s_or_b32 exec_lo, exec_lo, s37
	s_and_saveexec_b32 s37, s1
	s_cbranch_execz .LBB208_40
.LBB208_72:                             ;   in Loop: Header=BB208_38 Depth=1
	ds_load_b32 v12, v5 offset:24580
	s_waitcnt lgkmcnt(0)
	v_add_nc_u32_e32 v11, v12, v11
	s_or_b32 exec_lo, exec_lo, s37
	s_and_saveexec_b32 s37, s2
	s_cbranch_execz .LBB208_41
.LBB208_73:                             ;   in Loop: Header=BB208_38 Depth=1
	ds_load_b32 v12, v5 offset:24584
	s_waitcnt lgkmcnt(0)
	v_add_nc_u32_e32 v11, v12, v11
	s_or_b32 exec_lo, exec_lo, s37
	s_and_saveexec_b32 s37, s3
	s_cbranch_execz .LBB208_42
.LBB208_74:                             ;   in Loop: Header=BB208_38 Depth=1
	ds_load_b32 v12, v5 offset:24588
	s_waitcnt lgkmcnt(0)
	v_add_nc_u32_e32 v11, v12, v11
	s_or_b32 exec_lo, exec_lo, s37
	s_and_saveexec_b32 s37, s4
	s_cbranch_execz .LBB208_43
.LBB208_75:                             ;   in Loop: Header=BB208_38 Depth=1
	ds_load_b32 v12, v5 offset:24592
	s_waitcnt lgkmcnt(0)
	v_add_nc_u32_e32 v11, v12, v11
	s_or_b32 exec_lo, exec_lo, s37
	s_and_saveexec_b32 s37, s5
	s_cbranch_execz .LBB208_44
.LBB208_76:                             ;   in Loop: Header=BB208_38 Depth=1
	ds_load_b32 v12, v5 offset:24596
	s_waitcnt lgkmcnt(0)
	v_add_nc_u32_e32 v11, v12, v11
	s_or_b32 exec_lo, exec_lo, s37
	s_and_saveexec_b32 s37, s6
	s_cbranch_execz .LBB208_45
.LBB208_77:                             ;   in Loop: Header=BB208_38 Depth=1
	ds_load_b32 v12, v5 offset:24600
	s_waitcnt lgkmcnt(0)
	v_add_nc_u32_e32 v11, v12, v11
	s_or_b32 exec_lo, exec_lo, s37
	s_and_saveexec_b32 s37, s7
	s_cbranch_execz .LBB208_46
.LBB208_78:                             ;   in Loop: Header=BB208_38 Depth=1
	ds_load_b32 v12, v5 offset:24604
	s_waitcnt lgkmcnt(0)
	v_add_nc_u32_e32 v11, v12, v11
	s_or_b32 exec_lo, exec_lo, s37
	s_and_saveexec_b32 s37, s8
	s_cbranch_execz .LBB208_47
.LBB208_79:                             ;   in Loop: Header=BB208_38 Depth=1
	ds_load_b32 v12, v5 offset:24608
	s_waitcnt lgkmcnt(0)
	v_add_nc_u32_e32 v11, v12, v11
	s_or_b32 exec_lo, exec_lo, s37
	s_and_saveexec_b32 s37, s9
	s_cbranch_execz .LBB208_48
.LBB208_80:                             ;   in Loop: Header=BB208_38 Depth=1
	ds_load_b32 v12, v5 offset:24612
	s_waitcnt lgkmcnt(0)
	v_add_nc_u32_e32 v11, v12, v11
	s_or_b32 exec_lo, exec_lo, s37
	s_and_saveexec_b32 s37, s10
	s_cbranch_execz .LBB208_49
.LBB208_81:                             ;   in Loop: Header=BB208_38 Depth=1
	ds_load_b32 v12, v5 offset:24616
	s_waitcnt lgkmcnt(0)
	v_add_nc_u32_e32 v11, v12, v11
	s_or_b32 exec_lo, exec_lo, s37
	s_and_saveexec_b32 s37, s11
	s_cbranch_execz .LBB208_50
.LBB208_82:                             ;   in Loop: Header=BB208_38 Depth=1
	ds_load_b32 v12, v5 offset:24620
	s_waitcnt lgkmcnt(0)
	v_add_nc_u32_e32 v11, v12, v11
	s_or_b32 exec_lo, exec_lo, s37
	s_and_saveexec_b32 s37, s12
	s_cbranch_execz .LBB208_51
.LBB208_83:                             ;   in Loop: Header=BB208_38 Depth=1
	ds_load_b32 v12, v5 offset:24624
	s_waitcnt lgkmcnt(0)
	v_add_nc_u32_e32 v11, v12, v11
	s_or_b32 exec_lo, exec_lo, s37
	s_and_saveexec_b32 s37, s13
	s_cbranch_execz .LBB208_52
.LBB208_84:                             ;   in Loop: Header=BB208_38 Depth=1
	ds_load_b32 v12, v5 offset:24628
	s_waitcnt lgkmcnt(0)
	v_add_nc_u32_e32 v11, v12, v11
	s_or_b32 exec_lo, exec_lo, s37
	s_and_saveexec_b32 s37, s14
	s_cbranch_execz .LBB208_53
.LBB208_85:                             ;   in Loop: Header=BB208_38 Depth=1
	ds_load_b32 v12, v5 offset:24632
	s_waitcnt lgkmcnt(0)
	v_add_nc_u32_e32 v11, v12, v11
	s_or_b32 exec_lo, exec_lo, s37
	s_and_saveexec_b32 s37, s15
	s_cbranch_execz .LBB208_54
.LBB208_86:                             ;   in Loop: Header=BB208_38 Depth=1
	ds_load_b32 v12, v5 offset:24636
	s_waitcnt lgkmcnt(0)
	v_add_nc_u32_e32 v11, v12, v11
	s_or_b32 exec_lo, exec_lo, s37
	s_and_saveexec_b32 s37, s16
	s_cbranch_execz .LBB208_55
.LBB208_87:                             ;   in Loop: Header=BB208_38 Depth=1
	ds_load_b32 v12, v5 offset:24640
	s_waitcnt lgkmcnt(0)
	v_add_nc_u32_e32 v11, v12, v11
	s_or_b32 exec_lo, exec_lo, s37
	s_and_saveexec_b32 s37, s17
	s_cbranch_execz .LBB208_56
.LBB208_88:                             ;   in Loop: Header=BB208_38 Depth=1
	ds_load_b32 v12, v5 offset:24644
	s_waitcnt lgkmcnt(0)
	v_add_nc_u32_e32 v11, v12, v11
	s_or_b32 exec_lo, exec_lo, s37
	s_and_saveexec_b32 s37, s18
	s_cbranch_execz .LBB208_57
.LBB208_89:                             ;   in Loop: Header=BB208_38 Depth=1
	ds_load_b32 v12, v5 offset:24648
	s_waitcnt lgkmcnt(0)
	v_add_nc_u32_e32 v11, v12, v11
	s_or_b32 exec_lo, exec_lo, s37
	s_and_saveexec_b32 s37, s19
	s_cbranch_execz .LBB208_58
.LBB208_90:                             ;   in Loop: Header=BB208_38 Depth=1
	ds_load_b32 v12, v5 offset:24652
	s_waitcnt lgkmcnt(0)
	v_add_nc_u32_e32 v11, v12, v11
	s_or_b32 exec_lo, exec_lo, s37
	s_and_saveexec_b32 s37, s20
	s_cbranch_execz .LBB208_59
.LBB208_91:                             ;   in Loop: Header=BB208_38 Depth=1
	ds_load_b32 v12, v5 offset:24656
	s_waitcnt lgkmcnt(0)
	v_add_nc_u32_e32 v11, v12, v11
	s_or_b32 exec_lo, exec_lo, s37
	s_and_saveexec_b32 s37, s21
	s_cbranch_execz .LBB208_60
.LBB208_92:                             ;   in Loop: Header=BB208_38 Depth=1
	ds_load_b32 v12, v5 offset:24660
	s_waitcnt lgkmcnt(0)
	v_add_nc_u32_e32 v11, v12, v11
	s_or_b32 exec_lo, exec_lo, s37
	s_and_saveexec_b32 s37, s22
	s_cbranch_execz .LBB208_61
.LBB208_93:                             ;   in Loop: Header=BB208_38 Depth=1
	ds_load_b32 v12, v5 offset:24664
	s_waitcnt lgkmcnt(0)
	v_add_nc_u32_e32 v11, v12, v11
	s_or_b32 exec_lo, exec_lo, s37
	s_and_saveexec_b32 s37, s23
	s_cbranch_execz .LBB208_62
.LBB208_94:                             ;   in Loop: Header=BB208_38 Depth=1
	ds_load_b32 v12, v5 offset:24668
	s_waitcnt lgkmcnt(0)
	v_add_nc_u32_e32 v11, v12, v11
	s_or_b32 exec_lo, exec_lo, s37
	s_and_saveexec_b32 s37, s24
	s_cbranch_execz .LBB208_63
.LBB208_95:                             ;   in Loop: Header=BB208_38 Depth=1
	ds_load_b32 v12, v5 offset:24672
	s_waitcnt lgkmcnt(0)
	v_add_nc_u32_e32 v11, v12, v11
	s_or_b32 exec_lo, exec_lo, s37
	s_and_saveexec_b32 s37, s25
	s_cbranch_execz .LBB208_64
.LBB208_96:                             ;   in Loop: Header=BB208_38 Depth=1
	ds_load_b32 v12, v5 offset:24676
	s_waitcnt lgkmcnt(0)
	v_add_nc_u32_e32 v11, v12, v11
	s_or_b32 exec_lo, exec_lo, s37
	s_and_saveexec_b32 s37, s26
	s_cbranch_execz .LBB208_65
.LBB208_97:                             ;   in Loop: Header=BB208_38 Depth=1
	ds_load_b32 v12, v5 offset:24680
	s_waitcnt lgkmcnt(0)
	v_add_nc_u32_e32 v11, v12, v11
	s_or_b32 exec_lo, exec_lo, s37
	s_and_saveexec_b32 s37, s27
	s_cbranch_execz .LBB208_66
.LBB208_98:                             ;   in Loop: Header=BB208_38 Depth=1
	ds_load_b32 v12, v5 offset:24684
	s_waitcnt lgkmcnt(0)
	v_add_nc_u32_e32 v11, v12, v11
	s_or_b32 exec_lo, exec_lo, s37
	s_and_saveexec_b32 s37, s28
	s_cbranch_execz .LBB208_67
.LBB208_99:                             ;   in Loop: Header=BB208_38 Depth=1
	ds_load_b32 v12, v5 offset:24688
	s_waitcnt lgkmcnt(0)
	v_add_nc_u32_e32 v11, v12, v11
	s_or_b32 exec_lo, exec_lo, s37
	s_and_saveexec_b32 s37, s29
	s_cbranch_execz .LBB208_68
.LBB208_100:                            ;   in Loop: Header=BB208_38 Depth=1
	ds_load_b32 v12, v5 offset:24692
	s_waitcnt lgkmcnt(0)
	v_add_nc_u32_e32 v11, v12, v11
	s_or_b32 exec_lo, exec_lo, s37
	s_and_saveexec_b32 s37, s30
	s_cbranch_execz .LBB208_69
.LBB208_101:                            ;   in Loop: Header=BB208_38 Depth=1
	ds_load_b32 v12, v5 offset:24696
	s_waitcnt lgkmcnt(0)
	v_add_nc_u32_e32 v11, v12, v11
	s_or_b32 exec_lo, exec_lo, s37
	s_and_saveexec_b32 s37, s31
	s_cbranch_execz .LBB208_70
.LBB208_102:                            ;   in Loop: Header=BB208_38 Depth=1
	s_delay_alu instid0(VALU_DEP_1) | instskip(NEXT) | instid1(VALU_DEP_1)
	v_add3_u32 v12, v6, -1, v11
	v_lshlrev_b32_e32 v13, 3, v12
	v_lshl_add_u32 v12, v12, 2, 0
	s_delay_alu instid0(VALU_DEP_2)
	v_add3_u32 v13, 0, v13, 0x2000
	ds_store_b32 v12, v10
	ds_store_2addr_b32 v13, v2, v3 offset1:1
	s_or_b32 exec_lo, exec_lo, s37
	s_and_saveexec_b32 s31, vcc_lo
	s_cbranch_execz .LBB208_37
.LBB208_103:                            ;   in Loop: Header=BB208_38 Depth=1
	ds_store_b32 v5, v11 offset:24700
	s_branch .LBB208_37
.LBB208_104:                            ;   in Loop: Header=BB208_105 Depth=1
	s_or_b32 exec_lo, exec_lo, s5
	v_add_co_u32 v1, vcc_lo, 0x400, v1
	v_add_co_ci_u32_e32 v2, vcc_lo, 0, v2, vcc_lo
	s_delay_alu instid0(VALU_DEP_1) | instskip(SKIP_1) | instid1(SALU_CYCLE_1)
	v_cmp_le_i64_e32 vcc_lo, s[0:1], v[1:2]
	s_or_b32 s4, vcc_lo, s4
	s_and_not1_b32 exec_lo, exec_lo, s4
	s_cbranch_execz .LBB208_35
.LBB208_105:                            ; =>This Loop Header: Depth=1
                                        ;     Child Loop BB208_107 Depth 2
	v_lshlrev_b64 v[3:4], 2, v[1:2]
	v_lshlrev_b64 v[5:6], 3, v[1:2]
	s_mov_b32 s5, 0
	s_delay_alu instid0(VALU_DEP_2) | instskip(NEXT) | instid1(VALU_DEP_3)
	v_add_co_u32 v3, vcc_lo, s24, v3
	v_add_co_ci_u32_e32 v4, vcc_lo, s25, v4, vcc_lo
	global_load_b32 v13, v[3:4], off
	v_add_co_u32 v3, vcc_lo, s26, v5
	v_add_co_ci_u32_e32 v4, vcc_lo, s27, v6, vcc_lo
	global_load_b64 v[11:12], v[3:4], off
	s_waitcnt vmcnt(1)
	v_subrev_nc_u32_e32 v3, s39, v13
	s_delay_alu instid0(VALU_DEP_1) | instskip(SKIP_2) | instid1(VALU_DEP_1)
	v_mul_lo_u32 v6, 0x89, v3
	s_waitcnt vmcnt(0)
	v_mul_f32_e64 v4, v12, -s12
	v_dual_mul_f32 v5, s2, v12 :: v_dual_fmac_f32 v4, s2, v11
	s_delay_alu instid0(VALU_DEP_1)
	v_dual_fmac_f32 v5, s12, v11 :: v_dual_and_b32 v6, 0x7ff, v6
	s_branch .LBB208_107
.LBB208_106:                            ;   in Loop: Header=BB208_107 Depth=2
	s_or_b32 exec_lo, exec_lo, s6
	s_xor_b32 s6, s7, -1
	s_delay_alu instid0(SALU_CYCLE_1) | instskip(NEXT) | instid1(SALU_CYCLE_1)
	s_and_b32 s6, exec_lo, s6
	s_or_b32 s5, s6, s5
	s_delay_alu instid0(SALU_CYCLE_1)
	s_and_not1_b32 exec_lo, exec_lo, s5
	s_cbranch_execz .LBB208_104
.LBB208_107:                            ;   Parent Loop BB208_105 Depth=1
                                        ; =>  This Inner Loop Header: Depth=2
	s_delay_alu instid0(VALU_DEP_1)
	v_lshl_add_u32 v11, v6, 2, 0
	s_mov_b32 s6, exec_lo
                                        ; implicit-def: $sgpr7
	ds_load_b32 v12, v11
	s_waitcnt lgkmcnt(0)
	v_cmpx_ne_u32_e64 v12, v3
	s_xor_b32 s6, exec_lo, s6
	s_cbranch_execz .LBB208_115
; %bb.108:                              ;   in Loop: Header=BB208_107 Depth=2
	s_mov_b32 s8, exec_lo
                                        ; implicit-def: $sgpr7
	v_cmpx_ne_u32_e64 s33, v12
	s_xor_b32 s8, exec_lo, s8
; %bb.109:                              ;   in Loop: Header=BB208_107 Depth=2
	v_add_nc_u32_e32 v6, 1, v6
	s_mov_b32 s7, -1
                                        ; implicit-def: $vgpr11
	s_delay_alu instid0(VALU_DEP_1)
	v_and_b32_e32 v6, 0x7ff, v6
; %bb.110:                              ;   in Loop: Header=BB208_107 Depth=2
	s_and_not1_saveexec_b32 s8, s8
	s_cbranch_execz .LBB208_114
; %bb.111:                              ;   in Loop: Header=BB208_107 Depth=2
	v_mov_b32_e32 v12, s33
	s_mov_b32 s9, -1
	s_mov_b32 s10, exec_lo
	ds_cmpstore_rtn_b32 v12, v11, v3, v12
	s_waitcnt lgkmcnt(0)
	v_cmpx_eq_u32_e64 s33, v12
	s_cbranch_execz .LBB208_113
; %bb.112:                              ;   in Loop: Header=BB208_107 Depth=2
	v_lshl_add_u32 v11, v6, 2, v11
	s_xor_b32 s9, exec_lo, -1
	ds_add_f32 v11, v4 offset:8192
	ds_add_f32 v11, v5 offset:8196
.LBB208_113:                            ;   in Loop: Header=BB208_107 Depth=2
	s_or_b32 exec_lo, exec_lo, s10
	s_delay_alu instid0(SALU_CYCLE_1) | instskip(SKIP_1) | instid1(SALU_CYCLE_1)
	s_and_not1_b32 s7, s7, exec_lo
	s_and_b32 s9, s9, exec_lo
	s_or_b32 s7, s7, s9
.LBB208_114:                            ;   in Loop: Header=BB208_107 Depth=2
	s_or_b32 exec_lo, exec_lo, s8
	s_delay_alu instid0(SALU_CYCLE_1)
	s_and_b32 s7, s7, exec_lo
                                        ; implicit-def: $vgpr11
.LBB208_115:                            ;   in Loop: Header=BB208_107 Depth=2
	s_and_not1_saveexec_b32 s6, s6
	s_cbranch_execz .LBB208_106
; %bb.116:                              ;   in Loop: Header=BB208_107 Depth=2
	v_lshl_add_u32 v11, v6, 2, v11
	s_and_not1_b32 s7, s7, exec_lo
	ds_add_f32 v11, v4 offset:8192
	ds_add_f32 v11, v5 offset:8196
	s_branch .LBB208_106
.LBB208_117:
	s_or_b32 exec_lo, exec_lo, s36
	s_ashr_i32 s43, s42, 31
	s_mov_b32 s4, exec_lo
	s_lshl_b64 s[0:1], s[42:43], 3
	s_delay_alu instid0(SALU_CYCLE_1) | instskip(SKIP_4) | instid1(SALU_CYCLE_1)
	s_add_u32 s0, s40, s0
	s_addc_u32 s1, s41, s1
	s_load_b128 s[0:3], s[0:1], 0x0
	s_waitcnt lgkmcnt(0)
	s_sub_i32 s3, s2, s0
	v_cmpx_gt_i32_e64 s3, v0
	s_cbranch_execz .LBB208_127
; %bb.118:
	s_sub_u32 s4, s0, s38
	s_subb_u32 s5, s1, 0
	s_sub_i32 s0, s0, s2
	s_and_b32 s1, s3, 7
	s_cmp_lt_u32 s0, -7
	s_mov_b32 s8, 0
	s_cselect_b32 s2, -1, 0
	s_and_b32 s6, s3, -8
	s_cmp_lg_u32 s1, 0
	s_cselect_b32 s7, -1, 0
	s_branch .LBB208_120
.LBB208_119:                            ;   in Loop: Header=BB208_120 Depth=1
	s_delay_alu instid0(VALU_DEP_1) | instskip(SKIP_1) | instid1(VALU_DEP_1)
	v_lshlrev_b64 v[3:4], 3, v[3:4]
	v_add_nc_u32_e32 v0, 0x400, v0
	v_cmp_le_i32_e32 vcc_lo, s3, v0
	s_delay_alu instid0(VALU_DEP_3) | instskip(NEXT) | instid1(VALU_DEP_1)
	v_add_co_u32 v3, s0, s34, v3
	v_add_co_ci_u32_e64 v4, s0, s35, v4, s0
	s_or_b32 s8, vcc_lo, s8
	s_waitcnt lgkmcnt(0)
	global_store_b64 v[3:4], v[1:2], off
	s_and_not1_b32 exec_lo, exec_lo, s8
	s_cbranch_execz .LBB208_127
.LBB208_120:                            ; =>This Loop Header: Depth=1
                                        ;     Child Loop BB208_122 Depth 2
                                        ;     Child Loop BB208_126 Depth 2
	v_lshlrev_b32_e32 v1, 2, v0
	v_dual_mov_b32 v3, s4 :: v_dual_mov_b32 v4, s5
	s_and_not1_b32 vcc_lo, exec_lo, s2
	s_mov_b32 s0, 0
	s_delay_alu instid0(VALU_DEP_2) | instskip(NEXT) | instid1(VALU_DEP_1)
	v_add_nc_u32_e32 v2, 0, v1
	v_add3_u32 v1, v2, v1, 0x2000
	ds_load_b32 v5, v2
	ds_load_2addr_b32 v[1:2], v1 offset1:1
	s_cbranch_vccnz .LBB208_124
; %bb.121:                              ;   in Loop: Header=BB208_120 Depth=1
	v_dual_mov_b32 v3, s4 :: v_dual_mov_b32 v4, s5
	s_mov_b32 s9, 0
	s_mov_b32 s10, 0
.LBB208_122:                            ;   Parent Loop BB208_120 Depth=1
                                        ; =>  This Inner Loop Header: Depth=2
	s_delay_alu instid0(SALU_CYCLE_1)
	v_mov_b32_e32 v12, s10
	s_add_i32 s9, s9, 8
	s_add_i32 s10, s10, 32
	s_cmp_eq_u32 s6, s9
	ds_load_2addr_b32 v[6:7], v12 offset1:1
	ds_load_2addr_b32 v[8:9], v12 offset0:2 offset1:3
	ds_load_2addr_b32 v[10:11], v12 offset0:4 offset1:5
	;; [unrolled: 1-line block ×3, first 2 shown]
	s_waitcnt lgkmcnt(3)
	v_cmp_gt_i32_e32 vcc_lo, v5, v6
	v_cndmask_b32_e64 v6, 0, 1, vcc_lo
	v_cmp_gt_i32_e32 vcc_lo, v5, v7
	v_cndmask_b32_e64 v7, 0, 1, vcc_lo
	s_waitcnt lgkmcnt(2)
	v_cmp_gt_i32_e32 vcc_lo, v5, v8
	v_cndmask_b32_e64 v8, 0, 1, vcc_lo
	v_cmp_gt_i32_e32 vcc_lo, v5, v9
	v_cndmask_b32_e64 v9, 0, 1, vcc_lo
	s_waitcnt lgkmcnt(1)
	v_cmp_gt_i32_e32 vcc_lo, v5, v10
	v_cndmask_b32_e64 v10, 0, 1, vcc_lo
	v_add_co_u32 v3, vcc_lo, v3, v6
	v_add_co_ci_u32_e32 v4, vcc_lo, 0, v4, vcc_lo
	v_cmp_gt_i32_e32 vcc_lo, v5, v11
	s_delay_alu instid0(VALU_DEP_3) | instskip(NEXT) | instid1(VALU_DEP_1)
	v_add_co_u32 v3, s0, v3, v7
	v_add_co_ci_u32_e64 v4, s0, 0, v4, s0
	v_cndmask_b32_e64 v6, 0, 1, vcc_lo
	s_delay_alu instid0(VALU_DEP_3) | instskip(NEXT) | instid1(VALU_DEP_3)
	v_add_co_u32 v3, vcc_lo, v3, v8
	v_add_co_ci_u32_e32 v4, vcc_lo, 0, v4, vcc_lo
	s_waitcnt lgkmcnt(0)
	v_cmp_gt_i32_e32 vcc_lo, v5, v12
	s_delay_alu instid0(VALU_DEP_3) | instskip(NEXT) | instid1(VALU_DEP_1)
	v_add_co_u32 v3, s0, v3, v9
	v_add_co_ci_u32_e64 v4, s0, 0, v4, s0
	v_cndmask_b32_e64 v7, 0, 1, vcc_lo
	s_delay_alu instid0(VALU_DEP_3) | instskip(NEXT) | instid1(VALU_DEP_3)
	v_add_co_u32 v3, vcc_lo, v3, v10
	v_add_co_ci_u32_e32 v4, vcc_lo, 0, v4, vcc_lo
	v_cmp_gt_i32_e32 vcc_lo, v5, v13
	s_delay_alu instid0(VALU_DEP_3) | instskip(NEXT) | instid1(VALU_DEP_1)
	v_add_co_u32 v3, s0, v3, v6
	v_add_co_ci_u32_e64 v4, s0, 0, v4, s0
	v_cndmask_b32_e64 v6, 0, 1, vcc_lo
	s_delay_alu instid0(VALU_DEP_3) | instskip(NEXT) | instid1(VALU_DEP_3)
	v_add_co_u32 v3, vcc_lo, v3, v7
	v_add_co_ci_u32_e32 v4, vcc_lo, 0, v4, vcc_lo
	s_delay_alu instid0(VALU_DEP_2) | instskip(NEXT) | instid1(VALU_DEP_2)
	v_add_co_u32 v3, vcc_lo, v3, v6
	v_add_co_ci_u32_e32 v4, vcc_lo, 0, v4, vcc_lo
	s_cbranch_scc0 .LBB208_122
; %bb.123:                              ;   in Loop: Header=BB208_120 Depth=1
	s_mov_b32 s0, s6
.LBB208_124:                            ;   in Loop: Header=BB208_120 Depth=1
	s_and_not1_b32 vcc_lo, exec_lo, s7
	s_cbranch_vccnz .LBB208_119
; %bb.125:                              ;   in Loop: Header=BB208_120 Depth=1
	s_lshl_b32 s0, s0, 2
	s_mov_b32 s9, s1
	s_add_i32 s0, s0, 0
.LBB208_126:                            ;   Parent Loop BB208_120 Depth=1
                                        ; =>  This Inner Loop Header: Depth=2
	s_delay_alu instid0(SALU_CYCLE_1)
	v_mov_b32_e32 v6, s0
	s_add_i32 s9, s9, -1
	s_add_i32 s0, s0, 4
	s_cmp_lg_u32 s9, 0
	ds_load_b32 v6, v6
	s_waitcnt lgkmcnt(0)
	v_cmp_gt_i32_e32 vcc_lo, v5, v6
	v_cndmask_b32_e64 v6, 0, 1, vcc_lo
	s_delay_alu instid0(VALU_DEP_1)
	v_add_co_u32 v3, vcc_lo, v3, v6
	v_add_co_ci_u32_e32 v4, vcc_lo, 0, v4, vcc_lo
	s_cbranch_scc1 .LBB208_126
	s_branch .LBB208_119
.LBB208_127:
	s_nop 0
	s_sendmsg sendmsg(MSG_DEALLOC_VGPRS)
	s_endpgm
	.section	.rodata,"a",@progbits
	.p2align	6, 0x0
	.amdhsa_kernel _ZN9rocsparseL41csrgemm_numeric_fill_block_per_row_kernelILj1024ELj32ELj2048ELj137ELj32Eli21rocsparse_complex_numIfEEEvT5_PKS3_S5_NS_24const_host_device_scalarIT6_EEPKT4_S5_PKS7_SB_S5_SD_S8_SB_S5_SD_SB_S5_PS7_21rocsparse_index_base_SF_SF_SF_bbb
		.amdhsa_group_segment_fixed_size 0
		.amdhsa_private_segment_fixed_size 0
		.amdhsa_kernarg_size 156
		.amdhsa_user_sgpr_count 15
		.amdhsa_user_sgpr_dispatch_ptr 0
		.amdhsa_user_sgpr_queue_ptr 0
		.amdhsa_user_sgpr_kernarg_segment_ptr 1
		.amdhsa_user_sgpr_dispatch_id 0
		.amdhsa_user_sgpr_private_segment_size 0
		.amdhsa_wavefront_size32 1
		.amdhsa_uses_dynamic_stack 0
		.amdhsa_enable_private_segment 0
		.amdhsa_system_sgpr_workgroup_id_x 1
		.amdhsa_system_sgpr_workgroup_id_y 0
		.amdhsa_system_sgpr_workgroup_id_z 0
		.amdhsa_system_sgpr_workgroup_info 0
		.amdhsa_system_vgpr_workitem_id 0
		.amdhsa_next_free_vgpr 21
		.amdhsa_next_free_sgpr 45
		.amdhsa_reserve_vcc 1
		.amdhsa_float_round_mode_32 0
		.amdhsa_float_round_mode_16_64 0
		.amdhsa_float_denorm_mode_32 3
		.amdhsa_float_denorm_mode_16_64 3
		.amdhsa_dx10_clamp 1
		.amdhsa_ieee_mode 1
		.amdhsa_fp16_overflow 0
		.amdhsa_workgroup_processor_mode 1
		.amdhsa_memory_ordered 1
		.amdhsa_forward_progress 0
		.amdhsa_shared_vgpr_count 0
		.amdhsa_exception_fp_ieee_invalid_op 0
		.amdhsa_exception_fp_denorm_src 0
		.amdhsa_exception_fp_ieee_div_zero 0
		.amdhsa_exception_fp_ieee_overflow 0
		.amdhsa_exception_fp_ieee_underflow 0
		.amdhsa_exception_fp_ieee_inexact 0
		.amdhsa_exception_int_div_zero 0
	.end_amdhsa_kernel
	.section	.text._ZN9rocsparseL41csrgemm_numeric_fill_block_per_row_kernelILj1024ELj32ELj2048ELj137ELj32Eli21rocsparse_complex_numIfEEEvT5_PKS3_S5_NS_24const_host_device_scalarIT6_EEPKT4_S5_PKS7_SB_S5_SD_S8_SB_S5_SD_SB_S5_PS7_21rocsparse_index_base_SF_SF_SF_bbb,"axG",@progbits,_ZN9rocsparseL41csrgemm_numeric_fill_block_per_row_kernelILj1024ELj32ELj2048ELj137ELj32Eli21rocsparse_complex_numIfEEEvT5_PKS3_S5_NS_24const_host_device_scalarIT6_EEPKT4_S5_PKS7_SB_S5_SD_S8_SB_S5_SD_SB_S5_PS7_21rocsparse_index_base_SF_SF_SF_bbb,comdat
.Lfunc_end208:
	.size	_ZN9rocsparseL41csrgemm_numeric_fill_block_per_row_kernelILj1024ELj32ELj2048ELj137ELj32Eli21rocsparse_complex_numIfEEEvT5_PKS3_S5_NS_24const_host_device_scalarIT6_EEPKT4_S5_PKS7_SB_S5_SD_S8_SB_S5_SD_SB_S5_PS7_21rocsparse_index_base_SF_SF_SF_bbb, .Lfunc_end208-_ZN9rocsparseL41csrgemm_numeric_fill_block_per_row_kernelILj1024ELj32ELj2048ELj137ELj32Eli21rocsparse_complex_numIfEEEvT5_PKS3_S5_NS_24const_host_device_scalarIT6_EEPKT4_S5_PKS7_SB_S5_SD_S8_SB_S5_SD_SB_S5_PS7_21rocsparse_index_base_SF_SF_SF_bbb
                                        ; -- End function
	.section	.AMDGPU.csdata,"",@progbits
; Kernel info:
; codeLenInByte = 4408
; NumSgprs: 47
; NumVgprs: 21
; ScratchSize: 0
; MemoryBound: 0
; FloatMode: 240
; IeeeMode: 1
; LDSByteSize: 0 bytes/workgroup (compile time only)
; SGPRBlocks: 5
; VGPRBlocks: 2
; NumSGPRsForWavesPerEU: 47
; NumVGPRsForWavesPerEU: 21
; Occupancy: 16
; WaveLimiterHint : 1
; COMPUTE_PGM_RSRC2:SCRATCH_EN: 0
; COMPUTE_PGM_RSRC2:USER_SGPR: 15
; COMPUTE_PGM_RSRC2:TRAP_HANDLER: 0
; COMPUTE_PGM_RSRC2:TGID_X_EN: 1
; COMPUTE_PGM_RSRC2:TGID_Y_EN: 0
; COMPUTE_PGM_RSRC2:TGID_Z_EN: 0
; COMPUTE_PGM_RSRC2:TIDIG_COMP_CNT: 0
	.section	.text._ZN9rocsparseL41csrgemm_numeric_fill_block_per_row_kernelILj1024ELj32ELj2048ELj137ELj64Eli21rocsparse_complex_numIfEEEvT5_PKS3_S5_NS_24const_host_device_scalarIT6_EEPKT4_S5_PKS7_SB_S5_SD_S8_SB_S5_SD_SB_S5_PS7_21rocsparse_index_base_SF_SF_SF_bbb,"axG",@progbits,_ZN9rocsparseL41csrgemm_numeric_fill_block_per_row_kernelILj1024ELj32ELj2048ELj137ELj64Eli21rocsparse_complex_numIfEEEvT5_PKS3_S5_NS_24const_host_device_scalarIT6_EEPKT4_S5_PKS7_SB_S5_SD_S8_SB_S5_SD_SB_S5_PS7_21rocsparse_index_base_SF_SF_SF_bbb,comdat
	.globl	_ZN9rocsparseL41csrgemm_numeric_fill_block_per_row_kernelILj1024ELj32ELj2048ELj137ELj64Eli21rocsparse_complex_numIfEEEvT5_PKS3_S5_NS_24const_host_device_scalarIT6_EEPKT4_S5_PKS7_SB_S5_SD_S8_SB_S5_SD_SB_S5_PS7_21rocsparse_index_base_SF_SF_SF_bbb ; -- Begin function _ZN9rocsparseL41csrgemm_numeric_fill_block_per_row_kernelILj1024ELj32ELj2048ELj137ELj64Eli21rocsparse_complex_numIfEEEvT5_PKS3_S5_NS_24const_host_device_scalarIT6_EEPKT4_S5_PKS7_SB_S5_SD_S8_SB_S5_SD_SB_S5_PS7_21rocsparse_index_base_SF_SF_SF_bbb
	.p2align	8
	.type	_ZN9rocsparseL41csrgemm_numeric_fill_block_per_row_kernelILj1024ELj32ELj2048ELj137ELj64Eli21rocsparse_complex_numIfEEEvT5_PKS3_S5_NS_24const_host_device_scalarIT6_EEPKT4_S5_PKS7_SB_S5_SD_S8_SB_S5_SD_SB_S5_PS7_21rocsparse_index_base_SF_SF_SF_bbb,@function
_ZN9rocsparseL41csrgemm_numeric_fill_block_per_row_kernelILj1024ELj32ELj2048ELj137ELj64Eli21rocsparse_complex_numIfEEEvT5_PKS3_S5_NS_24const_host_device_scalarIT6_EEPKT4_S5_PKS7_SB_S5_SD_S8_SB_S5_SD_SB_S5_PS7_21rocsparse_index_base_SF_SF_SF_bbb: ; @_ZN9rocsparseL41csrgemm_numeric_fill_block_per_row_kernelILj1024ELj32ELj2048ELj137ELj64Eli21rocsparse_complex_numIfEEEvT5_PKS3_S5_NS_24const_host_device_scalarIT6_EEPKT4_S5_PKS7_SB_S5_SD_S8_SB_S5_SD_SB_S5_PS7_21rocsparse_index_base_SF_SF_SF_bbb
; %bb.0:
	s_clause 0x7
	s_load_b32 s12, s[0:1], 0x98
	s_load_b64 s[40:41], s[0:1], 0x70
	s_load_b128 s[28:31], s[0:1], 0x60
	s_load_b256 s[4:11], s[0:1], 0x40
	s_load_b128 s[36:39], s[0:1], 0x8
	s_load_b256 s[16:23], s[0:1], 0x20
	s_load_b64 s[34:35], s[0:1], 0x80
	s_load_b128 s[24:27], s[0:1], 0x88
	s_mov_b32 s3, 0
	s_mov_b32 s13, 0
	s_waitcnt lgkmcnt(0)
	s_bitcmp1_b32 s12, 0
	s_cselect_b32 s42, -1, 0
	s_bitcmp1_b32 s12, 16
	s_cselect_b32 s2, -1, 0
	s_delay_alu instid0(SALU_CYCLE_1) | instskip(SKIP_2) | instid1(VALU_DEP_1)
	s_xor_b32 s14, s2, -1
	s_bitcmp0_b32 s12, 0
	v_cndmask_b32_e64 v1, 0, 1, s14
	v_cmp_ne_u32_e32 vcc_lo, 1, v1
	s_cbranch_scc1 .LBB209_5
; %bb.1:
	s_load_b64 s[2:3], s[0:1], 0x18
	s_and_b32 vcc_lo, exec_lo, vcc_lo
	s_waitcnt lgkmcnt(0)
	s_mov_b32 s13, s2
	s_cbranch_vccnz .LBB209_3
; %bb.2:
	s_load_b32 s13, s[2:3], 0x0
.LBB209_3:
	s_and_not1_b32 vcc_lo, exec_lo, s14
	s_cbranch_vccnz .LBB209_5
; %bb.4:
	s_load_b32 s3, s[2:3], 0x4
.LBB209_5:
	s_bitcmp1_b32 s12, 8
	s_cselect_b32 s14, -1, 0
	s_bfe_u32 s2, s12, 0x10008
	s_mov_b32 s12, 0
	s_cmp_eq_u32 s2, 0
	s_mov_b32 s2, 0
	s_cbranch_scc1 .LBB209_11
; %bb.6:
	v_cmp_ne_u32_e32 vcc_lo, 1, v1
	s_mov_b32 s2, s8
	s_cbranch_vccnz .LBB209_8
; %bb.7:
	s_load_b32 s2, s[8:9], 0x0
.LBB209_8:
	v_cmp_ne_u32_e32 vcc_lo, 1, v1
	s_cbranch_vccnz .LBB209_10
; %bb.9:
	s_load_b32 s9, s[8:9], 0x4
.LBB209_10:
	s_waitcnt lgkmcnt(0)
	s_mov_b32 s12, s9
.LBB209_11:
	s_load_b32 s33, s[0:1], 0x0
	v_lshl_add_u32 v7, v0, 2, 0
	v_lshlrev_b32_e32 v1, 3, v0
	v_or_b32_e32 v8, 0xfffffc00, v0
	s_mov_b32 s0, 0
	s_delay_alu instid0(VALU_DEP_3) | instskip(NEXT) | instid1(VALU_DEP_3)
	v_mov_b32_e32 v2, v7
	v_add3_u32 v9, v1, 0, 0x2000
	v_mov_b32_e32 v1, 0
	v_mov_b32_e32 v3, v8
	s_waitcnt lgkmcnt(0)
	s_delay_alu instid0(VALU_DEP_3)
	v_dual_mov_b32 v5, v9 :: v_dual_mov_b32 v4, s33
.LBB209_12:                             ; =>This Inner Loop Header: Depth=1
	s_delay_alu instid0(VALU_DEP_2) | instskip(NEXT) | instid1(VALU_DEP_1)
	v_add_co_u32 v3, s1, 0x400, v3
	s_xor_b32 s1, s1, -1
	ds_store_b32 v2, v4
	ds_store_2addr_b32 v5, v1, v1 offset1:1
	v_add_nc_u32_e32 v5, 0x2000, v5
	v_add_nc_u32_e32 v2, 0x1000, v2
	s_and_b32 s1, exec_lo, s1
	s_delay_alu instid0(SALU_CYCLE_1) | instskip(NEXT) | instid1(SALU_CYCLE_1)
	s_or_b32 s0, s1, s0
	s_and_not1_b32 exec_lo, exec_lo, s0
	s_cbranch_execnz .LBB209_12
; %bb.13:
	s_or_b32 exec_lo, exec_lo, s0
	s_waitcnt lgkmcnt(0)
	s_barrier
	buffer_gl0_inv
	s_load_b32 s0, s[36:37], 0x0
	s_mov_b32 s1, 0
	s_waitcnt lgkmcnt(0)
	s_add_i32 s0, s0, s15
	s_delay_alu instid0(SALU_CYCLE_1) | instskip(NEXT) | instid1(SALU_CYCLE_1)
	s_lshl_b64 s[0:1], s[0:1], 2
	s_add_u32 s0, s38, s0
	s_addc_u32 s1, s39, s1
	s_and_b32 vcc_lo, exec_lo, s42
	s_load_b32 s36, s[0:1], 0x0
	s_cbranch_vccz .LBB209_33
; %bb.14:
	s_waitcnt lgkmcnt(0)
	s_ashr_i32 s37, s36, 31
	v_lshrrev_b32_e32 v1, 5, v0
	s_lshl_b64 s[0:1], s[36:37], 3
	s_mov_b32 s8, exec_lo
	s_add_u32 s0, s16, s0
	s_addc_u32 s1, s17, s1
	s_load_b128 s[44:47], s[0:1], 0x0
	v_sub_co_u32 v1, s0, v1, s24
	s_delay_alu instid0(VALU_DEP_1) | instskip(SKIP_1) | instid1(VALU_DEP_2)
	v_sub_co_ci_u32_e64 v2, null, 0, 0, s0
	s_waitcnt lgkmcnt(0)
	v_add_co_u32 v1, vcc_lo, s44, v1
	s_delay_alu instid0(VALU_DEP_2)
	v_add_co_ci_u32_e32 v2, vcc_lo, s45, v2, vcc_lo
	s_sub_u32 s0, s46, s24
	s_subb_u32 s1, s47, 0
	s_delay_alu instid0(VALU_DEP_1) | instid1(SALU_CYCLE_1)
	v_cmpx_gt_i64_e64 s[0:1], v[1:2]
	s_cbranch_execz .LBB209_32
; %bb.15:
	v_and_b32_e32 v3, 31, v0
	s_mov_b32 s15, s25
	s_delay_alu instid0(VALU_DEP_1) | instskip(NEXT) | instid1(VALU_DEP_1)
	v_sub_co_u32 v10, s9, v3, s25
	v_sub_co_ci_u32_e64 v11, null, 0, 0, s9
	s_mov_b32 s9, 0
	s_branch .LBB209_17
.LBB209_16:                             ;   in Loop: Header=BB209_17 Depth=1
	s_or_b32 exec_lo, exec_lo, s16
	v_add_co_u32 v1, vcc_lo, v1, 32
	v_add_co_ci_u32_e32 v2, vcc_lo, 0, v2, vcc_lo
	s_delay_alu instid0(VALU_DEP_1) | instskip(SKIP_1) | instid1(SALU_CYCLE_1)
	v_cmp_le_i64_e32 vcc_lo, s[0:1], v[1:2]
	s_or_b32 s9, vcc_lo, s9
	s_and_not1_b32 exec_lo, exec_lo, s9
	s_cbranch_execz .LBB209_32
.LBB209_17:                             ; =>This Loop Header: Depth=1
                                        ;     Child Loop BB209_20 Depth 2
                                        ;       Child Loop BB209_22 Depth 3
	v_lshlrev_b64 v[3:4], 2, v[1:2]
	s_mov_b32 s16, exec_lo
	s_delay_alu instid0(VALU_DEP_1) | instskip(NEXT) | instid1(VALU_DEP_2)
	v_add_co_u32 v3, vcc_lo, s18, v3
	v_add_co_ci_u32_e32 v4, vcc_lo, s19, v4, vcc_lo
	global_load_b32 v3, v[3:4], off
	s_waitcnt vmcnt(0)
	v_subrev_nc_u32_e32 v3, s24, v3
	s_delay_alu instid0(VALU_DEP_1) | instskip(NEXT) | instid1(VALU_DEP_1)
	v_ashrrev_i32_e32 v4, 31, v3
	v_lshlrev_b64 v[3:4], 3, v[3:4]
	s_delay_alu instid0(VALU_DEP_1) | instskip(NEXT) | instid1(VALU_DEP_2)
	v_add_co_u32 v3, vcc_lo, s22, v3
	v_add_co_ci_u32_e32 v4, vcc_lo, s23, v4, vcc_lo
	global_load_b128 v[12:15], v[3:4], off
	s_waitcnt vmcnt(0)
	v_sub_co_u32 v3, vcc_lo, v14, s15
	v_subrev_co_ci_u32_e32 v4, vcc_lo, 0, v15, vcc_lo
	v_add_co_u32 v5, vcc_lo, v12, v10
	v_add_co_ci_u32_e32 v6, vcc_lo, v13, v11, vcc_lo
	s_delay_alu instid0(VALU_DEP_1)
	v_cmpx_lt_i64_e64 v[5:6], v[3:4]
	s_cbranch_execz .LBB209_16
; %bb.18:                               ;   in Loop: Header=BB209_17 Depth=1
	v_lshlrev_b64 v[12:13], 3, v[1:2]
	s_mov_b32 s17, 0
	s_delay_alu instid0(VALU_DEP_1) | instskip(NEXT) | instid1(VALU_DEP_2)
	v_add_co_u32 v12, vcc_lo, s20, v12
	v_add_co_ci_u32_e32 v13, vcc_lo, s21, v13, vcc_lo
	global_load_b64 v[14:15], v[12:13], off
	s_waitcnt vmcnt(0)
	v_mul_f32_e64 v12, v15, -s3
	s_delay_alu instid0(VALU_DEP_1) | instskip(NEXT) | instid1(VALU_DEP_1)
	v_dual_mul_f32 v13, s13, v15 :: v_dual_fmac_f32 v12, s13, v14
	v_fmac_f32_e32 v13, s3, v14
	s_branch .LBB209_20
.LBB209_19:                             ;   in Loop: Header=BB209_20 Depth=2
	s_or_b32 exec_lo, exec_lo, s37
	v_add_co_u32 v5, vcc_lo, v5, 32
	v_add_co_ci_u32_e32 v6, vcc_lo, 0, v6, vcc_lo
	s_delay_alu instid0(VALU_DEP_1) | instskip(SKIP_1) | instid1(SALU_CYCLE_1)
	v_cmp_ge_i64_e32 vcc_lo, v[5:6], v[3:4]
	s_or_b32 s17, vcc_lo, s17
	s_and_not1_b32 exec_lo, exec_lo, s17
	s_cbranch_execz .LBB209_16
.LBB209_20:                             ;   Parent Loop BB209_17 Depth=1
                                        ; =>  This Loop Header: Depth=2
                                        ;       Child Loop BB209_22 Depth 3
	v_lshlrev_b64 v[14:15], 2, v[5:6]
	v_lshlrev_b64 v[16:17], 3, v[5:6]
	s_mov_b32 s37, 0
	s_delay_alu instid0(VALU_DEP_2) | instskip(NEXT) | instid1(VALU_DEP_3)
	v_add_co_u32 v14, vcc_lo, s4, v14
	v_add_co_ci_u32_e32 v15, vcc_lo, s5, v15, vcc_lo
	global_load_b32 v19, v[14:15], off
	v_add_co_u32 v14, vcc_lo, s6, v16
	v_add_co_ci_u32_e32 v15, vcc_lo, s7, v17, vcc_lo
	global_load_b64 v[17:18], v[14:15], off
	s_waitcnt vmcnt(1)
	v_subrev_nc_u32_e32 v14, s25, v19
	s_delay_alu instid0(VALU_DEP_1) | instskip(SKIP_3) | instid1(VALU_DEP_2)
	v_mul_lo_u32 v19, 0x89, v14
	s_waitcnt vmcnt(0)
	v_mul_f32_e64 v15, v18, -v13
	v_mul_f32_e32 v16, v12, v18
	v_fmac_f32_e32 v15, v12, v17
	s_delay_alu instid0(VALU_DEP_2)
	v_dual_fmac_f32 v16, v13, v17 :: v_dual_and_b32 v17, 0x7ff, v19
	s_branch .LBB209_22
.LBB209_21:                             ;   in Loop: Header=BB209_22 Depth=3
	s_or_b32 exec_lo, exec_lo, s38
	s_xor_b32 s38, s39, -1
	s_delay_alu instid0(SALU_CYCLE_1) | instskip(NEXT) | instid1(SALU_CYCLE_1)
	s_and_b32 s38, exec_lo, s38
	s_or_b32 s37, s38, s37
	s_delay_alu instid0(SALU_CYCLE_1)
	s_and_not1_b32 exec_lo, exec_lo, s37
	s_cbranch_execz .LBB209_19
.LBB209_22:                             ;   Parent Loop BB209_17 Depth=1
                                        ;     Parent Loop BB209_20 Depth=2
                                        ; =>    This Inner Loop Header: Depth=3
	s_delay_alu instid0(VALU_DEP_1)
	v_lshl_add_u32 v18, v17, 2, 0
	s_mov_b32 s38, exec_lo
                                        ; implicit-def: $sgpr39
	ds_load_b32 v19, v18
	s_waitcnt lgkmcnt(0)
	v_cmpx_ne_u32_e64 v19, v14
	s_xor_b32 s38, exec_lo, s38
	s_cbranch_execz .LBB209_30
; %bb.23:                               ;   in Loop: Header=BB209_22 Depth=3
	s_mov_b32 s42, exec_lo
                                        ; implicit-def: $sgpr39
	v_cmpx_ne_u32_e64 s33, v19
	s_xor_b32 s42, exec_lo, s42
; %bb.24:                               ;   in Loop: Header=BB209_22 Depth=3
	v_add_nc_u32_e32 v17, 1, v17
	s_mov_b32 s39, -1
                                        ; implicit-def: $vgpr18
	s_delay_alu instid0(VALU_DEP_1)
	v_and_b32_e32 v17, 0x7ff, v17
; %bb.25:                               ;   in Loop: Header=BB209_22 Depth=3
	s_and_not1_saveexec_b32 s42, s42
	s_cbranch_execz .LBB209_29
; %bb.26:                               ;   in Loop: Header=BB209_22 Depth=3
	v_mov_b32_e32 v19, s33
	s_mov_b32 s43, -1
	s_mov_b32 s44, exec_lo
	ds_cmpstore_rtn_b32 v19, v18, v14, v19
	s_waitcnt lgkmcnt(0)
	v_cmpx_eq_u32_e64 s33, v19
	s_cbranch_execz .LBB209_28
; %bb.27:                               ;   in Loop: Header=BB209_22 Depth=3
	v_lshl_add_u32 v18, v17, 2, v18
	s_xor_b32 s43, exec_lo, -1
	ds_add_f32 v18, v15 offset:8192
	ds_add_f32 v18, v16 offset:8196
.LBB209_28:                             ;   in Loop: Header=BB209_22 Depth=3
	s_or_b32 exec_lo, exec_lo, s44
	s_delay_alu instid0(SALU_CYCLE_1) | instskip(SKIP_1) | instid1(SALU_CYCLE_1)
	s_and_not1_b32 s39, s39, exec_lo
	s_and_b32 s43, s43, exec_lo
	s_or_b32 s39, s39, s43
.LBB209_29:                             ;   in Loop: Header=BB209_22 Depth=3
	s_or_b32 exec_lo, exec_lo, s42
	s_delay_alu instid0(SALU_CYCLE_1)
	s_and_b32 s39, s39, exec_lo
                                        ; implicit-def: $vgpr18
.LBB209_30:                             ;   in Loop: Header=BB209_22 Depth=3
	s_and_not1_saveexec_b32 s38, s38
	s_cbranch_execz .LBB209_21
; %bb.31:                               ;   in Loop: Header=BB209_22 Depth=3
	v_lshl_add_u32 v18, v17, 2, v18
	s_and_not1_b32 s39, s39, exec_lo
	ds_add_f32 v18, v15 offset:8192
	ds_add_f32 v18, v16 offset:8196
	s_branch .LBB209_21
.LBB209_32:
	s_or_b32 exec_lo, exec_lo, s8
.LBB209_33:
	s_delay_alu instid0(SALU_CYCLE_1)
	s_and_not1_b32 vcc_lo, exec_lo, s14
	s_cbranch_vccnz .LBB209_36
; %bb.34:
	s_waitcnt lgkmcnt(0)
	s_ashr_i32 s37, s36, 31
	s_mov_b32 s3, exec_lo
	s_lshl_b64 s[0:1], s[36:37], 3
	s_delay_alu instid0(SALU_CYCLE_1) | instskip(SKIP_3) | instid1(VALU_DEP_1)
	s_add_u32 s0, s10, s0
	s_addc_u32 s1, s11, s1
	s_load_b128 s[4:7], s[0:1], 0x0
	v_sub_co_u32 v1, s0, v0, s27
	v_sub_co_ci_u32_e64 v2, null, 0, 0, s0
	s_waitcnt lgkmcnt(0)
	s_delay_alu instid0(VALU_DEP_2) | instskip(NEXT) | instid1(VALU_DEP_2)
	v_add_co_u32 v1, vcc_lo, s4, v1
	v_add_co_ci_u32_e32 v2, vcc_lo, s5, v2, vcc_lo
	s_sub_u32 s0, s6, s27
	s_subb_u32 s1, s7, 0
	s_mov_b32 s4, 0
	s_delay_alu instid0(VALU_DEP_1)
	v_cmpx_gt_i64_e64 s[0:1], v[1:2]
	s_cbranch_execnz .LBB209_73
.LBB209_35:
	s_or_b32 exec_lo, exec_lo, s3
.LBB209_36:
	v_mbcnt_lo_u32_b32 v1, -1, 0
	v_lshrrev_b32_e32 v2, 4, v0
	v_cmp_eq_u32_e32 vcc_lo, 0x3ff, v0
	v_cmp_lt_u32_e64 s0, 63, v0
	v_cmp_lt_u32_e64 s1, 0x7f, v0
	v_xor_b32_e32 v1, 63, v1
	v_dual_mov_b32 v6, 0 :: v_dual_and_b32 v3, 60, v2
	v_cmp_lt_u32_e64 s2, 0xbf, v0
	v_cmp_lt_u32_e64 s3, 0xff, v0
	s_delay_alu instid0(VALU_DEP_4) | instskip(NEXT) | instid1(VALU_DEP_4)
	v_lshrrev_b64 v[1:2], v1, -1
	v_dual_mov_b32 v5, 0 :: v_dual_add_nc_u32 v4, 0, v3
	v_cmp_lt_u32_e64 s4, 0x13f, v0
	v_cmp_lt_u32_e64 s5, 0x17f, v0
	;; [unrolled: 1-line block ×11, first 2 shown]
	s_mov_b32 s16, 0
	s_waitcnt lgkmcnt(0)
	s_barrier
	buffer_gl0_inv
	s_branch .LBB209_38
.LBB209_37:                             ;   in Loop: Header=BB209_38 Depth=1
	s_or_b32 exec_lo, exec_lo, s15
	s_waitcnt lgkmcnt(0)
	s_barrier
	buffer_gl0_inv
	ds_load_b32 v2, v5 offset:24636
	v_add_co_u32 v8, s15, 0x400, v8
	s_delay_alu instid0(VALU_DEP_1) | instskip(SKIP_3) | instid1(SALU_CYCLE_1)
	s_xor_b32 s15, s15, -1
	v_add_nc_u32_e32 v9, 0x2000, v9
	v_add_nc_u32_e32 v7, 0x1000, v7
	s_and_b32 s15, exec_lo, s15
	s_or_b32 s16, s15, s16
	s_waitcnt lgkmcnt(0)
	v_add_nc_u32_e32 v6, v2, v6
	s_and_not1_b32 exec_lo, exec_lo, s16
	s_cbranch_execz .LBB209_85
.LBB209_38:                             ; =>This Inner Loop Header: Depth=1
	ds_load_b32 v10, v7
	ds_load_2addr_b32 v[2:3], v9 offset1:1
	s_waitcnt lgkmcnt(0)
	s_barrier
	buffer_gl0_inv
	v_cmp_gt_i32_e64 s15, s33, v10
	s_delay_alu instid0(VALU_DEP_1) | instskip(NEXT) | instid1(SALU_CYCLE_1)
	s_bcnt1_i32_b32 s17, s15
	v_dual_mov_b32 v12, s17 :: v_dual_and_b32 v11, s15, v1
	s_delay_alu instid0(VALU_DEP_1)
	v_bcnt_u32_b32 v11, v11, 0
	ds_store_b32 v4, v12 offset:24576
	s_waitcnt lgkmcnt(0)
	s_barrier
	buffer_gl0_inv
	s_and_saveexec_b32 s17, s0
	s_cbranch_execnz .LBB209_55
; %bb.39:                               ;   in Loop: Header=BB209_38 Depth=1
	s_or_b32 exec_lo, exec_lo, s17
	s_and_saveexec_b32 s17, s1
	s_cbranch_execnz .LBB209_56
.LBB209_40:                             ;   in Loop: Header=BB209_38 Depth=1
	s_or_b32 exec_lo, exec_lo, s17
	s_and_saveexec_b32 s17, s2
	s_cbranch_execnz .LBB209_57
.LBB209_41:                             ;   in Loop: Header=BB209_38 Depth=1
	s_or_b32 exec_lo, exec_lo, s17
	s_and_saveexec_b32 s17, s3
	s_cbranch_execnz .LBB209_58
.LBB209_42:                             ;   in Loop: Header=BB209_38 Depth=1
	s_or_b32 exec_lo, exec_lo, s17
	s_and_saveexec_b32 s17, s4
	s_cbranch_execnz .LBB209_59
.LBB209_43:                             ;   in Loop: Header=BB209_38 Depth=1
	s_or_b32 exec_lo, exec_lo, s17
	s_and_saveexec_b32 s17, s5
	s_cbranch_execnz .LBB209_60
.LBB209_44:                             ;   in Loop: Header=BB209_38 Depth=1
	s_or_b32 exec_lo, exec_lo, s17
	s_and_saveexec_b32 s17, s6
	s_cbranch_execnz .LBB209_61
.LBB209_45:                             ;   in Loop: Header=BB209_38 Depth=1
	s_or_b32 exec_lo, exec_lo, s17
	s_and_saveexec_b32 s17, s7
	s_cbranch_execnz .LBB209_62
.LBB209_46:                             ;   in Loop: Header=BB209_38 Depth=1
	s_or_b32 exec_lo, exec_lo, s17
	s_and_saveexec_b32 s17, s8
	s_cbranch_execnz .LBB209_63
.LBB209_47:                             ;   in Loop: Header=BB209_38 Depth=1
	s_or_b32 exec_lo, exec_lo, s17
	s_and_saveexec_b32 s17, s9
	s_cbranch_execnz .LBB209_64
.LBB209_48:                             ;   in Loop: Header=BB209_38 Depth=1
	s_or_b32 exec_lo, exec_lo, s17
	s_and_saveexec_b32 s17, s10
	s_cbranch_execnz .LBB209_65
.LBB209_49:                             ;   in Loop: Header=BB209_38 Depth=1
	s_or_b32 exec_lo, exec_lo, s17
	s_and_saveexec_b32 s17, s11
	s_cbranch_execnz .LBB209_66
.LBB209_50:                             ;   in Loop: Header=BB209_38 Depth=1
	s_or_b32 exec_lo, exec_lo, s17
	s_and_saveexec_b32 s17, s12
	s_cbranch_execnz .LBB209_67
.LBB209_51:                             ;   in Loop: Header=BB209_38 Depth=1
	s_or_b32 exec_lo, exec_lo, s17
	s_and_saveexec_b32 s17, s13
	s_cbranch_execnz .LBB209_68
.LBB209_52:                             ;   in Loop: Header=BB209_38 Depth=1
	s_or_b32 exec_lo, exec_lo, s17
	s_and_saveexec_b32 s17, s14
	s_cbranch_execnz .LBB209_69
.LBB209_53:                             ;   in Loop: Header=BB209_38 Depth=1
	s_or_b32 exec_lo, exec_lo, s17
	s_and_saveexec_b32 s17, s15
	s_cbranch_execnz .LBB209_70
.LBB209_54:                             ;   in Loop: Header=BB209_38 Depth=1
	s_or_b32 exec_lo, exec_lo, s17
	s_and_saveexec_b32 s15, vcc_lo
	s_cbranch_execz .LBB209_37
	s_branch .LBB209_71
.LBB209_55:                             ;   in Loop: Header=BB209_38 Depth=1
	ds_load_b32 v12, v5 offset:24576
	s_waitcnt lgkmcnt(0)
	v_add_nc_u32_e32 v11, v12, v11
	s_or_b32 exec_lo, exec_lo, s17
	s_and_saveexec_b32 s17, s1
	s_cbranch_execz .LBB209_40
.LBB209_56:                             ;   in Loop: Header=BB209_38 Depth=1
	ds_load_b32 v12, v5 offset:24580
	s_waitcnt lgkmcnt(0)
	v_add_nc_u32_e32 v11, v12, v11
	s_or_b32 exec_lo, exec_lo, s17
	s_and_saveexec_b32 s17, s2
	s_cbranch_execz .LBB209_41
.LBB209_57:                             ;   in Loop: Header=BB209_38 Depth=1
	ds_load_b32 v12, v5 offset:24584
	s_waitcnt lgkmcnt(0)
	v_add_nc_u32_e32 v11, v12, v11
	s_or_b32 exec_lo, exec_lo, s17
	s_and_saveexec_b32 s17, s3
	s_cbranch_execz .LBB209_42
.LBB209_58:                             ;   in Loop: Header=BB209_38 Depth=1
	ds_load_b32 v12, v5 offset:24588
	s_waitcnt lgkmcnt(0)
	v_add_nc_u32_e32 v11, v12, v11
	s_or_b32 exec_lo, exec_lo, s17
	s_and_saveexec_b32 s17, s4
	s_cbranch_execz .LBB209_43
.LBB209_59:                             ;   in Loop: Header=BB209_38 Depth=1
	ds_load_b32 v12, v5 offset:24592
	s_waitcnt lgkmcnt(0)
	v_add_nc_u32_e32 v11, v12, v11
	s_or_b32 exec_lo, exec_lo, s17
	s_and_saveexec_b32 s17, s5
	s_cbranch_execz .LBB209_44
.LBB209_60:                             ;   in Loop: Header=BB209_38 Depth=1
	ds_load_b32 v12, v5 offset:24596
	s_waitcnt lgkmcnt(0)
	v_add_nc_u32_e32 v11, v12, v11
	s_or_b32 exec_lo, exec_lo, s17
	s_and_saveexec_b32 s17, s6
	s_cbranch_execz .LBB209_45
.LBB209_61:                             ;   in Loop: Header=BB209_38 Depth=1
	ds_load_b32 v12, v5 offset:24600
	s_waitcnt lgkmcnt(0)
	v_add_nc_u32_e32 v11, v12, v11
	s_or_b32 exec_lo, exec_lo, s17
	s_and_saveexec_b32 s17, s7
	s_cbranch_execz .LBB209_46
.LBB209_62:                             ;   in Loop: Header=BB209_38 Depth=1
	ds_load_b32 v12, v5 offset:24604
	s_waitcnt lgkmcnt(0)
	v_add_nc_u32_e32 v11, v12, v11
	s_or_b32 exec_lo, exec_lo, s17
	s_and_saveexec_b32 s17, s8
	s_cbranch_execz .LBB209_47
.LBB209_63:                             ;   in Loop: Header=BB209_38 Depth=1
	ds_load_b32 v12, v5 offset:24608
	s_waitcnt lgkmcnt(0)
	v_add_nc_u32_e32 v11, v12, v11
	s_or_b32 exec_lo, exec_lo, s17
	s_and_saveexec_b32 s17, s9
	s_cbranch_execz .LBB209_48
.LBB209_64:                             ;   in Loop: Header=BB209_38 Depth=1
	ds_load_b32 v12, v5 offset:24612
	s_waitcnt lgkmcnt(0)
	v_add_nc_u32_e32 v11, v12, v11
	s_or_b32 exec_lo, exec_lo, s17
	s_and_saveexec_b32 s17, s10
	s_cbranch_execz .LBB209_49
.LBB209_65:                             ;   in Loop: Header=BB209_38 Depth=1
	ds_load_b32 v12, v5 offset:24616
	s_waitcnt lgkmcnt(0)
	v_add_nc_u32_e32 v11, v12, v11
	s_or_b32 exec_lo, exec_lo, s17
	s_and_saveexec_b32 s17, s11
	s_cbranch_execz .LBB209_50
.LBB209_66:                             ;   in Loop: Header=BB209_38 Depth=1
	ds_load_b32 v12, v5 offset:24620
	s_waitcnt lgkmcnt(0)
	v_add_nc_u32_e32 v11, v12, v11
	s_or_b32 exec_lo, exec_lo, s17
	s_and_saveexec_b32 s17, s12
	s_cbranch_execz .LBB209_51
.LBB209_67:                             ;   in Loop: Header=BB209_38 Depth=1
	ds_load_b32 v12, v5 offset:24624
	s_waitcnt lgkmcnt(0)
	v_add_nc_u32_e32 v11, v12, v11
	s_or_b32 exec_lo, exec_lo, s17
	s_and_saveexec_b32 s17, s13
	s_cbranch_execz .LBB209_52
.LBB209_68:                             ;   in Loop: Header=BB209_38 Depth=1
	ds_load_b32 v12, v5 offset:24628
	s_waitcnt lgkmcnt(0)
	v_add_nc_u32_e32 v11, v12, v11
	s_or_b32 exec_lo, exec_lo, s17
	s_and_saveexec_b32 s17, s14
	s_cbranch_execz .LBB209_53
.LBB209_69:                             ;   in Loop: Header=BB209_38 Depth=1
	ds_load_b32 v12, v5 offset:24632
	s_waitcnt lgkmcnt(0)
	v_add_nc_u32_e32 v11, v12, v11
	s_or_b32 exec_lo, exec_lo, s17
	s_and_saveexec_b32 s17, s15
	s_cbranch_execz .LBB209_54
.LBB209_70:                             ;   in Loop: Header=BB209_38 Depth=1
	s_delay_alu instid0(VALU_DEP_1) | instskip(NEXT) | instid1(VALU_DEP_1)
	v_add3_u32 v12, v6, -1, v11
	v_lshlrev_b32_e32 v13, 3, v12
	v_lshl_add_u32 v12, v12, 2, 0
	s_delay_alu instid0(VALU_DEP_2)
	v_add3_u32 v13, 0, v13, 0x2000
	ds_store_b32 v12, v10
	ds_store_2addr_b32 v13, v2, v3 offset1:1
	s_or_b32 exec_lo, exec_lo, s17
	s_and_saveexec_b32 s15, vcc_lo
	s_cbranch_execz .LBB209_37
.LBB209_71:                             ;   in Loop: Header=BB209_38 Depth=1
	ds_store_b32 v5, v11 offset:24636
	s_branch .LBB209_37
.LBB209_72:                             ;   in Loop: Header=BB209_73 Depth=1
	s_or_b32 exec_lo, exec_lo, s5
	v_add_co_u32 v1, vcc_lo, 0x400, v1
	v_add_co_ci_u32_e32 v2, vcc_lo, 0, v2, vcc_lo
	s_delay_alu instid0(VALU_DEP_1) | instskip(SKIP_1) | instid1(SALU_CYCLE_1)
	v_cmp_le_i64_e32 vcc_lo, s[0:1], v[1:2]
	s_or_b32 s4, vcc_lo, s4
	s_and_not1_b32 exec_lo, exec_lo, s4
	s_cbranch_execz .LBB209_35
.LBB209_73:                             ; =>This Loop Header: Depth=1
                                        ;     Child Loop BB209_75 Depth 2
	v_lshlrev_b64 v[3:4], 2, v[1:2]
	v_lshlrev_b64 v[5:6], 3, v[1:2]
	s_mov_b32 s5, 0
	s_delay_alu instid0(VALU_DEP_2) | instskip(NEXT) | instid1(VALU_DEP_3)
	v_add_co_u32 v3, vcc_lo, s28, v3
	v_add_co_ci_u32_e32 v4, vcc_lo, s29, v4, vcc_lo
	global_load_b32 v12, v[3:4], off
	v_add_co_u32 v3, vcc_lo, s30, v5
	v_add_co_ci_u32_e32 v4, vcc_lo, s31, v6, vcc_lo
	global_load_b64 v[10:11], v[3:4], off
	s_waitcnt vmcnt(1)
	v_subrev_nc_u32_e32 v3, s27, v12
	s_delay_alu instid0(VALU_DEP_1) | instskip(SKIP_2) | instid1(VALU_DEP_1)
	v_mul_lo_u32 v6, 0x89, v3
	s_waitcnt vmcnt(0)
	v_mul_f32_e64 v4, v11, -s12
	v_dual_mul_f32 v5, s2, v11 :: v_dual_fmac_f32 v4, s2, v10
	s_delay_alu instid0(VALU_DEP_1) | instskip(NEXT) | instid1(VALU_DEP_4)
	v_fmac_f32_e32 v5, s12, v10
	v_and_b32_e32 v6, 0x7ff, v6
	s_branch .LBB209_75
.LBB209_74:                             ;   in Loop: Header=BB209_75 Depth=2
	s_or_b32 exec_lo, exec_lo, s6
	s_xor_b32 s6, s7, -1
	s_delay_alu instid0(SALU_CYCLE_1) | instskip(NEXT) | instid1(SALU_CYCLE_1)
	s_and_b32 s6, exec_lo, s6
	s_or_b32 s5, s6, s5
	s_delay_alu instid0(SALU_CYCLE_1)
	s_and_not1_b32 exec_lo, exec_lo, s5
	s_cbranch_execz .LBB209_72
.LBB209_75:                             ;   Parent Loop BB209_73 Depth=1
                                        ; =>  This Inner Loop Header: Depth=2
	s_delay_alu instid0(VALU_DEP_1)
	v_lshl_add_u32 v10, v6, 2, 0
	s_mov_b32 s6, exec_lo
                                        ; implicit-def: $sgpr7
	ds_load_b32 v11, v10
	s_waitcnt lgkmcnt(0)
	v_cmpx_ne_u32_e64 v11, v3
	s_xor_b32 s6, exec_lo, s6
	s_cbranch_execz .LBB209_83
; %bb.76:                               ;   in Loop: Header=BB209_75 Depth=2
	s_mov_b32 s8, exec_lo
                                        ; implicit-def: $sgpr7
	v_cmpx_ne_u32_e64 s33, v11
	s_xor_b32 s8, exec_lo, s8
; %bb.77:                               ;   in Loop: Header=BB209_75 Depth=2
	v_add_nc_u32_e32 v6, 1, v6
	s_mov_b32 s7, -1
                                        ; implicit-def: $vgpr10
	s_delay_alu instid0(VALU_DEP_1)
	v_and_b32_e32 v6, 0x7ff, v6
; %bb.78:                               ;   in Loop: Header=BB209_75 Depth=2
	s_and_not1_saveexec_b32 s8, s8
	s_cbranch_execz .LBB209_82
; %bb.79:                               ;   in Loop: Header=BB209_75 Depth=2
	v_mov_b32_e32 v11, s33
	s_mov_b32 s9, -1
	s_mov_b32 s10, exec_lo
	ds_cmpstore_rtn_b32 v11, v10, v3, v11
	s_waitcnt lgkmcnt(0)
	v_cmpx_eq_u32_e64 s33, v11
	s_cbranch_execz .LBB209_81
; %bb.80:                               ;   in Loop: Header=BB209_75 Depth=2
	v_lshl_add_u32 v10, v6, 2, v10
	s_xor_b32 s9, exec_lo, -1
	ds_add_f32 v10, v4 offset:8192
	ds_add_f32 v10, v5 offset:8196
.LBB209_81:                             ;   in Loop: Header=BB209_75 Depth=2
	s_or_b32 exec_lo, exec_lo, s10
	s_delay_alu instid0(SALU_CYCLE_1) | instskip(SKIP_1) | instid1(SALU_CYCLE_1)
	s_and_not1_b32 s7, s7, exec_lo
	s_and_b32 s9, s9, exec_lo
	s_or_b32 s7, s7, s9
.LBB209_82:                             ;   in Loop: Header=BB209_75 Depth=2
	s_or_b32 exec_lo, exec_lo, s8
	s_delay_alu instid0(SALU_CYCLE_1)
	s_and_b32 s7, s7, exec_lo
                                        ; implicit-def: $vgpr10
.LBB209_83:                             ;   in Loop: Header=BB209_75 Depth=2
	s_and_not1_saveexec_b32 s6, s6
	s_cbranch_execz .LBB209_74
; %bb.84:                               ;   in Loop: Header=BB209_75 Depth=2
	v_lshl_add_u32 v10, v6, 2, v10
	s_and_not1_b32 s7, s7, exec_lo
	ds_add_f32 v10, v4 offset:8192
	ds_add_f32 v10, v5 offset:8196
	s_branch .LBB209_74
.LBB209_85:
	s_or_b32 exec_lo, exec_lo, s16
	s_ashr_i32 s37, s36, 31
	s_mov_b32 s4, exec_lo
	s_lshl_b64 s[0:1], s[36:37], 3
	s_delay_alu instid0(SALU_CYCLE_1) | instskip(SKIP_4) | instid1(SALU_CYCLE_1)
	s_add_u32 s0, s40, s0
	s_addc_u32 s1, s41, s1
	s_load_b128 s[0:3], s[0:1], 0x0
	s_waitcnt lgkmcnt(0)
	s_sub_i32 s3, s2, s0
	v_cmpx_gt_i32_e64 s3, v0
	s_cbranch_execz .LBB209_95
; %bb.86:
	s_sub_u32 s4, s0, s26
	s_subb_u32 s5, s1, 0
	s_sub_i32 s0, s0, s2
	s_and_b32 s1, s3, 7
	s_cmp_lt_u32 s0, -7
	s_mov_b32 s8, 0
	s_cselect_b32 s2, -1, 0
	s_and_b32 s6, s3, -8
	s_cmp_lg_u32 s1, 0
	s_cselect_b32 s7, -1, 0
	s_branch .LBB209_88
.LBB209_87:                             ;   in Loop: Header=BB209_88 Depth=1
	s_delay_alu instid0(VALU_DEP_1) | instskip(SKIP_1) | instid1(VALU_DEP_1)
	v_lshlrev_b64 v[3:4], 3, v[3:4]
	v_add_nc_u32_e32 v0, 0x400, v0
	v_cmp_le_i32_e32 vcc_lo, s3, v0
	s_delay_alu instid0(VALU_DEP_3) | instskip(NEXT) | instid1(VALU_DEP_1)
	v_add_co_u32 v3, s0, s34, v3
	v_add_co_ci_u32_e64 v4, s0, s35, v4, s0
	s_or_b32 s8, vcc_lo, s8
	s_waitcnt lgkmcnt(0)
	global_store_b64 v[3:4], v[1:2], off
	s_and_not1_b32 exec_lo, exec_lo, s8
	s_cbranch_execz .LBB209_95
.LBB209_88:                             ; =>This Loop Header: Depth=1
                                        ;     Child Loop BB209_90 Depth 2
                                        ;     Child Loop BB209_94 Depth 2
	v_lshlrev_b32_e32 v1, 2, v0
	v_dual_mov_b32 v3, s4 :: v_dual_mov_b32 v4, s5
	s_and_not1_b32 vcc_lo, exec_lo, s2
	s_mov_b32 s0, 0
	s_delay_alu instid0(VALU_DEP_2) | instskip(NEXT) | instid1(VALU_DEP_1)
	v_add_nc_u32_e32 v2, 0, v1
	v_add3_u32 v1, v2, v1, 0x2000
	ds_load_b32 v5, v2
	ds_load_2addr_b32 v[1:2], v1 offset1:1
	s_cbranch_vccnz .LBB209_92
; %bb.89:                               ;   in Loop: Header=BB209_88 Depth=1
	v_dual_mov_b32 v3, s4 :: v_dual_mov_b32 v4, s5
	s_mov_b32 s9, 0
	s_mov_b32 s10, 0
.LBB209_90:                             ;   Parent Loop BB209_88 Depth=1
                                        ; =>  This Inner Loop Header: Depth=2
	s_delay_alu instid0(SALU_CYCLE_1)
	v_mov_b32_e32 v12, s10
	s_add_i32 s9, s9, 8
	s_add_i32 s10, s10, 32
	s_cmp_eq_u32 s6, s9
	ds_load_2addr_b32 v[6:7], v12 offset1:1
	ds_load_2addr_b32 v[8:9], v12 offset0:2 offset1:3
	ds_load_2addr_b32 v[10:11], v12 offset0:4 offset1:5
	;; [unrolled: 1-line block ×3, first 2 shown]
	s_waitcnt lgkmcnt(3)
	v_cmp_gt_i32_e32 vcc_lo, v5, v6
	v_cndmask_b32_e64 v6, 0, 1, vcc_lo
	v_cmp_gt_i32_e32 vcc_lo, v5, v7
	v_cndmask_b32_e64 v7, 0, 1, vcc_lo
	s_waitcnt lgkmcnt(2)
	v_cmp_gt_i32_e32 vcc_lo, v5, v8
	v_cndmask_b32_e64 v8, 0, 1, vcc_lo
	v_cmp_gt_i32_e32 vcc_lo, v5, v9
	v_cndmask_b32_e64 v9, 0, 1, vcc_lo
	s_waitcnt lgkmcnt(1)
	v_cmp_gt_i32_e32 vcc_lo, v5, v10
	v_cndmask_b32_e64 v10, 0, 1, vcc_lo
	v_add_co_u32 v3, vcc_lo, v3, v6
	v_add_co_ci_u32_e32 v4, vcc_lo, 0, v4, vcc_lo
	v_cmp_gt_i32_e32 vcc_lo, v5, v11
	s_delay_alu instid0(VALU_DEP_3) | instskip(NEXT) | instid1(VALU_DEP_1)
	v_add_co_u32 v3, s0, v3, v7
	v_add_co_ci_u32_e64 v4, s0, 0, v4, s0
	v_cndmask_b32_e64 v6, 0, 1, vcc_lo
	s_delay_alu instid0(VALU_DEP_3) | instskip(NEXT) | instid1(VALU_DEP_3)
	v_add_co_u32 v3, vcc_lo, v3, v8
	v_add_co_ci_u32_e32 v4, vcc_lo, 0, v4, vcc_lo
	s_waitcnt lgkmcnt(0)
	v_cmp_gt_i32_e32 vcc_lo, v5, v12
	s_delay_alu instid0(VALU_DEP_3) | instskip(NEXT) | instid1(VALU_DEP_1)
	v_add_co_u32 v3, s0, v3, v9
	v_add_co_ci_u32_e64 v4, s0, 0, v4, s0
	v_cndmask_b32_e64 v7, 0, 1, vcc_lo
	s_delay_alu instid0(VALU_DEP_3) | instskip(NEXT) | instid1(VALU_DEP_3)
	v_add_co_u32 v3, vcc_lo, v3, v10
	v_add_co_ci_u32_e32 v4, vcc_lo, 0, v4, vcc_lo
	v_cmp_gt_i32_e32 vcc_lo, v5, v13
	s_delay_alu instid0(VALU_DEP_3) | instskip(NEXT) | instid1(VALU_DEP_1)
	v_add_co_u32 v3, s0, v3, v6
	v_add_co_ci_u32_e64 v4, s0, 0, v4, s0
	v_cndmask_b32_e64 v6, 0, 1, vcc_lo
	s_delay_alu instid0(VALU_DEP_3) | instskip(NEXT) | instid1(VALU_DEP_3)
	v_add_co_u32 v3, vcc_lo, v3, v7
	v_add_co_ci_u32_e32 v4, vcc_lo, 0, v4, vcc_lo
	s_delay_alu instid0(VALU_DEP_2) | instskip(NEXT) | instid1(VALU_DEP_2)
	v_add_co_u32 v3, vcc_lo, v3, v6
	v_add_co_ci_u32_e32 v4, vcc_lo, 0, v4, vcc_lo
	s_cbranch_scc0 .LBB209_90
; %bb.91:                               ;   in Loop: Header=BB209_88 Depth=1
	s_mov_b32 s0, s6
.LBB209_92:                             ;   in Loop: Header=BB209_88 Depth=1
	s_and_not1_b32 vcc_lo, exec_lo, s7
	s_cbranch_vccnz .LBB209_87
; %bb.93:                               ;   in Loop: Header=BB209_88 Depth=1
	s_lshl_b32 s0, s0, 2
	s_mov_b32 s9, s1
	s_add_i32 s0, s0, 0
.LBB209_94:                             ;   Parent Loop BB209_88 Depth=1
                                        ; =>  This Inner Loop Header: Depth=2
	s_delay_alu instid0(SALU_CYCLE_1)
	v_mov_b32_e32 v6, s0
	s_add_i32 s9, s9, -1
	s_add_i32 s0, s0, 4
	s_cmp_lg_u32 s9, 0
	ds_load_b32 v6, v6
	s_waitcnt lgkmcnt(0)
	v_cmp_gt_i32_e32 vcc_lo, v5, v6
	v_cndmask_b32_e64 v6, 0, 1, vcc_lo
	s_delay_alu instid0(VALU_DEP_1)
	v_add_co_u32 v3, vcc_lo, v3, v6
	v_add_co_ci_u32_e32 v4, vcc_lo, 0, v4, vcc_lo
	s_cbranch_scc1 .LBB209_94
	s_branch .LBB209_87
.LBB209_95:
	s_nop 0
	s_sendmsg sendmsg(MSG_DEALLOC_VGPRS)
	s_endpgm
	.section	.rodata,"a",@progbits
	.p2align	6, 0x0
	.amdhsa_kernel _ZN9rocsparseL41csrgemm_numeric_fill_block_per_row_kernelILj1024ELj32ELj2048ELj137ELj64Eli21rocsparse_complex_numIfEEEvT5_PKS3_S5_NS_24const_host_device_scalarIT6_EEPKT4_S5_PKS7_SB_S5_SD_S8_SB_S5_SD_SB_S5_PS7_21rocsparse_index_base_SF_SF_SF_bbb
		.amdhsa_group_segment_fixed_size 0
		.amdhsa_private_segment_fixed_size 0
		.amdhsa_kernarg_size 156
		.amdhsa_user_sgpr_count 15
		.amdhsa_user_sgpr_dispatch_ptr 0
		.amdhsa_user_sgpr_queue_ptr 0
		.amdhsa_user_sgpr_kernarg_segment_ptr 1
		.amdhsa_user_sgpr_dispatch_id 0
		.amdhsa_user_sgpr_private_segment_size 0
		.amdhsa_wavefront_size32 1
		.amdhsa_uses_dynamic_stack 0
		.amdhsa_enable_private_segment 0
		.amdhsa_system_sgpr_workgroup_id_x 1
		.amdhsa_system_sgpr_workgroup_id_y 0
		.amdhsa_system_sgpr_workgroup_id_z 0
		.amdhsa_system_sgpr_workgroup_info 0
		.amdhsa_system_vgpr_workitem_id 0
		.amdhsa_next_free_vgpr 20
		.amdhsa_next_free_sgpr 48
		.amdhsa_reserve_vcc 1
		.amdhsa_float_round_mode_32 0
		.amdhsa_float_round_mode_16_64 0
		.amdhsa_float_denorm_mode_32 3
		.amdhsa_float_denorm_mode_16_64 3
		.amdhsa_dx10_clamp 1
		.amdhsa_ieee_mode 1
		.amdhsa_fp16_overflow 0
		.amdhsa_workgroup_processor_mode 1
		.amdhsa_memory_ordered 1
		.amdhsa_forward_progress 0
		.amdhsa_shared_vgpr_count 0
		.amdhsa_exception_fp_ieee_invalid_op 0
		.amdhsa_exception_fp_denorm_src 0
		.amdhsa_exception_fp_ieee_div_zero 0
		.amdhsa_exception_fp_ieee_overflow 0
		.amdhsa_exception_fp_ieee_underflow 0
		.amdhsa_exception_fp_ieee_inexact 0
		.amdhsa_exception_int_div_zero 0
	.end_amdhsa_kernel
	.section	.text._ZN9rocsparseL41csrgemm_numeric_fill_block_per_row_kernelILj1024ELj32ELj2048ELj137ELj64Eli21rocsparse_complex_numIfEEEvT5_PKS3_S5_NS_24const_host_device_scalarIT6_EEPKT4_S5_PKS7_SB_S5_SD_S8_SB_S5_SD_SB_S5_PS7_21rocsparse_index_base_SF_SF_SF_bbb,"axG",@progbits,_ZN9rocsparseL41csrgemm_numeric_fill_block_per_row_kernelILj1024ELj32ELj2048ELj137ELj64Eli21rocsparse_complex_numIfEEEvT5_PKS3_S5_NS_24const_host_device_scalarIT6_EEPKT4_S5_PKS7_SB_S5_SD_S8_SB_S5_SD_SB_S5_PS7_21rocsparse_index_base_SF_SF_SF_bbb,comdat
.Lfunc_end209:
	.size	_ZN9rocsparseL41csrgemm_numeric_fill_block_per_row_kernelILj1024ELj32ELj2048ELj137ELj64Eli21rocsparse_complex_numIfEEEvT5_PKS3_S5_NS_24const_host_device_scalarIT6_EEPKT4_S5_PKS7_SB_S5_SD_S8_SB_S5_SD_SB_S5_PS7_21rocsparse_index_base_SF_SF_SF_bbb, .Lfunc_end209-_ZN9rocsparseL41csrgemm_numeric_fill_block_per_row_kernelILj1024ELj32ELj2048ELj137ELj64Eli21rocsparse_complex_numIfEEEvT5_PKS3_S5_NS_24const_host_device_scalarIT6_EEPKT4_S5_PKS7_SB_S5_SD_S8_SB_S5_SD_SB_S5_PS7_21rocsparse_index_base_SF_SF_SF_bbb
                                        ; -- End function
	.section	.AMDGPU.csdata,"",@progbits
; Kernel info:
; codeLenInByte = 3588
; NumSgprs: 50
; NumVgprs: 20
; ScratchSize: 0
; MemoryBound: 0
; FloatMode: 240
; IeeeMode: 1
; LDSByteSize: 0 bytes/workgroup (compile time only)
; SGPRBlocks: 6
; VGPRBlocks: 2
; NumSGPRsForWavesPerEU: 50
; NumVGPRsForWavesPerEU: 20
; Occupancy: 16
; WaveLimiterHint : 1
; COMPUTE_PGM_RSRC2:SCRATCH_EN: 0
; COMPUTE_PGM_RSRC2:USER_SGPR: 15
; COMPUTE_PGM_RSRC2:TRAP_HANDLER: 0
; COMPUTE_PGM_RSRC2:TGID_X_EN: 1
; COMPUTE_PGM_RSRC2:TGID_Y_EN: 0
; COMPUTE_PGM_RSRC2:TGID_Z_EN: 0
; COMPUTE_PGM_RSRC2:TIDIG_COMP_CNT: 0
	.section	.text._ZN9rocsparseL41csrgemm_numeric_fill_block_per_row_kernelILj1024ELj64ELj4096ELj137ELj32Eli21rocsparse_complex_numIfEEEvT5_PKS3_S5_NS_24const_host_device_scalarIT6_EEPKT4_S5_PKS7_SB_S5_SD_S8_SB_S5_SD_SB_S5_PS7_21rocsparse_index_base_SF_SF_SF_bbb,"axG",@progbits,_ZN9rocsparseL41csrgemm_numeric_fill_block_per_row_kernelILj1024ELj64ELj4096ELj137ELj32Eli21rocsparse_complex_numIfEEEvT5_PKS3_S5_NS_24const_host_device_scalarIT6_EEPKT4_S5_PKS7_SB_S5_SD_S8_SB_S5_SD_SB_S5_PS7_21rocsparse_index_base_SF_SF_SF_bbb,comdat
	.globl	_ZN9rocsparseL41csrgemm_numeric_fill_block_per_row_kernelILj1024ELj64ELj4096ELj137ELj32Eli21rocsparse_complex_numIfEEEvT5_PKS3_S5_NS_24const_host_device_scalarIT6_EEPKT4_S5_PKS7_SB_S5_SD_S8_SB_S5_SD_SB_S5_PS7_21rocsparse_index_base_SF_SF_SF_bbb ; -- Begin function _ZN9rocsparseL41csrgemm_numeric_fill_block_per_row_kernelILj1024ELj64ELj4096ELj137ELj32Eli21rocsparse_complex_numIfEEEvT5_PKS3_S5_NS_24const_host_device_scalarIT6_EEPKT4_S5_PKS7_SB_S5_SD_S8_SB_S5_SD_SB_S5_PS7_21rocsparse_index_base_SF_SF_SF_bbb
	.p2align	8
	.type	_ZN9rocsparseL41csrgemm_numeric_fill_block_per_row_kernelILj1024ELj64ELj4096ELj137ELj32Eli21rocsparse_complex_numIfEEEvT5_PKS3_S5_NS_24const_host_device_scalarIT6_EEPKT4_S5_PKS7_SB_S5_SD_S8_SB_S5_SD_SB_S5_PS7_21rocsparse_index_base_SF_SF_SF_bbb,@function
_ZN9rocsparseL41csrgemm_numeric_fill_block_per_row_kernelILj1024ELj64ELj4096ELj137ELj32Eli21rocsparse_complex_numIfEEEvT5_PKS3_S5_NS_24const_host_device_scalarIT6_EEPKT4_S5_PKS7_SB_S5_SD_S8_SB_S5_SD_SB_S5_PS7_21rocsparse_index_base_SF_SF_SF_bbb: ; @_ZN9rocsparseL41csrgemm_numeric_fill_block_per_row_kernelILj1024ELj64ELj4096ELj137ELj32Eli21rocsparse_complex_numIfEEEvT5_PKS3_S5_NS_24const_host_device_scalarIT6_EEPKT4_S5_PKS7_SB_S5_SD_S8_SB_S5_SD_SB_S5_PS7_21rocsparse_index_base_SF_SF_SF_bbb
; %bb.0:
	s_clause 0x7
	s_load_b32 s12, s[0:1], 0x98
	s_load_b64 s[40:41], s[0:1], 0x70
	s_load_b128 s[24:27], s[0:1], 0x60
	s_load_b256 s[4:11], s[0:1], 0x40
	s_load_b128 s[28:31], s[0:1], 0x8
	s_load_b256 s[16:23], s[0:1], 0x20
	s_load_b64 s[34:35], s[0:1], 0x80
	s_load_b128 s[36:39], s[0:1], 0x88
	s_mov_b32 s3, 0
	s_mov_b32 s13, 0
	s_waitcnt lgkmcnt(0)
	s_bitcmp1_b32 s12, 0
	s_cselect_b32 s43, -1, 0
	s_bitcmp1_b32 s12, 16
	s_cselect_b32 s2, -1, 0
	s_delay_alu instid0(SALU_CYCLE_1) | instskip(SKIP_2) | instid1(VALU_DEP_1)
	s_xor_b32 s14, s2, -1
	s_bitcmp0_b32 s12, 0
	v_cndmask_b32_e64 v1, 0, 1, s14
	v_cmp_ne_u32_e32 vcc_lo, 1, v1
	s_cbranch_scc1 .LBB210_5
; %bb.1:
	s_load_b64 s[2:3], s[0:1], 0x18
	s_and_b32 vcc_lo, exec_lo, vcc_lo
	s_waitcnt lgkmcnt(0)
	s_mov_b32 s13, s2
	s_cbranch_vccnz .LBB210_3
; %bb.2:
	s_load_b32 s13, s[2:3], 0x0
.LBB210_3:
	s_and_not1_b32 vcc_lo, exec_lo, s14
	s_cbranch_vccnz .LBB210_5
; %bb.4:
	s_load_b32 s3, s[2:3], 0x4
.LBB210_5:
	s_bitcmp1_b32 s12, 8
	s_cselect_b32 s14, -1, 0
	s_bfe_u32 s2, s12, 0x10008
	s_mov_b32 s12, 0
	s_cmp_eq_u32 s2, 0
	s_mov_b32 s2, 0
	s_cbranch_scc1 .LBB210_11
; %bb.6:
	v_cmp_ne_u32_e32 vcc_lo, 1, v1
	s_mov_b32 s2, s8
	s_cbranch_vccnz .LBB210_8
; %bb.7:
	s_load_b32 s2, s[8:9], 0x0
.LBB210_8:
	v_cmp_ne_u32_e32 vcc_lo, 1, v1
	s_cbranch_vccnz .LBB210_10
; %bb.9:
	s_load_b32 s9, s[8:9], 0x4
.LBB210_10:
	s_waitcnt lgkmcnt(0)
	s_mov_b32 s12, s9
.LBB210_11:
	s_load_b32 s33, s[0:1], 0x0
	v_lshl_add_u32 v7, v0, 2, 0
	v_lshlrev_b32_e32 v1, 3, v0
	v_or_b32_e32 v8, 0xfffffc00, v0
	s_mov_b32 s0, 0
	s_delay_alu instid0(VALU_DEP_3) | instskip(NEXT) | instid1(VALU_DEP_3)
	v_mov_b32_e32 v2, v7
	v_add3_u32 v9, v1, 0, 0x4000
	v_mov_b32_e32 v1, 0
	v_mov_b32_e32 v3, v8
	s_waitcnt lgkmcnt(0)
	s_delay_alu instid0(VALU_DEP_3)
	v_dual_mov_b32 v5, v9 :: v_dual_mov_b32 v4, s33
.LBB210_12:                             ; =>This Inner Loop Header: Depth=1
	s_delay_alu instid0(VALU_DEP_2)
	v_add_nc_u32_e32 v3, 0x400, v3
	ds_store_b32 v2, v4
	ds_store_2addr_b32 v5, v1, v1 offset1:1
	v_add_nc_u32_e32 v5, 0x2000, v5
	v_add_nc_u32_e32 v2, 0x1000, v2
	v_cmp_lt_u32_e32 vcc_lo, 0xbff, v3
	s_or_b32 s0, vcc_lo, s0
	s_delay_alu instid0(SALU_CYCLE_1)
	s_and_not1_b32 exec_lo, exec_lo, s0
	s_cbranch_execnz .LBB210_12
; %bb.13:
	s_or_b32 exec_lo, exec_lo, s0
	s_waitcnt lgkmcnt(0)
	s_barrier
	buffer_gl0_inv
	s_load_b32 s0, s[28:29], 0x0
	s_mov_b32 s1, 0
	s_waitcnt lgkmcnt(0)
	s_add_i32 s0, s0, s15
	s_delay_alu instid0(SALU_CYCLE_1) | instskip(NEXT) | instid1(SALU_CYCLE_1)
	s_lshl_b64 s[0:1], s[0:1], 2
	s_add_u32 s0, s30, s0
	s_addc_u32 s1, s31, s1
	s_and_b32 vcc_lo, exec_lo, s43
	s_load_b32 s42, s[0:1], 0x0
	s_cbranch_vccz .LBB210_33
; %bb.14:
	s_waitcnt lgkmcnt(0)
	s_ashr_i32 s43, s42, 31
	v_lshrrev_b32_e32 v1, 6, v0
	s_lshl_b64 s[0:1], s[42:43], 3
	s_mov_b32 s8, exec_lo
	s_add_u32 s0, s16, s0
	s_addc_u32 s1, s17, s1
	s_load_b128 s[28:31], s[0:1], 0x0
	v_sub_co_u32 v1, s0, v1, s36
	s_delay_alu instid0(VALU_DEP_1) | instskip(SKIP_1) | instid1(VALU_DEP_2)
	v_sub_co_ci_u32_e64 v2, null, 0, 0, s0
	s_waitcnt lgkmcnt(0)
	v_add_co_u32 v1, vcc_lo, s28, v1
	s_delay_alu instid0(VALU_DEP_2)
	v_add_co_ci_u32_e32 v2, vcc_lo, s29, v2, vcc_lo
	s_sub_u32 s0, s30, s36
	s_subb_u32 s1, s31, 0
	s_delay_alu instid0(VALU_DEP_1) | instid1(SALU_CYCLE_1)
	v_cmpx_gt_i64_e64 s[0:1], v[1:2]
	s_cbranch_execz .LBB210_32
; %bb.15:
	v_and_b32_e32 v3, 63, v0
	s_mov_b32 s15, s37
	s_delay_alu instid0(VALU_DEP_1) | instskip(NEXT) | instid1(VALU_DEP_1)
	v_sub_co_u32 v10, s9, v3, s37
	v_sub_co_ci_u32_e64 v11, null, 0, 0, s9
	s_mov_b32 s9, 0
	s_branch .LBB210_17
.LBB210_16:                             ;   in Loop: Header=BB210_17 Depth=1
	s_or_b32 exec_lo, exec_lo, s16
	v_add_co_u32 v1, vcc_lo, v1, 16
	v_add_co_ci_u32_e32 v2, vcc_lo, 0, v2, vcc_lo
	s_delay_alu instid0(VALU_DEP_1) | instskip(SKIP_1) | instid1(SALU_CYCLE_1)
	v_cmp_le_i64_e32 vcc_lo, s[0:1], v[1:2]
	s_or_b32 s9, vcc_lo, s9
	s_and_not1_b32 exec_lo, exec_lo, s9
	s_cbranch_execz .LBB210_32
.LBB210_17:                             ; =>This Loop Header: Depth=1
                                        ;     Child Loop BB210_20 Depth 2
                                        ;       Child Loop BB210_22 Depth 3
	v_lshlrev_b64 v[3:4], 2, v[1:2]
	s_mov_b32 s16, exec_lo
	s_delay_alu instid0(VALU_DEP_1) | instskip(NEXT) | instid1(VALU_DEP_2)
	v_add_co_u32 v3, vcc_lo, s18, v3
	v_add_co_ci_u32_e32 v4, vcc_lo, s19, v4, vcc_lo
	global_load_b32 v3, v[3:4], off
	s_waitcnt vmcnt(0)
	v_subrev_nc_u32_e32 v3, s36, v3
	s_delay_alu instid0(VALU_DEP_1) | instskip(NEXT) | instid1(VALU_DEP_1)
	v_ashrrev_i32_e32 v4, 31, v3
	v_lshlrev_b64 v[3:4], 3, v[3:4]
	s_delay_alu instid0(VALU_DEP_1) | instskip(NEXT) | instid1(VALU_DEP_2)
	v_add_co_u32 v3, vcc_lo, s22, v3
	v_add_co_ci_u32_e32 v4, vcc_lo, s23, v4, vcc_lo
	global_load_b128 v[12:15], v[3:4], off
	s_waitcnt vmcnt(0)
	v_sub_co_u32 v3, vcc_lo, v14, s15
	v_subrev_co_ci_u32_e32 v4, vcc_lo, 0, v15, vcc_lo
	v_add_co_u32 v5, vcc_lo, v12, v10
	v_add_co_ci_u32_e32 v6, vcc_lo, v13, v11, vcc_lo
	s_delay_alu instid0(VALU_DEP_1)
	v_cmpx_lt_i64_e64 v[5:6], v[3:4]
	s_cbranch_execz .LBB210_16
; %bb.18:                               ;   in Loop: Header=BB210_17 Depth=1
	v_lshlrev_b64 v[12:13], 3, v[1:2]
	s_mov_b32 s17, 0
	s_delay_alu instid0(VALU_DEP_1) | instskip(NEXT) | instid1(VALU_DEP_2)
	v_add_co_u32 v12, vcc_lo, s20, v12
	v_add_co_ci_u32_e32 v13, vcc_lo, s21, v13, vcc_lo
	global_load_b64 v[14:15], v[12:13], off
	s_waitcnt vmcnt(0)
	v_mul_f32_e64 v12, v15, -s3
	s_delay_alu instid0(VALU_DEP_1) | instskip(NEXT) | instid1(VALU_DEP_1)
	v_dual_mul_f32 v13, s13, v15 :: v_dual_fmac_f32 v12, s13, v14
	v_fmac_f32_e32 v13, s3, v14
	s_branch .LBB210_20
.LBB210_19:                             ;   in Loop: Header=BB210_20 Depth=2
	s_or_b32 exec_lo, exec_lo, s28
	v_add_co_u32 v5, vcc_lo, v5, 64
	v_add_co_ci_u32_e32 v6, vcc_lo, 0, v6, vcc_lo
	s_delay_alu instid0(VALU_DEP_1) | instskip(SKIP_1) | instid1(SALU_CYCLE_1)
	v_cmp_ge_i64_e32 vcc_lo, v[5:6], v[3:4]
	s_or_b32 s17, vcc_lo, s17
	s_and_not1_b32 exec_lo, exec_lo, s17
	s_cbranch_execz .LBB210_16
.LBB210_20:                             ;   Parent Loop BB210_17 Depth=1
                                        ; =>  This Loop Header: Depth=2
                                        ;       Child Loop BB210_22 Depth 3
	v_lshlrev_b64 v[14:15], 2, v[5:6]
	v_lshlrev_b64 v[16:17], 3, v[5:6]
	s_mov_b32 s28, 0
	s_delay_alu instid0(VALU_DEP_2) | instskip(NEXT) | instid1(VALU_DEP_3)
	v_add_co_u32 v14, vcc_lo, s4, v14
	v_add_co_ci_u32_e32 v15, vcc_lo, s5, v15, vcc_lo
	global_load_b32 v19, v[14:15], off
	v_add_co_u32 v14, vcc_lo, s6, v16
	v_add_co_ci_u32_e32 v15, vcc_lo, s7, v17, vcc_lo
	global_load_b64 v[17:18], v[14:15], off
	s_waitcnt vmcnt(1)
	v_subrev_nc_u32_e32 v14, s37, v19
	s_delay_alu instid0(VALU_DEP_1) | instskip(SKIP_3) | instid1(VALU_DEP_2)
	v_mul_lo_u32 v19, 0x89, v14
	s_waitcnt vmcnt(0)
	v_mul_f32_e64 v15, v18, -v13
	v_mul_f32_e32 v16, v12, v18
	v_fmac_f32_e32 v15, v12, v17
	s_delay_alu instid0(VALU_DEP_2)
	v_dual_fmac_f32 v16, v13, v17 :: v_dual_and_b32 v17, 0xfff, v19
	s_branch .LBB210_22
.LBB210_21:                             ;   in Loop: Header=BB210_22 Depth=3
	s_or_b32 exec_lo, exec_lo, s29
	s_xor_b32 s29, s30, -1
	s_delay_alu instid0(SALU_CYCLE_1) | instskip(NEXT) | instid1(SALU_CYCLE_1)
	s_and_b32 s29, exec_lo, s29
	s_or_b32 s28, s29, s28
	s_delay_alu instid0(SALU_CYCLE_1)
	s_and_not1_b32 exec_lo, exec_lo, s28
	s_cbranch_execz .LBB210_19
.LBB210_22:                             ;   Parent Loop BB210_17 Depth=1
                                        ;     Parent Loop BB210_20 Depth=2
                                        ; =>    This Inner Loop Header: Depth=3
	s_delay_alu instid0(VALU_DEP_1)
	v_lshl_add_u32 v18, v17, 2, 0
	s_mov_b32 s29, exec_lo
                                        ; implicit-def: $sgpr30
	ds_load_b32 v19, v18
	s_waitcnt lgkmcnt(0)
	v_cmpx_ne_u32_e64 v19, v14
	s_xor_b32 s29, exec_lo, s29
	s_cbranch_execz .LBB210_30
; %bb.23:                               ;   in Loop: Header=BB210_22 Depth=3
	s_mov_b32 s31, exec_lo
                                        ; implicit-def: $sgpr30
	v_cmpx_ne_u32_e64 s33, v19
	s_xor_b32 s31, exec_lo, s31
; %bb.24:                               ;   in Loop: Header=BB210_22 Depth=3
	v_add_nc_u32_e32 v17, 1, v17
	s_mov_b32 s30, -1
                                        ; implicit-def: $vgpr18
	s_delay_alu instid0(VALU_DEP_1)
	v_and_b32_e32 v17, 0xfff, v17
; %bb.25:                               ;   in Loop: Header=BB210_22 Depth=3
	s_and_not1_saveexec_b32 s31, s31
	s_cbranch_execz .LBB210_29
; %bb.26:                               ;   in Loop: Header=BB210_22 Depth=3
	v_mov_b32_e32 v19, s33
	s_mov_b32 s43, -1
	s_mov_b32 s44, exec_lo
	ds_cmpstore_rtn_b32 v19, v18, v14, v19
	s_waitcnt lgkmcnt(0)
	v_cmpx_eq_u32_e64 s33, v19
	s_cbranch_execz .LBB210_28
; %bb.27:                               ;   in Loop: Header=BB210_22 Depth=3
	v_lshl_add_u32 v18, v17, 2, v18
	s_xor_b32 s43, exec_lo, -1
	ds_add_f32 v18, v15 offset:16384
	ds_add_f32 v18, v16 offset:16388
.LBB210_28:                             ;   in Loop: Header=BB210_22 Depth=3
	s_or_b32 exec_lo, exec_lo, s44
	s_delay_alu instid0(SALU_CYCLE_1) | instskip(SKIP_1) | instid1(SALU_CYCLE_1)
	s_and_not1_b32 s30, s30, exec_lo
	s_and_b32 s43, s43, exec_lo
	s_or_b32 s30, s30, s43
.LBB210_29:                             ;   in Loop: Header=BB210_22 Depth=3
	s_or_b32 exec_lo, exec_lo, s31
	s_delay_alu instid0(SALU_CYCLE_1)
	s_and_b32 s30, s30, exec_lo
                                        ; implicit-def: $vgpr18
.LBB210_30:                             ;   in Loop: Header=BB210_22 Depth=3
	s_and_not1_saveexec_b32 s29, s29
	s_cbranch_execz .LBB210_21
; %bb.31:                               ;   in Loop: Header=BB210_22 Depth=3
	v_lshl_add_u32 v18, v17, 2, v18
	s_and_not1_b32 s30, s30, exec_lo
	ds_add_f32 v18, v15 offset:16384
	ds_add_f32 v18, v16 offset:16388
	s_branch .LBB210_21
.LBB210_32:
	s_or_b32 exec_lo, exec_lo, s8
.LBB210_33:
	s_delay_alu instid0(SALU_CYCLE_1)
	s_and_not1_b32 vcc_lo, exec_lo, s14
	s_cbranch_vccnz .LBB210_36
; %bb.34:
	s_waitcnt lgkmcnt(0)
	s_ashr_i32 s43, s42, 31
	s_mov_b32 s3, exec_lo
	s_lshl_b64 s[0:1], s[42:43], 3
	s_delay_alu instid0(SALU_CYCLE_1) | instskip(SKIP_3) | instid1(VALU_DEP_1)
	s_add_u32 s0, s10, s0
	s_addc_u32 s1, s11, s1
	s_load_b128 s[4:7], s[0:1], 0x0
	v_sub_co_u32 v1, s0, v0, s39
	v_sub_co_ci_u32_e64 v2, null, 0, 0, s0
	s_waitcnt lgkmcnt(0)
	s_delay_alu instid0(VALU_DEP_2) | instskip(NEXT) | instid1(VALU_DEP_2)
	v_add_co_u32 v1, vcc_lo, s4, v1
	v_add_co_ci_u32_e32 v2, vcc_lo, s5, v2, vcc_lo
	s_sub_u32 s0, s6, s39
	s_subb_u32 s1, s7, 0
	s_mov_b32 s4, 0
	s_delay_alu instid0(VALU_DEP_1)
	v_cmpx_gt_i64_e64 s[0:1], v[1:2]
	s_cbranch_execnz .LBB210_105
.LBB210_35:
	s_or_b32 exec_lo, exec_lo, s3
.LBB210_36:
	v_mbcnt_lo_u32_b32 v1, -1, 0
	v_lshrrev_b32_e32 v2, 3, v0
	v_cmp_eq_u32_e32 vcc_lo, 0x3ff, v0
	v_cmp_lt_u32_e64 s0, 31, v0
	v_cmp_lt_u32_e64 s1, 63, v0
	v_xor_b32_e32 v1, 63, v1
	v_dual_mov_b32 v6, 0 :: v_dual_and_b32 v3, 0x7c, v2
	v_cmp_lt_u32_e64 s2, 0x5f, v0
	v_cmp_lt_u32_e64 s3, 0x7f, v0
	s_delay_alu instid0(VALU_DEP_4) | instskip(NEXT) | instid1(VALU_DEP_4)
	v_lshrrev_b64 v[1:2], v1, -1
	v_dual_mov_b32 v5, 0 :: v_dual_add_nc_u32 v4, 0, v3
	v_cmp_lt_u32_e64 s4, 0x9f, v0
	v_cmp_lt_u32_e64 s5, 0xbf, v0
	;; [unrolled: 1-line block ×27, first 2 shown]
	s_mov_b32 s36, 0
	s_waitcnt lgkmcnt(0)
	s_barrier
	buffer_gl0_inv
	s_branch .LBB210_38
.LBB210_37:                             ;   in Loop: Header=BB210_38 Depth=1
	s_or_b32 exec_lo, exec_lo, s31
	s_waitcnt lgkmcnt(0)
	s_barrier
	buffer_gl0_inv
	ds_load_b32 v2, v5 offset:49276
	v_add_nc_u32_e32 v8, 0x400, v8
	v_add_nc_u32_e32 v9, 0x2000, v9
	;; [unrolled: 1-line block ×3, first 2 shown]
	s_delay_alu instid0(VALU_DEP_3) | instskip(NEXT) | instid1(VALU_DEP_1)
	v_cmp_lt_u32_e64 s31, 0xbff, v8
	s_or_b32 s36, s31, s36
	s_waitcnt lgkmcnt(0)
	v_add_nc_u32_e32 v6, v2, v6
	s_and_not1_b32 exec_lo, exec_lo, s36
	s_cbranch_execz .LBB210_117
.LBB210_38:                             ; =>This Inner Loop Header: Depth=1
	ds_load_b32 v10, v7
	ds_load_2addr_b32 v[2:3], v9 offset1:1
	s_waitcnt lgkmcnt(0)
	s_barrier
	buffer_gl0_inv
	v_cmp_gt_i32_e64 s31, s33, v10
	s_delay_alu instid0(VALU_DEP_1) | instskip(NEXT) | instid1(SALU_CYCLE_1)
	s_bcnt1_i32_b32 s37, s31
	v_dual_mov_b32 v12, s37 :: v_dual_and_b32 v11, s31, v1
	s_delay_alu instid0(VALU_DEP_1)
	v_bcnt_u32_b32 v11, v11, 0
	ds_store_b32 v4, v12 offset:49152
	s_waitcnt lgkmcnt(0)
	s_barrier
	buffer_gl0_inv
	s_and_saveexec_b32 s37, s0
	s_cbranch_execnz .LBB210_71
; %bb.39:                               ;   in Loop: Header=BB210_38 Depth=1
	s_or_b32 exec_lo, exec_lo, s37
	s_and_saveexec_b32 s37, s1
	s_cbranch_execnz .LBB210_72
.LBB210_40:                             ;   in Loop: Header=BB210_38 Depth=1
	s_or_b32 exec_lo, exec_lo, s37
	s_and_saveexec_b32 s37, s2
	s_cbranch_execnz .LBB210_73
.LBB210_41:                             ;   in Loop: Header=BB210_38 Depth=1
	s_or_b32 exec_lo, exec_lo, s37
	s_and_saveexec_b32 s37, s3
	s_cbranch_execnz .LBB210_74
.LBB210_42:                             ;   in Loop: Header=BB210_38 Depth=1
	s_or_b32 exec_lo, exec_lo, s37
	s_and_saveexec_b32 s37, s4
	s_cbranch_execnz .LBB210_75
.LBB210_43:                             ;   in Loop: Header=BB210_38 Depth=1
	s_or_b32 exec_lo, exec_lo, s37
	s_and_saveexec_b32 s37, s5
	s_cbranch_execnz .LBB210_76
.LBB210_44:                             ;   in Loop: Header=BB210_38 Depth=1
	s_or_b32 exec_lo, exec_lo, s37
	s_and_saveexec_b32 s37, s6
	s_cbranch_execnz .LBB210_77
.LBB210_45:                             ;   in Loop: Header=BB210_38 Depth=1
	s_or_b32 exec_lo, exec_lo, s37
	s_and_saveexec_b32 s37, s7
	s_cbranch_execnz .LBB210_78
.LBB210_46:                             ;   in Loop: Header=BB210_38 Depth=1
	s_or_b32 exec_lo, exec_lo, s37
	s_and_saveexec_b32 s37, s8
	s_cbranch_execnz .LBB210_79
.LBB210_47:                             ;   in Loop: Header=BB210_38 Depth=1
	s_or_b32 exec_lo, exec_lo, s37
	s_and_saveexec_b32 s37, s9
	s_cbranch_execnz .LBB210_80
.LBB210_48:                             ;   in Loop: Header=BB210_38 Depth=1
	s_or_b32 exec_lo, exec_lo, s37
	s_and_saveexec_b32 s37, s10
	s_cbranch_execnz .LBB210_81
.LBB210_49:                             ;   in Loop: Header=BB210_38 Depth=1
	s_or_b32 exec_lo, exec_lo, s37
	s_and_saveexec_b32 s37, s11
	s_cbranch_execnz .LBB210_82
.LBB210_50:                             ;   in Loop: Header=BB210_38 Depth=1
	s_or_b32 exec_lo, exec_lo, s37
	s_and_saveexec_b32 s37, s12
	s_cbranch_execnz .LBB210_83
.LBB210_51:                             ;   in Loop: Header=BB210_38 Depth=1
	s_or_b32 exec_lo, exec_lo, s37
	s_and_saveexec_b32 s37, s13
	s_cbranch_execnz .LBB210_84
.LBB210_52:                             ;   in Loop: Header=BB210_38 Depth=1
	s_or_b32 exec_lo, exec_lo, s37
	s_and_saveexec_b32 s37, s14
	s_cbranch_execnz .LBB210_85
.LBB210_53:                             ;   in Loop: Header=BB210_38 Depth=1
	s_or_b32 exec_lo, exec_lo, s37
	s_and_saveexec_b32 s37, s15
	s_cbranch_execnz .LBB210_86
.LBB210_54:                             ;   in Loop: Header=BB210_38 Depth=1
	s_or_b32 exec_lo, exec_lo, s37
	s_and_saveexec_b32 s37, s16
	s_cbranch_execnz .LBB210_87
.LBB210_55:                             ;   in Loop: Header=BB210_38 Depth=1
	s_or_b32 exec_lo, exec_lo, s37
	s_and_saveexec_b32 s37, s17
	s_cbranch_execnz .LBB210_88
.LBB210_56:                             ;   in Loop: Header=BB210_38 Depth=1
	s_or_b32 exec_lo, exec_lo, s37
	s_and_saveexec_b32 s37, s18
	s_cbranch_execnz .LBB210_89
.LBB210_57:                             ;   in Loop: Header=BB210_38 Depth=1
	s_or_b32 exec_lo, exec_lo, s37
	s_and_saveexec_b32 s37, s19
	s_cbranch_execnz .LBB210_90
.LBB210_58:                             ;   in Loop: Header=BB210_38 Depth=1
	s_or_b32 exec_lo, exec_lo, s37
	s_and_saveexec_b32 s37, s20
	s_cbranch_execnz .LBB210_91
.LBB210_59:                             ;   in Loop: Header=BB210_38 Depth=1
	s_or_b32 exec_lo, exec_lo, s37
	s_and_saveexec_b32 s37, s21
	s_cbranch_execnz .LBB210_92
.LBB210_60:                             ;   in Loop: Header=BB210_38 Depth=1
	s_or_b32 exec_lo, exec_lo, s37
	s_and_saveexec_b32 s37, s22
	s_cbranch_execnz .LBB210_93
.LBB210_61:                             ;   in Loop: Header=BB210_38 Depth=1
	s_or_b32 exec_lo, exec_lo, s37
	s_and_saveexec_b32 s37, s23
	s_cbranch_execnz .LBB210_94
.LBB210_62:                             ;   in Loop: Header=BB210_38 Depth=1
	s_or_b32 exec_lo, exec_lo, s37
	s_and_saveexec_b32 s37, s24
	s_cbranch_execnz .LBB210_95
.LBB210_63:                             ;   in Loop: Header=BB210_38 Depth=1
	s_or_b32 exec_lo, exec_lo, s37
	s_and_saveexec_b32 s37, s25
	s_cbranch_execnz .LBB210_96
.LBB210_64:                             ;   in Loop: Header=BB210_38 Depth=1
	s_or_b32 exec_lo, exec_lo, s37
	s_and_saveexec_b32 s37, s26
	s_cbranch_execnz .LBB210_97
.LBB210_65:                             ;   in Loop: Header=BB210_38 Depth=1
	s_or_b32 exec_lo, exec_lo, s37
	s_and_saveexec_b32 s37, s27
	s_cbranch_execnz .LBB210_98
.LBB210_66:                             ;   in Loop: Header=BB210_38 Depth=1
	s_or_b32 exec_lo, exec_lo, s37
	s_and_saveexec_b32 s37, s28
	s_cbranch_execnz .LBB210_99
.LBB210_67:                             ;   in Loop: Header=BB210_38 Depth=1
	s_or_b32 exec_lo, exec_lo, s37
	s_and_saveexec_b32 s37, s29
	s_cbranch_execnz .LBB210_100
.LBB210_68:                             ;   in Loop: Header=BB210_38 Depth=1
	s_or_b32 exec_lo, exec_lo, s37
	s_and_saveexec_b32 s37, s30
	s_cbranch_execnz .LBB210_101
.LBB210_69:                             ;   in Loop: Header=BB210_38 Depth=1
	s_or_b32 exec_lo, exec_lo, s37
	s_and_saveexec_b32 s37, s31
	s_cbranch_execnz .LBB210_102
.LBB210_70:                             ;   in Loop: Header=BB210_38 Depth=1
	s_or_b32 exec_lo, exec_lo, s37
	s_and_saveexec_b32 s31, vcc_lo
	s_cbranch_execz .LBB210_37
	s_branch .LBB210_103
.LBB210_71:                             ;   in Loop: Header=BB210_38 Depth=1
	ds_load_b32 v12, v5 offset:49152
	s_waitcnt lgkmcnt(0)
	v_add_nc_u32_e32 v11, v12, v11
	s_or_b32 exec_lo, exec_lo, s37
	s_and_saveexec_b32 s37, s1
	s_cbranch_execz .LBB210_40
.LBB210_72:                             ;   in Loop: Header=BB210_38 Depth=1
	ds_load_b32 v12, v5 offset:49156
	s_waitcnt lgkmcnt(0)
	v_add_nc_u32_e32 v11, v12, v11
	s_or_b32 exec_lo, exec_lo, s37
	s_and_saveexec_b32 s37, s2
	s_cbranch_execz .LBB210_41
.LBB210_73:                             ;   in Loop: Header=BB210_38 Depth=1
	ds_load_b32 v12, v5 offset:49160
	s_waitcnt lgkmcnt(0)
	v_add_nc_u32_e32 v11, v12, v11
	s_or_b32 exec_lo, exec_lo, s37
	s_and_saveexec_b32 s37, s3
	s_cbranch_execz .LBB210_42
.LBB210_74:                             ;   in Loop: Header=BB210_38 Depth=1
	ds_load_b32 v12, v5 offset:49164
	s_waitcnt lgkmcnt(0)
	v_add_nc_u32_e32 v11, v12, v11
	s_or_b32 exec_lo, exec_lo, s37
	s_and_saveexec_b32 s37, s4
	s_cbranch_execz .LBB210_43
.LBB210_75:                             ;   in Loop: Header=BB210_38 Depth=1
	ds_load_b32 v12, v5 offset:49168
	s_waitcnt lgkmcnt(0)
	v_add_nc_u32_e32 v11, v12, v11
	s_or_b32 exec_lo, exec_lo, s37
	s_and_saveexec_b32 s37, s5
	s_cbranch_execz .LBB210_44
.LBB210_76:                             ;   in Loop: Header=BB210_38 Depth=1
	ds_load_b32 v12, v5 offset:49172
	s_waitcnt lgkmcnt(0)
	v_add_nc_u32_e32 v11, v12, v11
	s_or_b32 exec_lo, exec_lo, s37
	s_and_saveexec_b32 s37, s6
	s_cbranch_execz .LBB210_45
.LBB210_77:                             ;   in Loop: Header=BB210_38 Depth=1
	ds_load_b32 v12, v5 offset:49176
	s_waitcnt lgkmcnt(0)
	v_add_nc_u32_e32 v11, v12, v11
	s_or_b32 exec_lo, exec_lo, s37
	s_and_saveexec_b32 s37, s7
	s_cbranch_execz .LBB210_46
.LBB210_78:                             ;   in Loop: Header=BB210_38 Depth=1
	ds_load_b32 v12, v5 offset:49180
	s_waitcnt lgkmcnt(0)
	v_add_nc_u32_e32 v11, v12, v11
	s_or_b32 exec_lo, exec_lo, s37
	s_and_saveexec_b32 s37, s8
	s_cbranch_execz .LBB210_47
.LBB210_79:                             ;   in Loop: Header=BB210_38 Depth=1
	ds_load_b32 v12, v5 offset:49184
	s_waitcnt lgkmcnt(0)
	v_add_nc_u32_e32 v11, v12, v11
	s_or_b32 exec_lo, exec_lo, s37
	s_and_saveexec_b32 s37, s9
	s_cbranch_execz .LBB210_48
.LBB210_80:                             ;   in Loop: Header=BB210_38 Depth=1
	ds_load_b32 v12, v5 offset:49188
	s_waitcnt lgkmcnt(0)
	v_add_nc_u32_e32 v11, v12, v11
	s_or_b32 exec_lo, exec_lo, s37
	s_and_saveexec_b32 s37, s10
	s_cbranch_execz .LBB210_49
.LBB210_81:                             ;   in Loop: Header=BB210_38 Depth=1
	ds_load_b32 v12, v5 offset:49192
	s_waitcnt lgkmcnt(0)
	v_add_nc_u32_e32 v11, v12, v11
	s_or_b32 exec_lo, exec_lo, s37
	s_and_saveexec_b32 s37, s11
	s_cbranch_execz .LBB210_50
.LBB210_82:                             ;   in Loop: Header=BB210_38 Depth=1
	ds_load_b32 v12, v5 offset:49196
	s_waitcnt lgkmcnt(0)
	v_add_nc_u32_e32 v11, v12, v11
	s_or_b32 exec_lo, exec_lo, s37
	s_and_saveexec_b32 s37, s12
	s_cbranch_execz .LBB210_51
.LBB210_83:                             ;   in Loop: Header=BB210_38 Depth=1
	ds_load_b32 v12, v5 offset:49200
	s_waitcnt lgkmcnt(0)
	v_add_nc_u32_e32 v11, v12, v11
	s_or_b32 exec_lo, exec_lo, s37
	s_and_saveexec_b32 s37, s13
	s_cbranch_execz .LBB210_52
.LBB210_84:                             ;   in Loop: Header=BB210_38 Depth=1
	ds_load_b32 v12, v5 offset:49204
	s_waitcnt lgkmcnt(0)
	v_add_nc_u32_e32 v11, v12, v11
	s_or_b32 exec_lo, exec_lo, s37
	s_and_saveexec_b32 s37, s14
	s_cbranch_execz .LBB210_53
.LBB210_85:                             ;   in Loop: Header=BB210_38 Depth=1
	ds_load_b32 v12, v5 offset:49208
	s_waitcnt lgkmcnt(0)
	v_add_nc_u32_e32 v11, v12, v11
	s_or_b32 exec_lo, exec_lo, s37
	s_and_saveexec_b32 s37, s15
	s_cbranch_execz .LBB210_54
.LBB210_86:                             ;   in Loop: Header=BB210_38 Depth=1
	ds_load_b32 v12, v5 offset:49212
	s_waitcnt lgkmcnt(0)
	v_add_nc_u32_e32 v11, v12, v11
	s_or_b32 exec_lo, exec_lo, s37
	s_and_saveexec_b32 s37, s16
	s_cbranch_execz .LBB210_55
.LBB210_87:                             ;   in Loop: Header=BB210_38 Depth=1
	ds_load_b32 v12, v5 offset:49216
	s_waitcnt lgkmcnt(0)
	v_add_nc_u32_e32 v11, v12, v11
	s_or_b32 exec_lo, exec_lo, s37
	s_and_saveexec_b32 s37, s17
	s_cbranch_execz .LBB210_56
.LBB210_88:                             ;   in Loop: Header=BB210_38 Depth=1
	ds_load_b32 v12, v5 offset:49220
	s_waitcnt lgkmcnt(0)
	v_add_nc_u32_e32 v11, v12, v11
	s_or_b32 exec_lo, exec_lo, s37
	s_and_saveexec_b32 s37, s18
	s_cbranch_execz .LBB210_57
.LBB210_89:                             ;   in Loop: Header=BB210_38 Depth=1
	ds_load_b32 v12, v5 offset:49224
	s_waitcnt lgkmcnt(0)
	v_add_nc_u32_e32 v11, v12, v11
	s_or_b32 exec_lo, exec_lo, s37
	s_and_saveexec_b32 s37, s19
	s_cbranch_execz .LBB210_58
.LBB210_90:                             ;   in Loop: Header=BB210_38 Depth=1
	ds_load_b32 v12, v5 offset:49228
	s_waitcnt lgkmcnt(0)
	v_add_nc_u32_e32 v11, v12, v11
	s_or_b32 exec_lo, exec_lo, s37
	s_and_saveexec_b32 s37, s20
	s_cbranch_execz .LBB210_59
.LBB210_91:                             ;   in Loop: Header=BB210_38 Depth=1
	ds_load_b32 v12, v5 offset:49232
	s_waitcnt lgkmcnt(0)
	v_add_nc_u32_e32 v11, v12, v11
	s_or_b32 exec_lo, exec_lo, s37
	s_and_saveexec_b32 s37, s21
	s_cbranch_execz .LBB210_60
.LBB210_92:                             ;   in Loop: Header=BB210_38 Depth=1
	ds_load_b32 v12, v5 offset:49236
	s_waitcnt lgkmcnt(0)
	v_add_nc_u32_e32 v11, v12, v11
	s_or_b32 exec_lo, exec_lo, s37
	s_and_saveexec_b32 s37, s22
	s_cbranch_execz .LBB210_61
.LBB210_93:                             ;   in Loop: Header=BB210_38 Depth=1
	ds_load_b32 v12, v5 offset:49240
	s_waitcnt lgkmcnt(0)
	v_add_nc_u32_e32 v11, v12, v11
	s_or_b32 exec_lo, exec_lo, s37
	s_and_saveexec_b32 s37, s23
	s_cbranch_execz .LBB210_62
.LBB210_94:                             ;   in Loop: Header=BB210_38 Depth=1
	ds_load_b32 v12, v5 offset:49244
	s_waitcnt lgkmcnt(0)
	v_add_nc_u32_e32 v11, v12, v11
	s_or_b32 exec_lo, exec_lo, s37
	s_and_saveexec_b32 s37, s24
	s_cbranch_execz .LBB210_63
.LBB210_95:                             ;   in Loop: Header=BB210_38 Depth=1
	ds_load_b32 v12, v5 offset:49248
	s_waitcnt lgkmcnt(0)
	v_add_nc_u32_e32 v11, v12, v11
	s_or_b32 exec_lo, exec_lo, s37
	s_and_saveexec_b32 s37, s25
	s_cbranch_execz .LBB210_64
.LBB210_96:                             ;   in Loop: Header=BB210_38 Depth=1
	ds_load_b32 v12, v5 offset:49252
	s_waitcnt lgkmcnt(0)
	v_add_nc_u32_e32 v11, v12, v11
	s_or_b32 exec_lo, exec_lo, s37
	s_and_saveexec_b32 s37, s26
	s_cbranch_execz .LBB210_65
.LBB210_97:                             ;   in Loop: Header=BB210_38 Depth=1
	ds_load_b32 v12, v5 offset:49256
	s_waitcnt lgkmcnt(0)
	v_add_nc_u32_e32 v11, v12, v11
	s_or_b32 exec_lo, exec_lo, s37
	s_and_saveexec_b32 s37, s27
	s_cbranch_execz .LBB210_66
.LBB210_98:                             ;   in Loop: Header=BB210_38 Depth=1
	ds_load_b32 v12, v5 offset:49260
	s_waitcnt lgkmcnt(0)
	v_add_nc_u32_e32 v11, v12, v11
	s_or_b32 exec_lo, exec_lo, s37
	s_and_saveexec_b32 s37, s28
	s_cbranch_execz .LBB210_67
.LBB210_99:                             ;   in Loop: Header=BB210_38 Depth=1
	ds_load_b32 v12, v5 offset:49264
	s_waitcnt lgkmcnt(0)
	v_add_nc_u32_e32 v11, v12, v11
	s_or_b32 exec_lo, exec_lo, s37
	s_and_saveexec_b32 s37, s29
	s_cbranch_execz .LBB210_68
.LBB210_100:                            ;   in Loop: Header=BB210_38 Depth=1
	ds_load_b32 v12, v5 offset:49268
	s_waitcnt lgkmcnt(0)
	v_add_nc_u32_e32 v11, v12, v11
	s_or_b32 exec_lo, exec_lo, s37
	s_and_saveexec_b32 s37, s30
	s_cbranch_execz .LBB210_69
.LBB210_101:                            ;   in Loop: Header=BB210_38 Depth=1
	ds_load_b32 v12, v5 offset:49272
	s_waitcnt lgkmcnt(0)
	v_add_nc_u32_e32 v11, v12, v11
	s_or_b32 exec_lo, exec_lo, s37
	s_and_saveexec_b32 s37, s31
	s_cbranch_execz .LBB210_70
.LBB210_102:                            ;   in Loop: Header=BB210_38 Depth=1
	s_delay_alu instid0(VALU_DEP_1) | instskip(NEXT) | instid1(VALU_DEP_1)
	v_add3_u32 v12, v6, -1, v11
	v_lshlrev_b32_e32 v13, 3, v12
	v_lshl_add_u32 v12, v12, 2, 0
	s_delay_alu instid0(VALU_DEP_2)
	v_add3_u32 v13, 0, v13, 0x4000
	ds_store_b32 v12, v10
	ds_store_2addr_b32 v13, v2, v3 offset1:1
	s_or_b32 exec_lo, exec_lo, s37
	s_and_saveexec_b32 s31, vcc_lo
	s_cbranch_execz .LBB210_37
.LBB210_103:                            ;   in Loop: Header=BB210_38 Depth=1
	ds_store_b32 v5, v11 offset:49276
	s_branch .LBB210_37
.LBB210_104:                            ;   in Loop: Header=BB210_105 Depth=1
	s_or_b32 exec_lo, exec_lo, s5
	v_add_co_u32 v1, vcc_lo, 0x400, v1
	v_add_co_ci_u32_e32 v2, vcc_lo, 0, v2, vcc_lo
	s_delay_alu instid0(VALU_DEP_1) | instskip(SKIP_1) | instid1(SALU_CYCLE_1)
	v_cmp_le_i64_e32 vcc_lo, s[0:1], v[1:2]
	s_or_b32 s4, vcc_lo, s4
	s_and_not1_b32 exec_lo, exec_lo, s4
	s_cbranch_execz .LBB210_35
.LBB210_105:                            ; =>This Loop Header: Depth=1
                                        ;     Child Loop BB210_107 Depth 2
	v_lshlrev_b64 v[3:4], 2, v[1:2]
	v_lshlrev_b64 v[5:6], 3, v[1:2]
	s_mov_b32 s5, 0
	s_delay_alu instid0(VALU_DEP_2) | instskip(NEXT) | instid1(VALU_DEP_3)
	v_add_co_u32 v3, vcc_lo, s24, v3
	v_add_co_ci_u32_e32 v4, vcc_lo, s25, v4, vcc_lo
	global_load_b32 v12, v[3:4], off
	v_add_co_u32 v3, vcc_lo, s26, v5
	v_add_co_ci_u32_e32 v4, vcc_lo, s27, v6, vcc_lo
	global_load_b64 v[10:11], v[3:4], off
	s_waitcnt vmcnt(1)
	v_subrev_nc_u32_e32 v3, s39, v12
	s_delay_alu instid0(VALU_DEP_1) | instskip(SKIP_2) | instid1(VALU_DEP_1)
	v_mul_lo_u32 v6, 0x89, v3
	s_waitcnt vmcnt(0)
	v_mul_f32_e64 v4, v11, -s12
	v_dual_mul_f32 v5, s2, v11 :: v_dual_fmac_f32 v4, s2, v10
	s_delay_alu instid0(VALU_DEP_1) | instskip(NEXT) | instid1(VALU_DEP_4)
	v_fmac_f32_e32 v5, s12, v10
	v_and_b32_e32 v6, 0xfff, v6
	s_branch .LBB210_107
.LBB210_106:                            ;   in Loop: Header=BB210_107 Depth=2
	s_or_b32 exec_lo, exec_lo, s6
	s_xor_b32 s6, s7, -1
	s_delay_alu instid0(SALU_CYCLE_1) | instskip(NEXT) | instid1(SALU_CYCLE_1)
	s_and_b32 s6, exec_lo, s6
	s_or_b32 s5, s6, s5
	s_delay_alu instid0(SALU_CYCLE_1)
	s_and_not1_b32 exec_lo, exec_lo, s5
	s_cbranch_execz .LBB210_104
.LBB210_107:                            ;   Parent Loop BB210_105 Depth=1
                                        ; =>  This Inner Loop Header: Depth=2
	s_delay_alu instid0(VALU_DEP_1)
	v_lshl_add_u32 v10, v6, 2, 0
	s_mov_b32 s6, exec_lo
                                        ; implicit-def: $sgpr7
	ds_load_b32 v11, v10
	s_waitcnt lgkmcnt(0)
	v_cmpx_ne_u32_e64 v11, v3
	s_xor_b32 s6, exec_lo, s6
	s_cbranch_execz .LBB210_115
; %bb.108:                              ;   in Loop: Header=BB210_107 Depth=2
	s_mov_b32 s8, exec_lo
                                        ; implicit-def: $sgpr7
	v_cmpx_ne_u32_e64 s33, v11
	s_xor_b32 s8, exec_lo, s8
; %bb.109:                              ;   in Loop: Header=BB210_107 Depth=2
	v_add_nc_u32_e32 v6, 1, v6
	s_mov_b32 s7, -1
                                        ; implicit-def: $vgpr10
	s_delay_alu instid0(VALU_DEP_1)
	v_and_b32_e32 v6, 0xfff, v6
; %bb.110:                              ;   in Loop: Header=BB210_107 Depth=2
	s_and_not1_saveexec_b32 s8, s8
	s_cbranch_execz .LBB210_114
; %bb.111:                              ;   in Loop: Header=BB210_107 Depth=2
	v_mov_b32_e32 v11, s33
	s_mov_b32 s9, -1
	s_mov_b32 s10, exec_lo
	ds_cmpstore_rtn_b32 v11, v10, v3, v11
	s_waitcnt lgkmcnt(0)
	v_cmpx_eq_u32_e64 s33, v11
	s_cbranch_execz .LBB210_113
; %bb.112:                              ;   in Loop: Header=BB210_107 Depth=2
	v_lshl_add_u32 v10, v6, 2, v10
	s_xor_b32 s9, exec_lo, -1
	ds_add_f32 v10, v4 offset:16384
	ds_add_f32 v10, v5 offset:16388
.LBB210_113:                            ;   in Loop: Header=BB210_107 Depth=2
	s_or_b32 exec_lo, exec_lo, s10
	s_delay_alu instid0(SALU_CYCLE_1) | instskip(SKIP_1) | instid1(SALU_CYCLE_1)
	s_and_not1_b32 s7, s7, exec_lo
	s_and_b32 s9, s9, exec_lo
	s_or_b32 s7, s7, s9
.LBB210_114:                            ;   in Loop: Header=BB210_107 Depth=2
	s_or_b32 exec_lo, exec_lo, s8
	s_delay_alu instid0(SALU_CYCLE_1)
	s_and_b32 s7, s7, exec_lo
                                        ; implicit-def: $vgpr10
.LBB210_115:                            ;   in Loop: Header=BB210_107 Depth=2
	s_and_not1_saveexec_b32 s6, s6
	s_cbranch_execz .LBB210_106
; %bb.116:                              ;   in Loop: Header=BB210_107 Depth=2
	v_lshl_add_u32 v10, v6, 2, v10
	s_and_not1_b32 s7, s7, exec_lo
	ds_add_f32 v10, v4 offset:16384
	ds_add_f32 v10, v5 offset:16388
	s_branch .LBB210_106
.LBB210_117:
	s_or_b32 exec_lo, exec_lo, s36
	s_ashr_i32 s43, s42, 31
	s_mov_b32 s4, exec_lo
	s_lshl_b64 s[0:1], s[42:43], 3
	s_delay_alu instid0(SALU_CYCLE_1) | instskip(SKIP_4) | instid1(SALU_CYCLE_1)
	s_add_u32 s0, s40, s0
	s_addc_u32 s1, s41, s1
	s_load_b128 s[0:3], s[0:1], 0x0
	s_waitcnt lgkmcnt(0)
	s_sub_i32 s3, s2, s0
	v_cmpx_gt_i32_e64 s3, v0
	s_cbranch_execz .LBB210_127
; %bb.118:
	s_sub_u32 s4, s0, s38
	s_subb_u32 s5, s1, 0
	s_sub_i32 s0, s0, s2
	s_and_b32 s1, s3, 7
	s_cmp_lt_u32 s0, -7
	s_mov_b32 s8, 0
	s_cselect_b32 s2, -1, 0
	s_and_b32 s6, s3, -8
	s_cmp_lg_u32 s1, 0
	s_cselect_b32 s7, -1, 0
	s_branch .LBB210_120
.LBB210_119:                            ;   in Loop: Header=BB210_120 Depth=1
	s_delay_alu instid0(VALU_DEP_1) | instskip(SKIP_1) | instid1(VALU_DEP_1)
	v_lshlrev_b64 v[3:4], 3, v[3:4]
	v_add_nc_u32_e32 v0, 0x400, v0
	v_cmp_le_i32_e32 vcc_lo, s3, v0
	s_delay_alu instid0(VALU_DEP_3) | instskip(NEXT) | instid1(VALU_DEP_1)
	v_add_co_u32 v3, s0, s34, v3
	v_add_co_ci_u32_e64 v4, s0, s35, v4, s0
	s_or_b32 s8, vcc_lo, s8
	s_waitcnt lgkmcnt(0)
	global_store_b64 v[3:4], v[1:2], off
	s_and_not1_b32 exec_lo, exec_lo, s8
	s_cbranch_execz .LBB210_127
.LBB210_120:                            ; =>This Loop Header: Depth=1
                                        ;     Child Loop BB210_122 Depth 2
                                        ;     Child Loop BB210_126 Depth 2
	v_lshlrev_b32_e32 v1, 2, v0
	v_dual_mov_b32 v3, s4 :: v_dual_mov_b32 v4, s5
	s_and_not1_b32 vcc_lo, exec_lo, s2
	s_mov_b32 s0, 0
	s_delay_alu instid0(VALU_DEP_2) | instskip(NEXT) | instid1(VALU_DEP_1)
	v_add_nc_u32_e32 v2, 0, v1
	v_add3_u32 v1, v2, v1, 0x4000
	ds_load_b32 v5, v2
	ds_load_2addr_b32 v[1:2], v1 offset1:1
	s_cbranch_vccnz .LBB210_124
; %bb.121:                              ;   in Loop: Header=BB210_120 Depth=1
	v_dual_mov_b32 v3, s4 :: v_dual_mov_b32 v4, s5
	s_mov_b32 s9, 0
	s_mov_b32 s10, 0
.LBB210_122:                            ;   Parent Loop BB210_120 Depth=1
                                        ; =>  This Inner Loop Header: Depth=2
	s_delay_alu instid0(SALU_CYCLE_1)
	v_mov_b32_e32 v12, s10
	s_add_i32 s9, s9, 8
	s_add_i32 s10, s10, 32
	s_cmp_eq_u32 s6, s9
	ds_load_2addr_b32 v[6:7], v12 offset1:1
	ds_load_2addr_b32 v[8:9], v12 offset0:2 offset1:3
	ds_load_2addr_b32 v[10:11], v12 offset0:4 offset1:5
	;; [unrolled: 1-line block ×3, first 2 shown]
	s_waitcnt lgkmcnt(3)
	v_cmp_gt_i32_e32 vcc_lo, v5, v6
	v_cndmask_b32_e64 v6, 0, 1, vcc_lo
	v_cmp_gt_i32_e32 vcc_lo, v5, v7
	v_cndmask_b32_e64 v7, 0, 1, vcc_lo
	s_waitcnt lgkmcnt(2)
	v_cmp_gt_i32_e32 vcc_lo, v5, v8
	v_cndmask_b32_e64 v8, 0, 1, vcc_lo
	v_cmp_gt_i32_e32 vcc_lo, v5, v9
	v_cndmask_b32_e64 v9, 0, 1, vcc_lo
	s_waitcnt lgkmcnt(1)
	v_cmp_gt_i32_e32 vcc_lo, v5, v10
	v_cndmask_b32_e64 v10, 0, 1, vcc_lo
	v_add_co_u32 v3, vcc_lo, v3, v6
	v_add_co_ci_u32_e32 v4, vcc_lo, 0, v4, vcc_lo
	v_cmp_gt_i32_e32 vcc_lo, v5, v11
	s_delay_alu instid0(VALU_DEP_3) | instskip(NEXT) | instid1(VALU_DEP_1)
	v_add_co_u32 v3, s0, v3, v7
	v_add_co_ci_u32_e64 v4, s0, 0, v4, s0
	v_cndmask_b32_e64 v6, 0, 1, vcc_lo
	s_delay_alu instid0(VALU_DEP_3) | instskip(NEXT) | instid1(VALU_DEP_3)
	v_add_co_u32 v3, vcc_lo, v3, v8
	v_add_co_ci_u32_e32 v4, vcc_lo, 0, v4, vcc_lo
	s_waitcnt lgkmcnt(0)
	v_cmp_gt_i32_e32 vcc_lo, v5, v12
	s_delay_alu instid0(VALU_DEP_3) | instskip(NEXT) | instid1(VALU_DEP_1)
	v_add_co_u32 v3, s0, v3, v9
	v_add_co_ci_u32_e64 v4, s0, 0, v4, s0
	v_cndmask_b32_e64 v7, 0, 1, vcc_lo
	s_delay_alu instid0(VALU_DEP_3) | instskip(NEXT) | instid1(VALU_DEP_3)
	v_add_co_u32 v3, vcc_lo, v3, v10
	v_add_co_ci_u32_e32 v4, vcc_lo, 0, v4, vcc_lo
	v_cmp_gt_i32_e32 vcc_lo, v5, v13
	s_delay_alu instid0(VALU_DEP_3) | instskip(NEXT) | instid1(VALU_DEP_1)
	v_add_co_u32 v3, s0, v3, v6
	v_add_co_ci_u32_e64 v4, s0, 0, v4, s0
	v_cndmask_b32_e64 v6, 0, 1, vcc_lo
	s_delay_alu instid0(VALU_DEP_3) | instskip(NEXT) | instid1(VALU_DEP_3)
	v_add_co_u32 v3, vcc_lo, v3, v7
	v_add_co_ci_u32_e32 v4, vcc_lo, 0, v4, vcc_lo
	s_delay_alu instid0(VALU_DEP_2) | instskip(NEXT) | instid1(VALU_DEP_2)
	v_add_co_u32 v3, vcc_lo, v3, v6
	v_add_co_ci_u32_e32 v4, vcc_lo, 0, v4, vcc_lo
	s_cbranch_scc0 .LBB210_122
; %bb.123:                              ;   in Loop: Header=BB210_120 Depth=1
	s_mov_b32 s0, s6
.LBB210_124:                            ;   in Loop: Header=BB210_120 Depth=1
	s_and_not1_b32 vcc_lo, exec_lo, s7
	s_cbranch_vccnz .LBB210_119
; %bb.125:                              ;   in Loop: Header=BB210_120 Depth=1
	s_lshl_b32 s0, s0, 2
	s_mov_b32 s9, s1
	s_add_i32 s0, s0, 0
.LBB210_126:                            ;   Parent Loop BB210_120 Depth=1
                                        ; =>  This Inner Loop Header: Depth=2
	s_delay_alu instid0(SALU_CYCLE_1)
	v_mov_b32_e32 v6, s0
	s_add_i32 s9, s9, -1
	s_add_i32 s0, s0, 4
	s_cmp_lg_u32 s9, 0
	ds_load_b32 v6, v6
	s_waitcnt lgkmcnt(0)
	v_cmp_gt_i32_e32 vcc_lo, v5, v6
	v_cndmask_b32_e64 v6, 0, 1, vcc_lo
	s_delay_alu instid0(VALU_DEP_1)
	v_add_co_u32 v3, vcc_lo, v3, v6
	v_add_co_ci_u32_e32 v4, vcc_lo, 0, v4, vcc_lo
	s_cbranch_scc1 .LBB210_126
	s_branch .LBB210_119
.LBB210_127:
	s_nop 0
	s_sendmsg sendmsg(MSG_DEALLOC_VGPRS)
	s_endpgm
	.section	.rodata,"a",@progbits
	.p2align	6, 0x0
	.amdhsa_kernel _ZN9rocsparseL41csrgemm_numeric_fill_block_per_row_kernelILj1024ELj64ELj4096ELj137ELj32Eli21rocsparse_complex_numIfEEEvT5_PKS3_S5_NS_24const_host_device_scalarIT6_EEPKT4_S5_PKS7_SB_S5_SD_S8_SB_S5_SD_SB_S5_PS7_21rocsparse_index_base_SF_SF_SF_bbb
		.amdhsa_group_segment_fixed_size 0
		.amdhsa_private_segment_fixed_size 0
		.amdhsa_kernarg_size 156
		.amdhsa_user_sgpr_count 15
		.amdhsa_user_sgpr_dispatch_ptr 0
		.amdhsa_user_sgpr_queue_ptr 0
		.amdhsa_user_sgpr_kernarg_segment_ptr 1
		.amdhsa_user_sgpr_dispatch_id 0
		.amdhsa_user_sgpr_private_segment_size 0
		.amdhsa_wavefront_size32 1
		.amdhsa_uses_dynamic_stack 0
		.amdhsa_enable_private_segment 0
		.amdhsa_system_sgpr_workgroup_id_x 1
		.amdhsa_system_sgpr_workgroup_id_y 0
		.amdhsa_system_sgpr_workgroup_id_z 0
		.amdhsa_system_sgpr_workgroup_info 0
		.amdhsa_system_vgpr_workitem_id 0
		.amdhsa_next_free_vgpr 20
		.amdhsa_next_free_sgpr 45
		.amdhsa_reserve_vcc 1
		.amdhsa_float_round_mode_32 0
		.amdhsa_float_round_mode_16_64 0
		.amdhsa_float_denorm_mode_32 3
		.amdhsa_float_denorm_mode_16_64 3
		.amdhsa_dx10_clamp 1
		.amdhsa_ieee_mode 1
		.amdhsa_fp16_overflow 0
		.amdhsa_workgroup_processor_mode 1
		.amdhsa_memory_ordered 1
		.amdhsa_forward_progress 0
		.amdhsa_shared_vgpr_count 0
		.amdhsa_exception_fp_ieee_invalid_op 0
		.amdhsa_exception_fp_denorm_src 0
		.amdhsa_exception_fp_ieee_div_zero 0
		.amdhsa_exception_fp_ieee_overflow 0
		.amdhsa_exception_fp_ieee_underflow 0
		.amdhsa_exception_fp_ieee_inexact 0
		.amdhsa_exception_int_div_zero 0
	.end_amdhsa_kernel
	.section	.text._ZN9rocsparseL41csrgemm_numeric_fill_block_per_row_kernelILj1024ELj64ELj4096ELj137ELj32Eli21rocsparse_complex_numIfEEEvT5_PKS3_S5_NS_24const_host_device_scalarIT6_EEPKT4_S5_PKS7_SB_S5_SD_S8_SB_S5_SD_SB_S5_PS7_21rocsparse_index_base_SF_SF_SF_bbb,"axG",@progbits,_ZN9rocsparseL41csrgemm_numeric_fill_block_per_row_kernelILj1024ELj64ELj4096ELj137ELj32Eli21rocsparse_complex_numIfEEEvT5_PKS3_S5_NS_24const_host_device_scalarIT6_EEPKT4_S5_PKS7_SB_S5_SD_S8_SB_S5_SD_SB_S5_PS7_21rocsparse_index_base_SF_SF_SF_bbb,comdat
.Lfunc_end210:
	.size	_ZN9rocsparseL41csrgemm_numeric_fill_block_per_row_kernelILj1024ELj64ELj4096ELj137ELj32Eli21rocsparse_complex_numIfEEEvT5_PKS3_S5_NS_24const_host_device_scalarIT6_EEPKT4_S5_PKS7_SB_S5_SD_S8_SB_S5_SD_SB_S5_PS7_21rocsparse_index_base_SF_SF_SF_bbb, .Lfunc_end210-_ZN9rocsparseL41csrgemm_numeric_fill_block_per_row_kernelILj1024ELj64ELj4096ELj137ELj32Eli21rocsparse_complex_numIfEEEvT5_PKS3_S5_NS_24const_host_device_scalarIT6_EEPKT4_S5_PKS7_SB_S5_SD_S8_SB_S5_SD_SB_S5_PS7_21rocsparse_index_base_SF_SF_SF_bbb
                                        ; -- End function
	.section	.AMDGPU.csdata,"",@progbits
; Kernel info:
; codeLenInByte = 4416
; NumSgprs: 47
; NumVgprs: 20
; ScratchSize: 0
; MemoryBound: 0
; FloatMode: 240
; IeeeMode: 1
; LDSByteSize: 0 bytes/workgroup (compile time only)
; SGPRBlocks: 5
; VGPRBlocks: 2
; NumSGPRsForWavesPerEU: 47
; NumVGPRsForWavesPerEU: 20
; Occupancy: 16
; WaveLimiterHint : 1
; COMPUTE_PGM_RSRC2:SCRATCH_EN: 0
; COMPUTE_PGM_RSRC2:USER_SGPR: 15
; COMPUTE_PGM_RSRC2:TRAP_HANDLER: 0
; COMPUTE_PGM_RSRC2:TGID_X_EN: 1
; COMPUTE_PGM_RSRC2:TGID_Y_EN: 0
; COMPUTE_PGM_RSRC2:TGID_Z_EN: 0
; COMPUTE_PGM_RSRC2:TIDIG_COMP_CNT: 0
	.section	.text._ZN9rocsparseL41csrgemm_numeric_fill_block_per_row_kernelILj1024ELj64ELj4096ELj137ELj64Eli21rocsparse_complex_numIfEEEvT5_PKS3_S5_NS_24const_host_device_scalarIT6_EEPKT4_S5_PKS7_SB_S5_SD_S8_SB_S5_SD_SB_S5_PS7_21rocsparse_index_base_SF_SF_SF_bbb,"axG",@progbits,_ZN9rocsparseL41csrgemm_numeric_fill_block_per_row_kernelILj1024ELj64ELj4096ELj137ELj64Eli21rocsparse_complex_numIfEEEvT5_PKS3_S5_NS_24const_host_device_scalarIT6_EEPKT4_S5_PKS7_SB_S5_SD_S8_SB_S5_SD_SB_S5_PS7_21rocsparse_index_base_SF_SF_SF_bbb,comdat
	.globl	_ZN9rocsparseL41csrgemm_numeric_fill_block_per_row_kernelILj1024ELj64ELj4096ELj137ELj64Eli21rocsparse_complex_numIfEEEvT5_PKS3_S5_NS_24const_host_device_scalarIT6_EEPKT4_S5_PKS7_SB_S5_SD_S8_SB_S5_SD_SB_S5_PS7_21rocsparse_index_base_SF_SF_SF_bbb ; -- Begin function _ZN9rocsparseL41csrgemm_numeric_fill_block_per_row_kernelILj1024ELj64ELj4096ELj137ELj64Eli21rocsparse_complex_numIfEEEvT5_PKS3_S5_NS_24const_host_device_scalarIT6_EEPKT4_S5_PKS7_SB_S5_SD_S8_SB_S5_SD_SB_S5_PS7_21rocsparse_index_base_SF_SF_SF_bbb
	.p2align	8
	.type	_ZN9rocsparseL41csrgemm_numeric_fill_block_per_row_kernelILj1024ELj64ELj4096ELj137ELj64Eli21rocsparse_complex_numIfEEEvT5_PKS3_S5_NS_24const_host_device_scalarIT6_EEPKT4_S5_PKS7_SB_S5_SD_S8_SB_S5_SD_SB_S5_PS7_21rocsparse_index_base_SF_SF_SF_bbb,@function
_ZN9rocsparseL41csrgemm_numeric_fill_block_per_row_kernelILj1024ELj64ELj4096ELj137ELj64Eli21rocsparse_complex_numIfEEEvT5_PKS3_S5_NS_24const_host_device_scalarIT6_EEPKT4_S5_PKS7_SB_S5_SD_S8_SB_S5_SD_SB_S5_PS7_21rocsparse_index_base_SF_SF_SF_bbb: ; @_ZN9rocsparseL41csrgemm_numeric_fill_block_per_row_kernelILj1024ELj64ELj4096ELj137ELj64Eli21rocsparse_complex_numIfEEEvT5_PKS3_S5_NS_24const_host_device_scalarIT6_EEPKT4_S5_PKS7_SB_S5_SD_S8_SB_S5_SD_SB_S5_PS7_21rocsparse_index_base_SF_SF_SF_bbb
; %bb.0:
	s_clause 0x7
	s_load_b32 s12, s[0:1], 0x98
	s_load_b64 s[40:41], s[0:1], 0x70
	s_load_b128 s[28:31], s[0:1], 0x60
	s_load_b256 s[4:11], s[0:1], 0x40
	s_load_b128 s[36:39], s[0:1], 0x8
	s_load_b256 s[16:23], s[0:1], 0x20
	s_load_b64 s[34:35], s[0:1], 0x80
	s_load_b128 s[24:27], s[0:1], 0x88
	s_mov_b32 s3, 0
	s_mov_b32 s13, 0
	s_waitcnt lgkmcnt(0)
	s_bitcmp1_b32 s12, 0
	s_cselect_b32 s42, -1, 0
	s_bitcmp1_b32 s12, 16
	s_cselect_b32 s2, -1, 0
	s_delay_alu instid0(SALU_CYCLE_1) | instskip(SKIP_2) | instid1(VALU_DEP_1)
	s_xor_b32 s14, s2, -1
	s_bitcmp0_b32 s12, 0
	v_cndmask_b32_e64 v1, 0, 1, s14
	v_cmp_ne_u32_e32 vcc_lo, 1, v1
	s_cbranch_scc1 .LBB211_5
; %bb.1:
	s_load_b64 s[2:3], s[0:1], 0x18
	s_and_b32 vcc_lo, exec_lo, vcc_lo
	s_waitcnt lgkmcnt(0)
	s_mov_b32 s13, s2
	s_cbranch_vccnz .LBB211_3
; %bb.2:
	s_load_b32 s13, s[2:3], 0x0
.LBB211_3:
	s_and_not1_b32 vcc_lo, exec_lo, s14
	s_cbranch_vccnz .LBB211_5
; %bb.4:
	s_load_b32 s3, s[2:3], 0x4
.LBB211_5:
	s_bitcmp1_b32 s12, 8
	s_cselect_b32 s14, -1, 0
	s_bfe_u32 s2, s12, 0x10008
	s_mov_b32 s12, 0
	s_cmp_eq_u32 s2, 0
	s_mov_b32 s2, 0
	s_cbranch_scc1 .LBB211_11
; %bb.6:
	v_cmp_ne_u32_e32 vcc_lo, 1, v1
	s_mov_b32 s2, s8
	s_cbranch_vccnz .LBB211_8
; %bb.7:
	s_load_b32 s2, s[8:9], 0x0
.LBB211_8:
	v_cmp_ne_u32_e32 vcc_lo, 1, v1
	s_cbranch_vccnz .LBB211_10
; %bb.9:
	s_load_b32 s9, s[8:9], 0x4
.LBB211_10:
	s_waitcnt lgkmcnt(0)
	s_mov_b32 s12, s9
.LBB211_11:
	s_load_b32 s33, s[0:1], 0x0
	v_lshl_add_u32 v7, v0, 2, 0
	v_lshlrev_b32_e32 v1, 3, v0
	v_or_b32_e32 v8, 0xfffffc00, v0
	s_mov_b32 s0, 0
	s_delay_alu instid0(VALU_DEP_3) | instskip(NEXT) | instid1(VALU_DEP_3)
	v_mov_b32_e32 v2, v7
	v_add3_u32 v9, v1, 0, 0x4000
	v_mov_b32_e32 v1, 0
	v_mov_b32_e32 v3, v8
	s_waitcnt lgkmcnt(0)
	s_delay_alu instid0(VALU_DEP_3)
	v_dual_mov_b32 v5, v9 :: v_dual_mov_b32 v4, s33
.LBB211_12:                             ; =>This Inner Loop Header: Depth=1
	s_delay_alu instid0(VALU_DEP_2)
	v_add_nc_u32_e32 v3, 0x400, v3
	ds_store_b32 v2, v4
	ds_store_2addr_b32 v5, v1, v1 offset1:1
	v_add_nc_u32_e32 v5, 0x2000, v5
	v_add_nc_u32_e32 v2, 0x1000, v2
	v_cmp_lt_u32_e32 vcc_lo, 0xbff, v3
	s_or_b32 s0, vcc_lo, s0
	s_delay_alu instid0(SALU_CYCLE_1)
	s_and_not1_b32 exec_lo, exec_lo, s0
	s_cbranch_execnz .LBB211_12
; %bb.13:
	s_or_b32 exec_lo, exec_lo, s0
	s_waitcnt lgkmcnt(0)
	s_barrier
	buffer_gl0_inv
	s_load_b32 s0, s[36:37], 0x0
	s_mov_b32 s1, 0
	v_lshrrev_b32_e32 v10, 6, v0
	s_waitcnt lgkmcnt(0)
	s_add_i32 s0, s0, s15
	s_delay_alu instid0(SALU_CYCLE_1) | instskip(NEXT) | instid1(SALU_CYCLE_1)
	s_lshl_b64 s[0:1], s[0:1], 2
	s_add_u32 s0, s38, s0
	s_addc_u32 s1, s39, s1
	s_and_b32 vcc_lo, exec_lo, s42
	s_load_b32 s36, s[0:1], 0x0
	s_cbranch_vccz .LBB211_33
; %bb.14:
	s_waitcnt lgkmcnt(0)
	s_ashr_i32 s37, s36, 31
	s_mov_b32 s8, exec_lo
	s_lshl_b64 s[0:1], s[36:37], 3
	s_delay_alu instid0(SALU_CYCLE_1) | instskip(SKIP_3) | instid1(VALU_DEP_1)
	s_add_u32 s0, s16, s0
	s_addc_u32 s1, s17, s1
	s_load_b128 s[44:47], s[0:1], 0x0
	v_sub_co_u32 v1, s0, v10, s24
	v_sub_co_ci_u32_e64 v2, null, 0, 0, s0
	s_waitcnt lgkmcnt(0)
	s_delay_alu instid0(VALU_DEP_2) | instskip(NEXT) | instid1(VALU_DEP_2)
	v_add_co_u32 v1, vcc_lo, s44, v1
	v_add_co_ci_u32_e32 v2, vcc_lo, s45, v2, vcc_lo
	s_sub_u32 s0, s46, s24
	s_subb_u32 s1, s47, 0
	s_delay_alu instid0(VALU_DEP_1) | instid1(SALU_CYCLE_1)
	v_cmpx_gt_i64_e64 s[0:1], v[1:2]
	s_cbranch_execz .LBB211_32
; %bb.15:
	v_and_b32_e32 v3, 63, v0
	s_mov_b32 s15, s25
	s_delay_alu instid0(VALU_DEP_1) | instskip(NEXT) | instid1(VALU_DEP_1)
	v_sub_co_u32 v11, s9, v3, s25
	v_sub_co_ci_u32_e64 v12, null, 0, 0, s9
	s_mov_b32 s9, 0
	s_branch .LBB211_17
.LBB211_16:                             ;   in Loop: Header=BB211_17 Depth=1
	s_or_b32 exec_lo, exec_lo, s16
	v_add_co_u32 v1, vcc_lo, v1, 16
	v_add_co_ci_u32_e32 v2, vcc_lo, 0, v2, vcc_lo
	s_delay_alu instid0(VALU_DEP_1) | instskip(SKIP_1) | instid1(SALU_CYCLE_1)
	v_cmp_le_i64_e32 vcc_lo, s[0:1], v[1:2]
	s_or_b32 s9, vcc_lo, s9
	s_and_not1_b32 exec_lo, exec_lo, s9
	s_cbranch_execz .LBB211_32
.LBB211_17:                             ; =>This Loop Header: Depth=1
                                        ;     Child Loop BB211_20 Depth 2
                                        ;       Child Loop BB211_22 Depth 3
	v_lshlrev_b64 v[3:4], 2, v[1:2]
	s_mov_b32 s16, exec_lo
	s_delay_alu instid0(VALU_DEP_1) | instskip(NEXT) | instid1(VALU_DEP_2)
	v_add_co_u32 v3, vcc_lo, s18, v3
	v_add_co_ci_u32_e32 v4, vcc_lo, s19, v4, vcc_lo
	global_load_b32 v3, v[3:4], off
	s_waitcnt vmcnt(0)
	v_subrev_nc_u32_e32 v3, s24, v3
	s_delay_alu instid0(VALU_DEP_1) | instskip(NEXT) | instid1(VALU_DEP_1)
	v_ashrrev_i32_e32 v4, 31, v3
	v_lshlrev_b64 v[3:4], 3, v[3:4]
	s_delay_alu instid0(VALU_DEP_1) | instskip(NEXT) | instid1(VALU_DEP_2)
	v_add_co_u32 v3, vcc_lo, s22, v3
	v_add_co_ci_u32_e32 v4, vcc_lo, s23, v4, vcc_lo
	global_load_b128 v[13:16], v[3:4], off
	s_waitcnt vmcnt(0)
	v_sub_co_u32 v3, vcc_lo, v15, s15
	v_subrev_co_ci_u32_e32 v4, vcc_lo, 0, v16, vcc_lo
	v_add_co_u32 v5, vcc_lo, v13, v11
	v_add_co_ci_u32_e32 v6, vcc_lo, v14, v12, vcc_lo
	s_delay_alu instid0(VALU_DEP_1)
	v_cmpx_lt_i64_e64 v[5:6], v[3:4]
	s_cbranch_execz .LBB211_16
; %bb.18:                               ;   in Loop: Header=BB211_17 Depth=1
	v_lshlrev_b64 v[13:14], 3, v[1:2]
	s_mov_b32 s17, 0
	s_delay_alu instid0(VALU_DEP_1) | instskip(NEXT) | instid1(VALU_DEP_2)
	v_add_co_u32 v13, vcc_lo, s20, v13
	v_add_co_ci_u32_e32 v14, vcc_lo, s21, v14, vcc_lo
	global_load_b64 v[15:16], v[13:14], off
	s_waitcnt vmcnt(0)
	v_mul_f32_e64 v13, v16, -s3
	s_delay_alu instid0(VALU_DEP_1) | instskip(NEXT) | instid1(VALU_DEP_1)
	v_dual_mul_f32 v14, s13, v16 :: v_dual_fmac_f32 v13, s13, v15
	v_fmac_f32_e32 v14, s3, v15
	s_branch .LBB211_20
.LBB211_19:                             ;   in Loop: Header=BB211_20 Depth=2
	s_or_b32 exec_lo, exec_lo, s37
	v_add_co_u32 v5, vcc_lo, v5, 64
	v_add_co_ci_u32_e32 v6, vcc_lo, 0, v6, vcc_lo
	s_delay_alu instid0(VALU_DEP_1) | instskip(SKIP_1) | instid1(SALU_CYCLE_1)
	v_cmp_ge_i64_e32 vcc_lo, v[5:6], v[3:4]
	s_or_b32 s17, vcc_lo, s17
	s_and_not1_b32 exec_lo, exec_lo, s17
	s_cbranch_execz .LBB211_16
.LBB211_20:                             ;   Parent Loop BB211_17 Depth=1
                                        ; =>  This Loop Header: Depth=2
                                        ;       Child Loop BB211_22 Depth 3
	v_lshlrev_b64 v[15:16], 2, v[5:6]
	v_lshlrev_b64 v[17:18], 3, v[5:6]
	s_mov_b32 s37, 0
	s_delay_alu instid0(VALU_DEP_2) | instskip(NEXT) | instid1(VALU_DEP_3)
	v_add_co_u32 v15, vcc_lo, s4, v15
	v_add_co_ci_u32_e32 v16, vcc_lo, s5, v16, vcc_lo
	global_load_b32 v20, v[15:16], off
	v_add_co_u32 v15, vcc_lo, s6, v17
	v_add_co_ci_u32_e32 v16, vcc_lo, s7, v18, vcc_lo
	global_load_b64 v[18:19], v[15:16], off
	s_waitcnt vmcnt(1)
	v_subrev_nc_u32_e32 v15, s25, v20
	s_delay_alu instid0(VALU_DEP_1) | instskip(SKIP_3) | instid1(VALU_DEP_2)
	v_mul_lo_u32 v20, 0x89, v15
	s_waitcnt vmcnt(0)
	v_mul_f32_e64 v16, v19, -v14
	v_mul_f32_e32 v17, v13, v19
	v_fmac_f32_e32 v16, v13, v18
	s_delay_alu instid0(VALU_DEP_2)
	v_dual_fmac_f32 v17, v14, v18 :: v_dual_and_b32 v18, 0xfff, v20
	s_branch .LBB211_22
.LBB211_21:                             ;   in Loop: Header=BB211_22 Depth=3
	s_or_b32 exec_lo, exec_lo, s38
	s_xor_b32 s38, s39, -1
	s_delay_alu instid0(SALU_CYCLE_1) | instskip(NEXT) | instid1(SALU_CYCLE_1)
	s_and_b32 s38, exec_lo, s38
	s_or_b32 s37, s38, s37
	s_delay_alu instid0(SALU_CYCLE_1)
	s_and_not1_b32 exec_lo, exec_lo, s37
	s_cbranch_execz .LBB211_19
.LBB211_22:                             ;   Parent Loop BB211_17 Depth=1
                                        ;     Parent Loop BB211_20 Depth=2
                                        ; =>    This Inner Loop Header: Depth=3
	s_delay_alu instid0(VALU_DEP_1)
	v_lshl_add_u32 v19, v18, 2, 0
	s_mov_b32 s38, exec_lo
                                        ; implicit-def: $sgpr39
	ds_load_b32 v20, v19
	s_waitcnt lgkmcnt(0)
	v_cmpx_ne_u32_e64 v20, v15
	s_xor_b32 s38, exec_lo, s38
	s_cbranch_execz .LBB211_30
; %bb.23:                               ;   in Loop: Header=BB211_22 Depth=3
	s_mov_b32 s42, exec_lo
                                        ; implicit-def: $sgpr39
	v_cmpx_ne_u32_e64 s33, v20
	s_xor_b32 s42, exec_lo, s42
; %bb.24:                               ;   in Loop: Header=BB211_22 Depth=3
	v_add_nc_u32_e32 v18, 1, v18
	s_mov_b32 s39, -1
                                        ; implicit-def: $vgpr19
	s_delay_alu instid0(VALU_DEP_1)
	v_and_b32_e32 v18, 0xfff, v18
; %bb.25:                               ;   in Loop: Header=BB211_22 Depth=3
	s_and_not1_saveexec_b32 s42, s42
	s_cbranch_execz .LBB211_29
; %bb.26:                               ;   in Loop: Header=BB211_22 Depth=3
	v_mov_b32_e32 v20, s33
	s_mov_b32 s43, -1
	s_mov_b32 s44, exec_lo
	ds_cmpstore_rtn_b32 v20, v19, v15, v20
	s_waitcnt lgkmcnt(0)
	v_cmpx_eq_u32_e64 s33, v20
	s_cbranch_execz .LBB211_28
; %bb.27:                               ;   in Loop: Header=BB211_22 Depth=3
	v_lshl_add_u32 v19, v18, 2, v19
	s_xor_b32 s43, exec_lo, -1
	ds_add_f32 v19, v16 offset:16384
	ds_add_f32 v19, v17 offset:16388
.LBB211_28:                             ;   in Loop: Header=BB211_22 Depth=3
	s_or_b32 exec_lo, exec_lo, s44
	s_delay_alu instid0(SALU_CYCLE_1) | instskip(SKIP_1) | instid1(SALU_CYCLE_1)
	s_and_not1_b32 s39, s39, exec_lo
	s_and_b32 s43, s43, exec_lo
	s_or_b32 s39, s39, s43
.LBB211_29:                             ;   in Loop: Header=BB211_22 Depth=3
	s_or_b32 exec_lo, exec_lo, s42
	s_delay_alu instid0(SALU_CYCLE_1)
	s_and_b32 s39, s39, exec_lo
                                        ; implicit-def: $vgpr19
.LBB211_30:                             ;   in Loop: Header=BB211_22 Depth=3
	s_and_not1_saveexec_b32 s38, s38
	s_cbranch_execz .LBB211_21
; %bb.31:                               ;   in Loop: Header=BB211_22 Depth=3
	v_lshl_add_u32 v19, v18, 2, v19
	s_and_not1_b32 s39, s39, exec_lo
	ds_add_f32 v19, v16 offset:16384
	ds_add_f32 v19, v17 offset:16388
	s_branch .LBB211_21
.LBB211_32:
	s_or_b32 exec_lo, exec_lo, s8
.LBB211_33:
	s_delay_alu instid0(SALU_CYCLE_1)
	s_and_not1_b32 vcc_lo, exec_lo, s14
	s_cbranch_vccnz .LBB211_36
; %bb.34:
	s_waitcnt lgkmcnt(0)
	s_ashr_i32 s37, s36, 31
	s_mov_b32 s3, exec_lo
	s_lshl_b64 s[0:1], s[36:37], 3
	s_delay_alu instid0(SALU_CYCLE_1) | instskip(SKIP_3) | instid1(VALU_DEP_1)
	s_add_u32 s0, s10, s0
	s_addc_u32 s1, s11, s1
	s_load_b128 s[4:7], s[0:1], 0x0
	v_sub_co_u32 v1, s0, v0, s27
	v_sub_co_ci_u32_e64 v2, null, 0, 0, s0
	s_waitcnt lgkmcnt(0)
	s_delay_alu instid0(VALU_DEP_2) | instskip(NEXT) | instid1(VALU_DEP_2)
	v_add_co_u32 v1, vcc_lo, s4, v1
	v_add_co_ci_u32_e32 v2, vcc_lo, s5, v2, vcc_lo
	s_sub_u32 s0, s6, s27
	s_subb_u32 s1, s7, 0
	s_mov_b32 s4, 0
	s_delay_alu instid0(VALU_DEP_1)
	v_cmpx_gt_i64_e64 s[0:1], v[1:2]
	s_cbranch_execnz .LBB211_73
.LBB211_35:
	s_or_b32 exec_lo, exec_lo, s3
.LBB211_36:
	v_mbcnt_lo_u32_b32 v1, -1, 0
	v_lshl_add_u32 v4, v10, 2, 0
	v_cmp_eq_u32_e32 vcc_lo, 0x3ff, v0
	v_cmp_lt_u32_e64 s0, 63, v0
	v_cmp_lt_u32_e64 s1, 0x7f, v0
	v_xor_b32_e32 v1, 63, v1
	v_cmp_lt_u32_e64 s2, 0xbf, v0
	v_cmp_lt_u32_e64 s3, 0xff, v0
	v_cmp_lt_u32_e64 s4, 0x13f, v0
	v_cmp_lt_u32_e64 s5, 0x17f, v0
	v_lshrrev_b64 v[1:2], v1, -1
	v_cmp_lt_u32_e64 s6, 0x1bf, v0
	v_cmp_lt_u32_e64 s7, 0x1ff, v0
	;; [unrolled: 1-line block ×9, first 2 shown]
	v_dual_mov_b32 v5, 0 :: v_dual_mov_b32 v6, 0
	s_mov_b32 s16, 0
	s_waitcnt lgkmcnt(0)
	s_barrier
	buffer_gl0_inv
	s_branch .LBB211_38
.LBB211_37:                             ;   in Loop: Header=BB211_38 Depth=1
	s_or_b32 exec_lo, exec_lo, s15
	s_waitcnt lgkmcnt(0)
	s_barrier
	buffer_gl0_inv
	ds_load_b32 v2, v5 offset:49212
	v_add_nc_u32_e32 v8, 0x400, v8
	v_add_nc_u32_e32 v9, 0x2000, v9
	;; [unrolled: 1-line block ×3, first 2 shown]
	s_delay_alu instid0(VALU_DEP_3) | instskip(NEXT) | instid1(VALU_DEP_1)
	v_cmp_lt_u32_e64 s15, 0xbff, v8
	s_or_b32 s16, s15, s16
	s_waitcnt lgkmcnt(0)
	v_add_nc_u32_e32 v6, v2, v6
	s_and_not1_b32 exec_lo, exec_lo, s16
	s_cbranch_execz .LBB211_85
.LBB211_38:                             ; =>This Inner Loop Header: Depth=1
	ds_load_b32 v10, v7
	ds_load_2addr_b32 v[2:3], v9 offset1:1
	s_waitcnt lgkmcnt(0)
	s_barrier
	buffer_gl0_inv
	v_cmp_gt_i32_e64 s15, s33, v10
	s_delay_alu instid0(VALU_DEP_1) | instskip(NEXT) | instid1(SALU_CYCLE_1)
	s_bcnt1_i32_b32 s17, s15
	v_dual_mov_b32 v12, s17 :: v_dual_and_b32 v11, s15, v1
	s_delay_alu instid0(VALU_DEP_1)
	v_bcnt_u32_b32 v11, v11, 0
	ds_store_b32 v4, v12 offset:49152
	s_waitcnt lgkmcnt(0)
	s_barrier
	buffer_gl0_inv
	s_and_saveexec_b32 s17, s0
	s_cbranch_execnz .LBB211_55
; %bb.39:                               ;   in Loop: Header=BB211_38 Depth=1
	s_or_b32 exec_lo, exec_lo, s17
	s_and_saveexec_b32 s17, s1
	s_cbranch_execnz .LBB211_56
.LBB211_40:                             ;   in Loop: Header=BB211_38 Depth=1
	s_or_b32 exec_lo, exec_lo, s17
	s_and_saveexec_b32 s17, s2
	s_cbranch_execnz .LBB211_57
.LBB211_41:                             ;   in Loop: Header=BB211_38 Depth=1
	s_or_b32 exec_lo, exec_lo, s17
	s_and_saveexec_b32 s17, s3
	s_cbranch_execnz .LBB211_58
.LBB211_42:                             ;   in Loop: Header=BB211_38 Depth=1
	s_or_b32 exec_lo, exec_lo, s17
	s_and_saveexec_b32 s17, s4
	s_cbranch_execnz .LBB211_59
.LBB211_43:                             ;   in Loop: Header=BB211_38 Depth=1
	s_or_b32 exec_lo, exec_lo, s17
	s_and_saveexec_b32 s17, s5
	s_cbranch_execnz .LBB211_60
.LBB211_44:                             ;   in Loop: Header=BB211_38 Depth=1
	s_or_b32 exec_lo, exec_lo, s17
	s_and_saveexec_b32 s17, s6
	s_cbranch_execnz .LBB211_61
.LBB211_45:                             ;   in Loop: Header=BB211_38 Depth=1
	s_or_b32 exec_lo, exec_lo, s17
	s_and_saveexec_b32 s17, s7
	s_cbranch_execnz .LBB211_62
.LBB211_46:                             ;   in Loop: Header=BB211_38 Depth=1
	s_or_b32 exec_lo, exec_lo, s17
	s_and_saveexec_b32 s17, s8
	s_cbranch_execnz .LBB211_63
.LBB211_47:                             ;   in Loop: Header=BB211_38 Depth=1
	s_or_b32 exec_lo, exec_lo, s17
	s_and_saveexec_b32 s17, s9
	s_cbranch_execnz .LBB211_64
.LBB211_48:                             ;   in Loop: Header=BB211_38 Depth=1
	s_or_b32 exec_lo, exec_lo, s17
	s_and_saveexec_b32 s17, s10
	s_cbranch_execnz .LBB211_65
.LBB211_49:                             ;   in Loop: Header=BB211_38 Depth=1
	s_or_b32 exec_lo, exec_lo, s17
	s_and_saveexec_b32 s17, s11
	s_cbranch_execnz .LBB211_66
.LBB211_50:                             ;   in Loop: Header=BB211_38 Depth=1
	s_or_b32 exec_lo, exec_lo, s17
	s_and_saveexec_b32 s17, s12
	s_cbranch_execnz .LBB211_67
.LBB211_51:                             ;   in Loop: Header=BB211_38 Depth=1
	s_or_b32 exec_lo, exec_lo, s17
	s_and_saveexec_b32 s17, s13
	s_cbranch_execnz .LBB211_68
.LBB211_52:                             ;   in Loop: Header=BB211_38 Depth=1
	s_or_b32 exec_lo, exec_lo, s17
	s_and_saveexec_b32 s17, s14
	s_cbranch_execnz .LBB211_69
.LBB211_53:                             ;   in Loop: Header=BB211_38 Depth=1
	s_or_b32 exec_lo, exec_lo, s17
	s_and_saveexec_b32 s17, s15
	s_cbranch_execnz .LBB211_70
.LBB211_54:                             ;   in Loop: Header=BB211_38 Depth=1
	s_or_b32 exec_lo, exec_lo, s17
	s_and_saveexec_b32 s15, vcc_lo
	s_cbranch_execz .LBB211_37
	s_branch .LBB211_71
.LBB211_55:                             ;   in Loop: Header=BB211_38 Depth=1
	ds_load_b32 v12, v5 offset:49152
	s_waitcnt lgkmcnt(0)
	v_add_nc_u32_e32 v11, v12, v11
	s_or_b32 exec_lo, exec_lo, s17
	s_and_saveexec_b32 s17, s1
	s_cbranch_execz .LBB211_40
.LBB211_56:                             ;   in Loop: Header=BB211_38 Depth=1
	ds_load_b32 v12, v5 offset:49156
	s_waitcnt lgkmcnt(0)
	v_add_nc_u32_e32 v11, v12, v11
	s_or_b32 exec_lo, exec_lo, s17
	s_and_saveexec_b32 s17, s2
	s_cbranch_execz .LBB211_41
.LBB211_57:                             ;   in Loop: Header=BB211_38 Depth=1
	ds_load_b32 v12, v5 offset:49160
	s_waitcnt lgkmcnt(0)
	v_add_nc_u32_e32 v11, v12, v11
	s_or_b32 exec_lo, exec_lo, s17
	s_and_saveexec_b32 s17, s3
	s_cbranch_execz .LBB211_42
.LBB211_58:                             ;   in Loop: Header=BB211_38 Depth=1
	ds_load_b32 v12, v5 offset:49164
	s_waitcnt lgkmcnt(0)
	v_add_nc_u32_e32 v11, v12, v11
	s_or_b32 exec_lo, exec_lo, s17
	s_and_saveexec_b32 s17, s4
	s_cbranch_execz .LBB211_43
.LBB211_59:                             ;   in Loop: Header=BB211_38 Depth=1
	ds_load_b32 v12, v5 offset:49168
	s_waitcnt lgkmcnt(0)
	v_add_nc_u32_e32 v11, v12, v11
	s_or_b32 exec_lo, exec_lo, s17
	s_and_saveexec_b32 s17, s5
	s_cbranch_execz .LBB211_44
.LBB211_60:                             ;   in Loop: Header=BB211_38 Depth=1
	ds_load_b32 v12, v5 offset:49172
	s_waitcnt lgkmcnt(0)
	v_add_nc_u32_e32 v11, v12, v11
	s_or_b32 exec_lo, exec_lo, s17
	s_and_saveexec_b32 s17, s6
	s_cbranch_execz .LBB211_45
.LBB211_61:                             ;   in Loop: Header=BB211_38 Depth=1
	ds_load_b32 v12, v5 offset:49176
	s_waitcnt lgkmcnt(0)
	v_add_nc_u32_e32 v11, v12, v11
	s_or_b32 exec_lo, exec_lo, s17
	s_and_saveexec_b32 s17, s7
	s_cbranch_execz .LBB211_46
.LBB211_62:                             ;   in Loop: Header=BB211_38 Depth=1
	ds_load_b32 v12, v5 offset:49180
	s_waitcnt lgkmcnt(0)
	v_add_nc_u32_e32 v11, v12, v11
	s_or_b32 exec_lo, exec_lo, s17
	s_and_saveexec_b32 s17, s8
	s_cbranch_execz .LBB211_47
.LBB211_63:                             ;   in Loop: Header=BB211_38 Depth=1
	ds_load_b32 v12, v5 offset:49184
	s_waitcnt lgkmcnt(0)
	v_add_nc_u32_e32 v11, v12, v11
	s_or_b32 exec_lo, exec_lo, s17
	s_and_saveexec_b32 s17, s9
	s_cbranch_execz .LBB211_48
.LBB211_64:                             ;   in Loop: Header=BB211_38 Depth=1
	ds_load_b32 v12, v5 offset:49188
	s_waitcnt lgkmcnt(0)
	v_add_nc_u32_e32 v11, v12, v11
	s_or_b32 exec_lo, exec_lo, s17
	s_and_saveexec_b32 s17, s10
	s_cbranch_execz .LBB211_49
.LBB211_65:                             ;   in Loop: Header=BB211_38 Depth=1
	ds_load_b32 v12, v5 offset:49192
	s_waitcnt lgkmcnt(0)
	v_add_nc_u32_e32 v11, v12, v11
	s_or_b32 exec_lo, exec_lo, s17
	s_and_saveexec_b32 s17, s11
	s_cbranch_execz .LBB211_50
.LBB211_66:                             ;   in Loop: Header=BB211_38 Depth=1
	ds_load_b32 v12, v5 offset:49196
	s_waitcnt lgkmcnt(0)
	v_add_nc_u32_e32 v11, v12, v11
	s_or_b32 exec_lo, exec_lo, s17
	s_and_saveexec_b32 s17, s12
	s_cbranch_execz .LBB211_51
.LBB211_67:                             ;   in Loop: Header=BB211_38 Depth=1
	ds_load_b32 v12, v5 offset:49200
	s_waitcnt lgkmcnt(0)
	v_add_nc_u32_e32 v11, v12, v11
	s_or_b32 exec_lo, exec_lo, s17
	s_and_saveexec_b32 s17, s13
	s_cbranch_execz .LBB211_52
.LBB211_68:                             ;   in Loop: Header=BB211_38 Depth=1
	ds_load_b32 v12, v5 offset:49204
	s_waitcnt lgkmcnt(0)
	v_add_nc_u32_e32 v11, v12, v11
	s_or_b32 exec_lo, exec_lo, s17
	s_and_saveexec_b32 s17, s14
	s_cbranch_execz .LBB211_53
.LBB211_69:                             ;   in Loop: Header=BB211_38 Depth=1
	ds_load_b32 v12, v5 offset:49208
	s_waitcnt lgkmcnt(0)
	v_add_nc_u32_e32 v11, v12, v11
	s_or_b32 exec_lo, exec_lo, s17
	s_and_saveexec_b32 s17, s15
	s_cbranch_execz .LBB211_54
.LBB211_70:                             ;   in Loop: Header=BB211_38 Depth=1
	s_delay_alu instid0(VALU_DEP_1) | instskip(NEXT) | instid1(VALU_DEP_1)
	v_add3_u32 v12, v6, -1, v11
	v_lshlrev_b32_e32 v13, 3, v12
	v_lshl_add_u32 v12, v12, 2, 0
	s_delay_alu instid0(VALU_DEP_2)
	v_add3_u32 v13, 0, v13, 0x4000
	ds_store_b32 v12, v10
	ds_store_2addr_b32 v13, v2, v3 offset1:1
	s_or_b32 exec_lo, exec_lo, s17
	s_and_saveexec_b32 s15, vcc_lo
	s_cbranch_execz .LBB211_37
.LBB211_71:                             ;   in Loop: Header=BB211_38 Depth=1
	ds_store_b32 v5, v11 offset:49212
	s_branch .LBB211_37
.LBB211_72:                             ;   in Loop: Header=BB211_73 Depth=1
	s_or_b32 exec_lo, exec_lo, s5
	v_add_co_u32 v1, vcc_lo, 0x400, v1
	v_add_co_ci_u32_e32 v2, vcc_lo, 0, v2, vcc_lo
	s_delay_alu instid0(VALU_DEP_1) | instskip(SKIP_1) | instid1(SALU_CYCLE_1)
	v_cmp_le_i64_e32 vcc_lo, s[0:1], v[1:2]
	s_or_b32 s4, vcc_lo, s4
	s_and_not1_b32 exec_lo, exec_lo, s4
	s_cbranch_execz .LBB211_35
.LBB211_73:                             ; =>This Loop Header: Depth=1
                                        ;     Child Loop BB211_75 Depth 2
	v_lshlrev_b64 v[3:4], 2, v[1:2]
	v_lshlrev_b64 v[5:6], 3, v[1:2]
	s_mov_b32 s5, 0
	s_delay_alu instid0(VALU_DEP_2) | instskip(NEXT) | instid1(VALU_DEP_3)
	v_add_co_u32 v3, vcc_lo, s28, v3
	v_add_co_ci_u32_e32 v4, vcc_lo, s29, v4, vcc_lo
	global_load_b32 v13, v[3:4], off
	v_add_co_u32 v3, vcc_lo, s30, v5
	v_add_co_ci_u32_e32 v4, vcc_lo, s31, v6, vcc_lo
	global_load_b64 v[11:12], v[3:4], off
	s_waitcnt vmcnt(1)
	v_subrev_nc_u32_e32 v3, s27, v13
	s_delay_alu instid0(VALU_DEP_1) | instskip(SKIP_2) | instid1(VALU_DEP_1)
	v_mul_lo_u32 v6, 0x89, v3
	s_waitcnt vmcnt(0)
	v_mul_f32_e64 v4, v12, -s12
	v_dual_mul_f32 v5, s2, v12 :: v_dual_fmac_f32 v4, s2, v11
	s_delay_alu instid0(VALU_DEP_1)
	v_dual_fmac_f32 v5, s12, v11 :: v_dual_and_b32 v6, 0xfff, v6
	s_branch .LBB211_75
.LBB211_74:                             ;   in Loop: Header=BB211_75 Depth=2
	s_or_b32 exec_lo, exec_lo, s6
	s_xor_b32 s6, s7, -1
	s_delay_alu instid0(SALU_CYCLE_1) | instskip(NEXT) | instid1(SALU_CYCLE_1)
	s_and_b32 s6, exec_lo, s6
	s_or_b32 s5, s6, s5
	s_delay_alu instid0(SALU_CYCLE_1)
	s_and_not1_b32 exec_lo, exec_lo, s5
	s_cbranch_execz .LBB211_72
.LBB211_75:                             ;   Parent Loop BB211_73 Depth=1
                                        ; =>  This Inner Loop Header: Depth=2
	s_delay_alu instid0(VALU_DEP_1)
	v_lshl_add_u32 v11, v6, 2, 0
	s_mov_b32 s6, exec_lo
                                        ; implicit-def: $sgpr7
	ds_load_b32 v12, v11
	s_waitcnt lgkmcnt(0)
	v_cmpx_ne_u32_e64 v12, v3
	s_xor_b32 s6, exec_lo, s6
	s_cbranch_execz .LBB211_83
; %bb.76:                               ;   in Loop: Header=BB211_75 Depth=2
	s_mov_b32 s8, exec_lo
                                        ; implicit-def: $sgpr7
	v_cmpx_ne_u32_e64 s33, v12
	s_xor_b32 s8, exec_lo, s8
; %bb.77:                               ;   in Loop: Header=BB211_75 Depth=2
	v_add_nc_u32_e32 v6, 1, v6
	s_mov_b32 s7, -1
                                        ; implicit-def: $vgpr11
	s_delay_alu instid0(VALU_DEP_1)
	v_and_b32_e32 v6, 0xfff, v6
; %bb.78:                               ;   in Loop: Header=BB211_75 Depth=2
	s_and_not1_saveexec_b32 s8, s8
	s_cbranch_execz .LBB211_82
; %bb.79:                               ;   in Loop: Header=BB211_75 Depth=2
	v_mov_b32_e32 v12, s33
	s_mov_b32 s9, -1
	s_mov_b32 s10, exec_lo
	ds_cmpstore_rtn_b32 v12, v11, v3, v12
	s_waitcnt lgkmcnt(0)
	v_cmpx_eq_u32_e64 s33, v12
	s_cbranch_execz .LBB211_81
; %bb.80:                               ;   in Loop: Header=BB211_75 Depth=2
	v_lshl_add_u32 v11, v6, 2, v11
	s_xor_b32 s9, exec_lo, -1
	ds_add_f32 v11, v4 offset:16384
	ds_add_f32 v11, v5 offset:16388
.LBB211_81:                             ;   in Loop: Header=BB211_75 Depth=2
	s_or_b32 exec_lo, exec_lo, s10
	s_delay_alu instid0(SALU_CYCLE_1) | instskip(SKIP_1) | instid1(SALU_CYCLE_1)
	s_and_not1_b32 s7, s7, exec_lo
	s_and_b32 s9, s9, exec_lo
	s_or_b32 s7, s7, s9
.LBB211_82:                             ;   in Loop: Header=BB211_75 Depth=2
	s_or_b32 exec_lo, exec_lo, s8
	s_delay_alu instid0(SALU_CYCLE_1)
	s_and_b32 s7, s7, exec_lo
                                        ; implicit-def: $vgpr11
.LBB211_83:                             ;   in Loop: Header=BB211_75 Depth=2
	s_and_not1_saveexec_b32 s6, s6
	s_cbranch_execz .LBB211_74
; %bb.84:                               ;   in Loop: Header=BB211_75 Depth=2
	v_lshl_add_u32 v11, v6, 2, v11
	s_and_not1_b32 s7, s7, exec_lo
	ds_add_f32 v11, v4 offset:16384
	ds_add_f32 v11, v5 offset:16388
	s_branch .LBB211_74
.LBB211_85:
	s_or_b32 exec_lo, exec_lo, s16
	s_ashr_i32 s37, s36, 31
	s_mov_b32 s4, exec_lo
	s_lshl_b64 s[0:1], s[36:37], 3
	s_delay_alu instid0(SALU_CYCLE_1) | instskip(SKIP_4) | instid1(SALU_CYCLE_1)
	s_add_u32 s0, s40, s0
	s_addc_u32 s1, s41, s1
	s_load_b128 s[0:3], s[0:1], 0x0
	s_waitcnt lgkmcnt(0)
	s_sub_i32 s3, s2, s0
	v_cmpx_gt_i32_e64 s3, v0
	s_cbranch_execz .LBB211_95
; %bb.86:
	s_sub_u32 s4, s0, s26
	s_subb_u32 s5, s1, 0
	s_sub_i32 s0, s0, s2
	s_and_b32 s1, s3, 7
	s_cmp_lt_u32 s0, -7
	s_mov_b32 s8, 0
	s_cselect_b32 s2, -1, 0
	s_and_b32 s6, s3, -8
	s_cmp_lg_u32 s1, 0
	s_cselect_b32 s7, -1, 0
	s_branch .LBB211_88
.LBB211_87:                             ;   in Loop: Header=BB211_88 Depth=1
	s_delay_alu instid0(VALU_DEP_1) | instskip(SKIP_1) | instid1(VALU_DEP_1)
	v_lshlrev_b64 v[3:4], 3, v[3:4]
	v_add_nc_u32_e32 v0, 0x400, v0
	v_cmp_le_i32_e32 vcc_lo, s3, v0
	s_delay_alu instid0(VALU_DEP_3) | instskip(NEXT) | instid1(VALU_DEP_1)
	v_add_co_u32 v3, s0, s34, v3
	v_add_co_ci_u32_e64 v4, s0, s35, v4, s0
	s_or_b32 s8, vcc_lo, s8
	s_waitcnt lgkmcnt(0)
	global_store_b64 v[3:4], v[1:2], off
	s_and_not1_b32 exec_lo, exec_lo, s8
	s_cbranch_execz .LBB211_95
.LBB211_88:                             ; =>This Loop Header: Depth=1
                                        ;     Child Loop BB211_90 Depth 2
                                        ;     Child Loop BB211_94 Depth 2
	v_lshlrev_b32_e32 v1, 2, v0
	v_dual_mov_b32 v3, s4 :: v_dual_mov_b32 v4, s5
	s_and_not1_b32 vcc_lo, exec_lo, s2
	s_mov_b32 s0, 0
	s_delay_alu instid0(VALU_DEP_2) | instskip(NEXT) | instid1(VALU_DEP_1)
	v_add_nc_u32_e32 v2, 0, v1
	v_add3_u32 v1, v2, v1, 0x4000
	ds_load_b32 v5, v2
	ds_load_2addr_b32 v[1:2], v1 offset1:1
	s_cbranch_vccnz .LBB211_92
; %bb.89:                               ;   in Loop: Header=BB211_88 Depth=1
	v_dual_mov_b32 v3, s4 :: v_dual_mov_b32 v4, s5
	s_mov_b32 s9, 0
	s_mov_b32 s10, 0
.LBB211_90:                             ;   Parent Loop BB211_88 Depth=1
                                        ; =>  This Inner Loop Header: Depth=2
	s_delay_alu instid0(SALU_CYCLE_1)
	v_mov_b32_e32 v12, s10
	s_add_i32 s9, s9, 8
	s_add_i32 s10, s10, 32
	s_cmp_eq_u32 s6, s9
	ds_load_2addr_b32 v[6:7], v12 offset1:1
	ds_load_2addr_b32 v[8:9], v12 offset0:2 offset1:3
	ds_load_2addr_b32 v[10:11], v12 offset0:4 offset1:5
	;; [unrolled: 1-line block ×3, first 2 shown]
	s_waitcnt lgkmcnt(3)
	v_cmp_gt_i32_e32 vcc_lo, v5, v6
	v_cndmask_b32_e64 v6, 0, 1, vcc_lo
	v_cmp_gt_i32_e32 vcc_lo, v5, v7
	v_cndmask_b32_e64 v7, 0, 1, vcc_lo
	s_waitcnt lgkmcnt(2)
	v_cmp_gt_i32_e32 vcc_lo, v5, v8
	v_cndmask_b32_e64 v8, 0, 1, vcc_lo
	v_cmp_gt_i32_e32 vcc_lo, v5, v9
	v_cndmask_b32_e64 v9, 0, 1, vcc_lo
	s_waitcnt lgkmcnt(1)
	v_cmp_gt_i32_e32 vcc_lo, v5, v10
	v_cndmask_b32_e64 v10, 0, 1, vcc_lo
	v_add_co_u32 v3, vcc_lo, v3, v6
	v_add_co_ci_u32_e32 v4, vcc_lo, 0, v4, vcc_lo
	v_cmp_gt_i32_e32 vcc_lo, v5, v11
	s_delay_alu instid0(VALU_DEP_3) | instskip(NEXT) | instid1(VALU_DEP_1)
	v_add_co_u32 v3, s0, v3, v7
	v_add_co_ci_u32_e64 v4, s0, 0, v4, s0
	v_cndmask_b32_e64 v6, 0, 1, vcc_lo
	s_delay_alu instid0(VALU_DEP_3) | instskip(NEXT) | instid1(VALU_DEP_3)
	v_add_co_u32 v3, vcc_lo, v3, v8
	v_add_co_ci_u32_e32 v4, vcc_lo, 0, v4, vcc_lo
	s_waitcnt lgkmcnt(0)
	v_cmp_gt_i32_e32 vcc_lo, v5, v12
	s_delay_alu instid0(VALU_DEP_3) | instskip(NEXT) | instid1(VALU_DEP_1)
	v_add_co_u32 v3, s0, v3, v9
	v_add_co_ci_u32_e64 v4, s0, 0, v4, s0
	v_cndmask_b32_e64 v7, 0, 1, vcc_lo
	s_delay_alu instid0(VALU_DEP_3) | instskip(NEXT) | instid1(VALU_DEP_3)
	v_add_co_u32 v3, vcc_lo, v3, v10
	v_add_co_ci_u32_e32 v4, vcc_lo, 0, v4, vcc_lo
	v_cmp_gt_i32_e32 vcc_lo, v5, v13
	s_delay_alu instid0(VALU_DEP_3) | instskip(NEXT) | instid1(VALU_DEP_1)
	v_add_co_u32 v3, s0, v3, v6
	v_add_co_ci_u32_e64 v4, s0, 0, v4, s0
	v_cndmask_b32_e64 v6, 0, 1, vcc_lo
	s_delay_alu instid0(VALU_DEP_3) | instskip(NEXT) | instid1(VALU_DEP_3)
	v_add_co_u32 v3, vcc_lo, v3, v7
	v_add_co_ci_u32_e32 v4, vcc_lo, 0, v4, vcc_lo
	s_delay_alu instid0(VALU_DEP_2) | instskip(NEXT) | instid1(VALU_DEP_2)
	v_add_co_u32 v3, vcc_lo, v3, v6
	v_add_co_ci_u32_e32 v4, vcc_lo, 0, v4, vcc_lo
	s_cbranch_scc0 .LBB211_90
; %bb.91:                               ;   in Loop: Header=BB211_88 Depth=1
	s_mov_b32 s0, s6
.LBB211_92:                             ;   in Loop: Header=BB211_88 Depth=1
	s_and_not1_b32 vcc_lo, exec_lo, s7
	s_cbranch_vccnz .LBB211_87
; %bb.93:                               ;   in Loop: Header=BB211_88 Depth=1
	s_lshl_b32 s0, s0, 2
	s_mov_b32 s9, s1
	s_add_i32 s0, s0, 0
.LBB211_94:                             ;   Parent Loop BB211_88 Depth=1
                                        ; =>  This Inner Loop Header: Depth=2
	s_delay_alu instid0(SALU_CYCLE_1)
	v_mov_b32_e32 v6, s0
	s_add_i32 s9, s9, -1
	s_add_i32 s0, s0, 4
	s_cmp_lg_u32 s9, 0
	ds_load_b32 v6, v6
	s_waitcnt lgkmcnt(0)
	v_cmp_gt_i32_e32 vcc_lo, v5, v6
	v_cndmask_b32_e64 v6, 0, 1, vcc_lo
	s_delay_alu instid0(VALU_DEP_1)
	v_add_co_u32 v3, vcc_lo, v3, v6
	v_add_co_ci_u32_e32 v4, vcc_lo, 0, v4, vcc_lo
	s_cbranch_scc1 .LBB211_94
	s_branch .LBB211_87
.LBB211_95:
	s_nop 0
	s_sendmsg sendmsg(MSG_DEALLOC_VGPRS)
	s_endpgm
	.section	.rodata,"a",@progbits
	.p2align	6, 0x0
	.amdhsa_kernel _ZN9rocsparseL41csrgemm_numeric_fill_block_per_row_kernelILj1024ELj64ELj4096ELj137ELj64Eli21rocsparse_complex_numIfEEEvT5_PKS3_S5_NS_24const_host_device_scalarIT6_EEPKT4_S5_PKS7_SB_S5_SD_S8_SB_S5_SD_SB_S5_PS7_21rocsparse_index_base_SF_SF_SF_bbb
		.amdhsa_group_segment_fixed_size 0
		.amdhsa_private_segment_fixed_size 0
		.amdhsa_kernarg_size 156
		.amdhsa_user_sgpr_count 15
		.amdhsa_user_sgpr_dispatch_ptr 0
		.amdhsa_user_sgpr_queue_ptr 0
		.amdhsa_user_sgpr_kernarg_segment_ptr 1
		.amdhsa_user_sgpr_dispatch_id 0
		.amdhsa_user_sgpr_private_segment_size 0
		.amdhsa_wavefront_size32 1
		.amdhsa_uses_dynamic_stack 0
		.amdhsa_enable_private_segment 0
		.amdhsa_system_sgpr_workgroup_id_x 1
		.amdhsa_system_sgpr_workgroup_id_y 0
		.amdhsa_system_sgpr_workgroup_id_z 0
		.amdhsa_system_sgpr_workgroup_info 0
		.amdhsa_system_vgpr_workitem_id 0
		.amdhsa_next_free_vgpr 21
		.amdhsa_next_free_sgpr 48
		.amdhsa_reserve_vcc 1
		.amdhsa_float_round_mode_32 0
		.amdhsa_float_round_mode_16_64 0
		.amdhsa_float_denorm_mode_32 3
		.amdhsa_float_denorm_mode_16_64 3
		.amdhsa_dx10_clamp 1
		.amdhsa_ieee_mode 1
		.amdhsa_fp16_overflow 0
		.amdhsa_workgroup_processor_mode 1
		.amdhsa_memory_ordered 1
		.amdhsa_forward_progress 0
		.amdhsa_shared_vgpr_count 0
		.amdhsa_exception_fp_ieee_invalid_op 0
		.amdhsa_exception_fp_denorm_src 0
		.amdhsa_exception_fp_ieee_div_zero 0
		.amdhsa_exception_fp_ieee_overflow 0
		.amdhsa_exception_fp_ieee_underflow 0
		.amdhsa_exception_fp_ieee_inexact 0
		.amdhsa_exception_int_div_zero 0
	.end_amdhsa_kernel
	.section	.text._ZN9rocsparseL41csrgemm_numeric_fill_block_per_row_kernelILj1024ELj64ELj4096ELj137ELj64Eli21rocsparse_complex_numIfEEEvT5_PKS3_S5_NS_24const_host_device_scalarIT6_EEPKT4_S5_PKS7_SB_S5_SD_S8_SB_S5_SD_SB_S5_PS7_21rocsparse_index_base_SF_SF_SF_bbb,"axG",@progbits,_ZN9rocsparseL41csrgemm_numeric_fill_block_per_row_kernelILj1024ELj64ELj4096ELj137ELj64Eli21rocsparse_complex_numIfEEEvT5_PKS3_S5_NS_24const_host_device_scalarIT6_EEPKT4_S5_PKS7_SB_S5_SD_S8_SB_S5_SD_SB_S5_PS7_21rocsparse_index_base_SF_SF_SF_bbb,comdat
.Lfunc_end211:
	.size	_ZN9rocsparseL41csrgemm_numeric_fill_block_per_row_kernelILj1024ELj64ELj4096ELj137ELj64Eli21rocsparse_complex_numIfEEEvT5_PKS3_S5_NS_24const_host_device_scalarIT6_EEPKT4_S5_PKS7_SB_S5_SD_S8_SB_S5_SD_SB_S5_PS7_21rocsparse_index_base_SF_SF_SF_bbb, .Lfunc_end211-_ZN9rocsparseL41csrgemm_numeric_fill_block_per_row_kernelILj1024ELj64ELj4096ELj137ELj64Eli21rocsparse_complex_numIfEEEvT5_PKS3_S5_NS_24const_host_device_scalarIT6_EEPKT4_S5_PKS7_SB_S5_SD_S8_SB_S5_SD_SB_S5_PS7_21rocsparse_index_base_SF_SF_SF_bbb
                                        ; -- End function
	.section	.AMDGPU.csdata,"",@progbits
; Kernel info:
; codeLenInByte = 3576
; NumSgprs: 50
; NumVgprs: 21
; ScratchSize: 0
; MemoryBound: 0
; FloatMode: 240
; IeeeMode: 1
; LDSByteSize: 0 bytes/workgroup (compile time only)
; SGPRBlocks: 6
; VGPRBlocks: 2
; NumSGPRsForWavesPerEU: 50
; NumVGPRsForWavesPerEU: 21
; Occupancy: 16
; WaveLimiterHint : 1
; COMPUTE_PGM_RSRC2:SCRATCH_EN: 0
; COMPUTE_PGM_RSRC2:USER_SGPR: 15
; COMPUTE_PGM_RSRC2:TRAP_HANDLER: 0
; COMPUTE_PGM_RSRC2:TGID_X_EN: 1
; COMPUTE_PGM_RSRC2:TGID_Y_EN: 0
; COMPUTE_PGM_RSRC2:TGID_Z_EN: 0
; COMPUTE_PGM_RSRC2:TIDIG_COMP_CNT: 0
	.section	.text._ZN9rocsparseL41csrgemm_numeric_fill_block_per_row_kernelILj1024ELj64ELj8192ELj137ELj32Eli21rocsparse_complex_numIfEEEvT5_PKS3_S5_NS_24const_host_device_scalarIT6_EEPKT4_S5_PKS7_SB_S5_SD_S8_SB_S5_SD_SB_S5_PS7_21rocsparse_index_base_SF_SF_SF_bbb,"axG",@progbits,_ZN9rocsparseL41csrgemm_numeric_fill_block_per_row_kernelILj1024ELj64ELj8192ELj137ELj32Eli21rocsparse_complex_numIfEEEvT5_PKS3_S5_NS_24const_host_device_scalarIT6_EEPKT4_S5_PKS7_SB_S5_SD_S8_SB_S5_SD_SB_S5_PS7_21rocsparse_index_base_SF_SF_SF_bbb,comdat
	.globl	_ZN9rocsparseL41csrgemm_numeric_fill_block_per_row_kernelILj1024ELj64ELj8192ELj137ELj32Eli21rocsparse_complex_numIfEEEvT5_PKS3_S5_NS_24const_host_device_scalarIT6_EEPKT4_S5_PKS7_SB_S5_SD_S8_SB_S5_SD_SB_S5_PS7_21rocsparse_index_base_SF_SF_SF_bbb ; -- Begin function _ZN9rocsparseL41csrgemm_numeric_fill_block_per_row_kernelILj1024ELj64ELj8192ELj137ELj32Eli21rocsparse_complex_numIfEEEvT5_PKS3_S5_NS_24const_host_device_scalarIT6_EEPKT4_S5_PKS7_SB_S5_SD_S8_SB_S5_SD_SB_S5_PS7_21rocsparse_index_base_SF_SF_SF_bbb
	.p2align	8
	.type	_ZN9rocsparseL41csrgemm_numeric_fill_block_per_row_kernelILj1024ELj64ELj8192ELj137ELj32Eli21rocsparse_complex_numIfEEEvT5_PKS3_S5_NS_24const_host_device_scalarIT6_EEPKT4_S5_PKS7_SB_S5_SD_S8_SB_S5_SD_SB_S5_PS7_21rocsparse_index_base_SF_SF_SF_bbb,@function
_ZN9rocsparseL41csrgemm_numeric_fill_block_per_row_kernelILj1024ELj64ELj8192ELj137ELj32Eli21rocsparse_complex_numIfEEEvT5_PKS3_S5_NS_24const_host_device_scalarIT6_EEPKT4_S5_PKS7_SB_S5_SD_S8_SB_S5_SD_SB_S5_PS7_21rocsparse_index_base_SF_SF_SF_bbb: ; @_ZN9rocsparseL41csrgemm_numeric_fill_block_per_row_kernelILj1024ELj64ELj8192ELj137ELj32Eli21rocsparse_complex_numIfEEEvT5_PKS3_S5_NS_24const_host_device_scalarIT6_EEPKT4_S5_PKS7_SB_S5_SD_S8_SB_S5_SD_SB_S5_PS7_21rocsparse_index_base_SF_SF_SF_bbb
; %bb.0:
	s_clause 0x7
	s_load_b32 s12, s[0:1], 0x98
	s_load_b64 s[40:41], s[0:1], 0x70
	s_load_b128 s[24:27], s[0:1], 0x60
	s_load_b256 s[4:11], s[0:1], 0x40
	s_load_b128 s[28:31], s[0:1], 0x8
	s_load_b256 s[16:23], s[0:1], 0x20
	s_load_b64 s[34:35], s[0:1], 0x80
	s_load_b128 s[36:39], s[0:1], 0x88
	s_mov_b32 s3, 0
	s_mov_b32 s13, 0
	s_waitcnt lgkmcnt(0)
	s_bitcmp1_b32 s12, 0
	s_cselect_b32 s43, -1, 0
	s_bitcmp1_b32 s12, 16
	s_cselect_b32 s2, -1, 0
	s_delay_alu instid0(SALU_CYCLE_1) | instskip(SKIP_2) | instid1(VALU_DEP_1)
	s_xor_b32 s14, s2, -1
	s_bitcmp0_b32 s12, 0
	v_cndmask_b32_e64 v1, 0, 1, s14
	v_cmp_ne_u32_e32 vcc_lo, 1, v1
	s_cbranch_scc1 .LBB212_5
; %bb.1:
	s_load_b64 s[2:3], s[0:1], 0x18
	s_and_b32 vcc_lo, exec_lo, vcc_lo
	s_waitcnt lgkmcnt(0)
	s_mov_b32 s13, s2
	s_cbranch_vccnz .LBB212_3
; %bb.2:
	s_load_b32 s13, s[2:3], 0x0
.LBB212_3:
	s_and_not1_b32 vcc_lo, exec_lo, s14
	s_cbranch_vccnz .LBB212_5
; %bb.4:
	s_load_b32 s3, s[2:3], 0x4
.LBB212_5:
	s_bitcmp1_b32 s12, 8
	s_cselect_b32 s14, -1, 0
	s_bfe_u32 s2, s12, 0x10008
	s_mov_b32 s12, 0
	s_cmp_eq_u32 s2, 0
	s_mov_b32 s2, 0
	s_cbranch_scc1 .LBB212_11
; %bb.6:
	v_cmp_ne_u32_e32 vcc_lo, 1, v1
	s_mov_b32 s2, s8
	s_cbranch_vccnz .LBB212_8
; %bb.7:
	s_load_b32 s2, s[8:9], 0x0
.LBB212_8:
	v_cmp_ne_u32_e32 vcc_lo, 1, v1
	s_cbranch_vccnz .LBB212_10
; %bb.9:
	s_load_b32 s9, s[8:9], 0x4
.LBB212_10:
	s_waitcnt lgkmcnt(0)
	s_mov_b32 s12, s9
.LBB212_11:
	s_load_b32 s33, s[0:1], 0x0
	v_lshlrev_b32_e32 v1, 2, v0
	v_dual_mov_b32 v3, 0 :: v_dual_lshlrev_b32 v8, 3, v0
	s_mov_b32 s1, 0
	s_delay_alu instid0(VALU_DEP_2) | instskip(NEXT) | instid1(VALU_DEP_2)
	v_add_nc_u32_e32 v7, 0, v1
	v_add3_u32 v2, 0, 0x8000, v8
	s_delay_alu instid0(VALU_DEP_2) | instskip(NEXT) | instid1(VALU_DEP_2)
	v_add3_u32 v1, v7, v1, 0x8000
	v_add_nc_u32_e32 v4, 0x2000, v2
	v_add_nc_u32_e32 v5, 0x4000, v2
	;; [unrolled: 1-line block ×3, first 2 shown]
	s_waitcnt lgkmcnt(0)
	v_dual_mov_b32 v12, s33 :: v_dual_add_nc_u32 v9, 0x8000, v2
	v_mov_b32_e32 v10, s33
	ds_store_2addr_b32 v1, v3, v3 offset1:1
	ds_store_2addr_b32 v4, v3, v3 offset1:1
	;; [unrolled: 1-line block ×4, first 2 shown]
	v_dual_mov_b32 v1, s33 :: v_dual_mov_b32 v4, s33
	v_dual_mov_b32 v5, s33 :: v_dual_mov_b32 v6, s33
	v_mov_b32_e32 v11, s33
	v_mov_b32_e32 v13, s33
	ds_store_2addr_stride64_b32 v7, v1, v4 offset1:16
	ds_store_2addr_stride64_b32 v7, v5, v6 offset0:32 offset1:48
	ds_store_2addr_stride64_b32 v7, v10, v11 offset0:64 offset1:80
	v_add_nc_u32_e32 v1, 0xa000, v2
	v_add_nc_u32_e32 v4, 0xc000, v2
	;; [unrolled: 1-line block ×3, first 2 shown]
	ds_store_2addr_stride64_b32 v7, v12, v13 offset0:96 offset1:112
	ds_store_2addr_b32 v9, v3, v3 offset1:1
	ds_store_2addr_b32 v1, v3, v3 offset1:1
	;; [unrolled: 1-line block ×4, first 2 shown]
	s_waitcnt lgkmcnt(0)
	s_barrier
	buffer_gl0_inv
	s_load_b32 s0, s[28:29], 0x0
	s_waitcnt lgkmcnt(0)
	s_add_i32 s0, s0, s15
	s_delay_alu instid0(SALU_CYCLE_1) | instskip(NEXT) | instid1(SALU_CYCLE_1)
	s_lshl_b64 s[0:1], s[0:1], 2
	s_add_u32 s0, s30, s0
	s_addc_u32 s1, s31, s1
	s_and_not1_b32 vcc_lo, exec_lo, s43
	s_load_b32 s42, s[0:1], 0x0
	s_cbranch_vccnz .LBB212_31
; %bb.12:
	s_waitcnt lgkmcnt(0)
	s_ashr_i32 s43, s42, 31
	v_lshrrev_b32_e32 v1, 6, v0
	s_lshl_b64 s[0:1], s[42:43], 3
	s_mov_b32 s8, exec_lo
	s_add_u32 s0, s16, s0
	s_addc_u32 s1, s17, s1
	s_load_b128 s[28:31], s[0:1], 0x0
	v_sub_co_u32 v1, s0, v1, s36
	s_delay_alu instid0(VALU_DEP_1) | instskip(SKIP_1) | instid1(VALU_DEP_2)
	v_sub_co_ci_u32_e64 v2, null, 0, 0, s0
	s_waitcnt lgkmcnt(0)
	v_add_co_u32 v1, vcc_lo, s28, v1
	s_delay_alu instid0(VALU_DEP_2)
	v_add_co_ci_u32_e32 v2, vcc_lo, s29, v2, vcc_lo
	s_sub_u32 s0, s30, s36
	s_subb_u32 s1, s31, 0
	s_delay_alu instid0(VALU_DEP_1) | instid1(SALU_CYCLE_1)
	v_cmpx_gt_i64_e64 s[0:1], v[1:2]
	s_cbranch_execz .LBB212_30
; %bb.13:
	v_and_b32_e32 v3, 63, v0
	s_mov_b32 s15, s37
	s_delay_alu instid0(VALU_DEP_1) | instskip(NEXT) | instid1(VALU_DEP_1)
	v_sub_co_u32 v9, s9, v3, s37
	v_sub_co_ci_u32_e64 v10, null, 0, 0, s9
	s_mov_b32 s9, 0
	s_branch .LBB212_15
.LBB212_14:                             ;   in Loop: Header=BB212_15 Depth=1
	s_or_b32 exec_lo, exec_lo, s16
	v_add_co_u32 v1, vcc_lo, v1, 16
	v_add_co_ci_u32_e32 v2, vcc_lo, 0, v2, vcc_lo
	s_delay_alu instid0(VALU_DEP_1) | instskip(SKIP_1) | instid1(SALU_CYCLE_1)
	v_cmp_le_i64_e32 vcc_lo, s[0:1], v[1:2]
	s_or_b32 s9, vcc_lo, s9
	s_and_not1_b32 exec_lo, exec_lo, s9
	s_cbranch_execz .LBB212_30
.LBB212_15:                             ; =>This Loop Header: Depth=1
                                        ;     Child Loop BB212_18 Depth 2
                                        ;       Child Loop BB212_20 Depth 3
	v_lshlrev_b64 v[3:4], 2, v[1:2]
	s_mov_b32 s16, exec_lo
	s_delay_alu instid0(VALU_DEP_1) | instskip(NEXT) | instid1(VALU_DEP_2)
	v_add_co_u32 v3, vcc_lo, s18, v3
	v_add_co_ci_u32_e32 v4, vcc_lo, s19, v4, vcc_lo
	global_load_b32 v3, v[3:4], off
	s_waitcnt vmcnt(0)
	v_subrev_nc_u32_e32 v3, s36, v3
	s_delay_alu instid0(VALU_DEP_1) | instskip(NEXT) | instid1(VALU_DEP_1)
	v_ashrrev_i32_e32 v4, 31, v3
	v_lshlrev_b64 v[3:4], 3, v[3:4]
	s_delay_alu instid0(VALU_DEP_1) | instskip(NEXT) | instid1(VALU_DEP_2)
	v_add_co_u32 v3, vcc_lo, s22, v3
	v_add_co_ci_u32_e32 v4, vcc_lo, s23, v4, vcc_lo
	global_load_b128 v[11:14], v[3:4], off
	s_waitcnt vmcnt(0)
	v_sub_co_u32 v3, vcc_lo, v13, s15
	v_subrev_co_ci_u32_e32 v4, vcc_lo, 0, v14, vcc_lo
	v_add_co_u32 v5, vcc_lo, v11, v9
	v_add_co_ci_u32_e32 v6, vcc_lo, v12, v10, vcc_lo
	s_delay_alu instid0(VALU_DEP_1)
	v_cmpx_lt_i64_e64 v[5:6], v[3:4]
	s_cbranch_execz .LBB212_14
; %bb.16:                               ;   in Loop: Header=BB212_15 Depth=1
	v_lshlrev_b64 v[11:12], 3, v[1:2]
	s_mov_b32 s17, 0
	s_delay_alu instid0(VALU_DEP_1) | instskip(NEXT) | instid1(VALU_DEP_2)
	v_add_co_u32 v11, vcc_lo, s20, v11
	v_add_co_ci_u32_e32 v12, vcc_lo, s21, v12, vcc_lo
	global_load_b64 v[13:14], v[11:12], off
	s_waitcnt vmcnt(0)
	v_mul_f32_e64 v11, v14, -s3
	s_delay_alu instid0(VALU_DEP_1) | instskip(NEXT) | instid1(VALU_DEP_1)
	v_dual_mul_f32 v12, s13, v14 :: v_dual_fmac_f32 v11, s13, v13
	v_fmac_f32_e32 v12, s3, v13
	s_branch .LBB212_18
.LBB212_17:                             ;   in Loop: Header=BB212_18 Depth=2
	s_or_b32 exec_lo, exec_lo, s28
	v_add_co_u32 v5, vcc_lo, v5, 64
	v_add_co_ci_u32_e32 v6, vcc_lo, 0, v6, vcc_lo
	s_delay_alu instid0(VALU_DEP_1) | instskip(SKIP_1) | instid1(SALU_CYCLE_1)
	v_cmp_ge_i64_e32 vcc_lo, v[5:6], v[3:4]
	s_or_b32 s17, vcc_lo, s17
	s_and_not1_b32 exec_lo, exec_lo, s17
	s_cbranch_execz .LBB212_14
.LBB212_18:                             ;   Parent Loop BB212_15 Depth=1
                                        ; =>  This Loop Header: Depth=2
                                        ;       Child Loop BB212_20 Depth 3
	v_lshlrev_b64 v[13:14], 2, v[5:6]
	v_lshlrev_b64 v[15:16], 3, v[5:6]
	s_mov_b32 s28, 0
	s_delay_alu instid0(VALU_DEP_2) | instskip(NEXT) | instid1(VALU_DEP_3)
	v_add_co_u32 v13, vcc_lo, s4, v13
	v_add_co_ci_u32_e32 v14, vcc_lo, s5, v14, vcc_lo
	global_load_b32 v18, v[13:14], off
	v_add_co_u32 v13, vcc_lo, s6, v15
	v_add_co_ci_u32_e32 v14, vcc_lo, s7, v16, vcc_lo
	global_load_b64 v[16:17], v[13:14], off
	s_waitcnt vmcnt(1)
	v_subrev_nc_u32_e32 v13, s37, v18
	s_delay_alu instid0(VALU_DEP_1) | instskip(SKIP_3) | instid1(VALU_DEP_2)
	v_mul_lo_u32 v18, 0x89, v13
	s_waitcnt vmcnt(0)
	v_mul_f32_e64 v14, v17, -v12
	v_mul_f32_e32 v15, v11, v17
	v_fmac_f32_e32 v14, v11, v16
	s_delay_alu instid0(VALU_DEP_2)
	v_dual_fmac_f32 v15, v12, v16 :: v_dual_and_b32 v16, 0x1fff, v18
	s_branch .LBB212_20
.LBB212_19:                             ;   in Loop: Header=BB212_20 Depth=3
	s_or_b32 exec_lo, exec_lo, s29
	s_xor_b32 s29, s30, -1
	s_delay_alu instid0(SALU_CYCLE_1) | instskip(NEXT) | instid1(SALU_CYCLE_1)
	s_and_b32 s29, exec_lo, s29
	s_or_b32 s28, s29, s28
	s_delay_alu instid0(SALU_CYCLE_1)
	s_and_not1_b32 exec_lo, exec_lo, s28
	s_cbranch_execz .LBB212_17
.LBB212_20:                             ;   Parent Loop BB212_15 Depth=1
                                        ;     Parent Loop BB212_18 Depth=2
                                        ; =>    This Inner Loop Header: Depth=3
	s_delay_alu instid0(VALU_DEP_1)
	v_lshl_add_u32 v17, v16, 2, 0
	s_mov_b32 s29, exec_lo
                                        ; implicit-def: $sgpr30
	ds_load_b32 v18, v17
	s_waitcnt lgkmcnt(0)
	v_cmpx_ne_u32_e64 v18, v13
	s_xor_b32 s29, exec_lo, s29
	s_cbranch_execz .LBB212_28
; %bb.21:                               ;   in Loop: Header=BB212_20 Depth=3
	s_mov_b32 s31, exec_lo
                                        ; implicit-def: $sgpr30
	v_cmpx_ne_u32_e64 s33, v18
	s_xor_b32 s31, exec_lo, s31
; %bb.22:                               ;   in Loop: Header=BB212_20 Depth=3
	v_add_nc_u32_e32 v16, 1, v16
	s_mov_b32 s30, -1
                                        ; implicit-def: $vgpr17
	s_delay_alu instid0(VALU_DEP_1)
	v_and_b32_e32 v16, 0x1fff, v16
; %bb.23:                               ;   in Loop: Header=BB212_20 Depth=3
	s_and_not1_saveexec_b32 s31, s31
	s_cbranch_execz .LBB212_27
; %bb.24:                               ;   in Loop: Header=BB212_20 Depth=3
	v_mov_b32_e32 v18, s33
	s_mov_b32 s43, -1
	s_mov_b32 s44, exec_lo
	ds_cmpstore_rtn_b32 v18, v17, v13, v18
	s_waitcnt lgkmcnt(0)
	v_cmpx_eq_u32_e64 s33, v18
	s_cbranch_execz .LBB212_26
; %bb.25:                               ;   in Loop: Header=BB212_20 Depth=3
	v_lshl_add_u32 v17, v16, 2, v17
	s_xor_b32 s43, exec_lo, -1
	ds_add_f32 v17, v14 offset:32768
	ds_add_f32 v17, v15 offset:32772
.LBB212_26:                             ;   in Loop: Header=BB212_20 Depth=3
	s_or_b32 exec_lo, exec_lo, s44
	s_delay_alu instid0(SALU_CYCLE_1) | instskip(SKIP_1) | instid1(SALU_CYCLE_1)
	s_and_not1_b32 s30, s30, exec_lo
	s_and_b32 s43, s43, exec_lo
	s_or_b32 s30, s30, s43
.LBB212_27:                             ;   in Loop: Header=BB212_20 Depth=3
	s_or_b32 exec_lo, exec_lo, s31
	s_delay_alu instid0(SALU_CYCLE_1)
	s_and_b32 s30, s30, exec_lo
                                        ; implicit-def: $vgpr17
.LBB212_28:                             ;   in Loop: Header=BB212_20 Depth=3
	s_and_not1_saveexec_b32 s29, s29
	s_cbranch_execz .LBB212_19
; %bb.29:                               ;   in Loop: Header=BB212_20 Depth=3
	v_lshl_add_u32 v17, v16, 2, v17
	s_and_not1_b32 s30, s30, exec_lo
	ds_add_f32 v17, v14 offset:32768
	ds_add_f32 v17, v15 offset:32772
	s_branch .LBB212_19
.LBB212_30:
	s_or_b32 exec_lo, exec_lo, s8
.LBB212_31:
	s_delay_alu instid0(SALU_CYCLE_1)
	s_and_not1_b32 vcc_lo, exec_lo, s14
	s_cbranch_vccnz .LBB212_34
; %bb.32:
	s_waitcnt lgkmcnt(0)
	s_ashr_i32 s43, s42, 31
	s_mov_b32 s3, exec_lo
	s_lshl_b64 s[0:1], s[42:43], 3
	s_delay_alu instid0(SALU_CYCLE_1) | instskip(SKIP_3) | instid1(VALU_DEP_1)
	s_add_u32 s0, s10, s0
	s_addc_u32 s1, s11, s1
	s_load_b128 s[4:7], s[0:1], 0x0
	v_sub_co_u32 v1, s0, v0, s39
	v_sub_co_ci_u32_e64 v2, null, 0, 0, s0
	s_waitcnt lgkmcnt(0)
	s_delay_alu instid0(VALU_DEP_2) | instskip(NEXT) | instid1(VALU_DEP_2)
	v_add_co_u32 v1, vcc_lo, s4, v1
	v_add_co_ci_u32_e32 v2, vcc_lo, s5, v2, vcc_lo
	s_sub_u32 s0, s6, s39
	s_subb_u32 s1, s7, 0
	s_mov_b32 s4, 0
	s_delay_alu instid0(VALU_DEP_1)
	v_cmpx_gt_i64_e64 s[0:1], v[1:2]
	s_cbranch_execnz .LBB212_103
.LBB212_33:
	s_or_b32 exec_lo, exec_lo, s3
.LBB212_34:
	v_mbcnt_lo_u32_b32 v1, -1, 0
	v_lshrrev_b32_e32 v2, 3, v0
	s_add_i32 s68, 0, 0x1807c
	v_cmp_eq_u32_e32 vcc_lo, 0x3ff, v0
	v_cmp_lt_u32_e64 s0, 31, v0
	v_xor_b32_e32 v1, 63, v1
	v_and_b32_e32 v3, 0x7c, v2
	v_cmp_lt_u32_e64 s1, 63, v0
	v_cmp_lt_u32_e64 s2, 0x5f, v0
	;; [unrolled: 1-line block ×3, first 2 shown]
	v_lshrrev_b64 v[1:2], v1, -1
	v_cmp_lt_u32_e64 s4, 0x9f, v0
	v_cmp_lt_u32_e64 s5, 0xbf, v0
	;; [unrolled: 1-line block ×27, first 2 shown]
	v_add3_u32 v5, v8, 0, 0x8000
	v_mov_b32_e32 v8, 0
	v_add3_u32 v4, 0, 0x18000, v3
	v_or_b32_e32 v6, 0xfffffc00, v0
	v_mov_b32_e32 v9, s68
	s_mov_b32 s36, 0
	s_add_i32 s37, 0, 0x18000
	s_add_i32 s39, 0, 0x18004
	;; [unrolled: 1-line block ×31, first 2 shown]
	s_waitcnt lgkmcnt(0)
	s_barrier
	buffer_gl0_inv
	s_branch .LBB212_36
.LBB212_35:                             ;   in Loop: Header=BB212_36 Depth=1
	s_or_b32 exec_lo, exec_lo, s31
	s_waitcnt lgkmcnt(0)
	s_barrier
	buffer_gl0_inv
	ds_load_b32 v2, v9
	v_add_nc_u32_e32 v6, 0x400, v6
	v_add_nc_u32_e32 v5, 0x2000, v5
	;; [unrolled: 1-line block ×3, first 2 shown]
	s_delay_alu instid0(VALU_DEP_3) | instskip(NEXT) | instid1(VALU_DEP_1)
	v_cmp_lt_u32_e64 s31, 0x1bff, v6
	s_or_b32 s36, s31, s36
	s_waitcnt lgkmcnt(0)
	v_add_nc_u32_e32 v8, v2, v8
	s_and_not1_b32 exec_lo, exec_lo, s36
	s_cbranch_execz .LBB212_115
.LBB212_36:                             ; =>This Inner Loop Header: Depth=1
	ds_load_b32 v10, v7
	ds_load_2addr_b32 v[2:3], v5 offset1:1
	s_waitcnt lgkmcnt(0)
	s_barrier
	buffer_gl0_inv
	v_cmp_gt_i32_e64 s31, s33, v10
	s_delay_alu instid0(VALU_DEP_1) | instskip(NEXT) | instid1(SALU_CYCLE_1)
	s_bcnt1_i32_b32 s73, s31
	v_dual_mov_b32 v12, s73 :: v_dual_and_b32 v11, s31, v1
	s_delay_alu instid0(VALU_DEP_1)
	v_bcnt_u32_b32 v11, v11, 0
	ds_store_b32 v4, v12
	s_waitcnt lgkmcnt(0)
	s_barrier
	buffer_gl0_inv
	s_and_saveexec_b32 s73, s0
	s_cbranch_execnz .LBB212_69
; %bb.37:                               ;   in Loop: Header=BB212_36 Depth=1
	s_or_b32 exec_lo, exec_lo, s73
	s_and_saveexec_b32 s73, s1
	s_cbranch_execnz .LBB212_70
.LBB212_38:                             ;   in Loop: Header=BB212_36 Depth=1
	s_or_b32 exec_lo, exec_lo, s73
	s_and_saveexec_b32 s73, s2
	s_cbranch_execnz .LBB212_71
.LBB212_39:                             ;   in Loop: Header=BB212_36 Depth=1
	s_or_b32 exec_lo, exec_lo, s73
	s_and_saveexec_b32 s73, s3
	s_cbranch_execnz .LBB212_72
.LBB212_40:                             ;   in Loop: Header=BB212_36 Depth=1
	s_or_b32 exec_lo, exec_lo, s73
	s_and_saveexec_b32 s73, s4
	s_cbranch_execnz .LBB212_73
.LBB212_41:                             ;   in Loop: Header=BB212_36 Depth=1
	s_or_b32 exec_lo, exec_lo, s73
	s_and_saveexec_b32 s73, s5
	s_cbranch_execnz .LBB212_74
.LBB212_42:                             ;   in Loop: Header=BB212_36 Depth=1
	s_or_b32 exec_lo, exec_lo, s73
	s_and_saveexec_b32 s73, s6
	s_cbranch_execnz .LBB212_75
.LBB212_43:                             ;   in Loop: Header=BB212_36 Depth=1
	s_or_b32 exec_lo, exec_lo, s73
	s_and_saveexec_b32 s73, s7
	s_cbranch_execnz .LBB212_76
.LBB212_44:                             ;   in Loop: Header=BB212_36 Depth=1
	s_or_b32 exec_lo, exec_lo, s73
	s_and_saveexec_b32 s73, s8
	s_cbranch_execnz .LBB212_77
.LBB212_45:                             ;   in Loop: Header=BB212_36 Depth=1
	s_or_b32 exec_lo, exec_lo, s73
	s_and_saveexec_b32 s73, s9
	s_cbranch_execnz .LBB212_78
.LBB212_46:                             ;   in Loop: Header=BB212_36 Depth=1
	s_or_b32 exec_lo, exec_lo, s73
	s_and_saveexec_b32 s73, s10
	s_cbranch_execnz .LBB212_79
.LBB212_47:                             ;   in Loop: Header=BB212_36 Depth=1
	s_or_b32 exec_lo, exec_lo, s73
	s_and_saveexec_b32 s73, s11
	s_cbranch_execnz .LBB212_80
.LBB212_48:                             ;   in Loop: Header=BB212_36 Depth=1
	s_or_b32 exec_lo, exec_lo, s73
	s_and_saveexec_b32 s73, s12
	s_cbranch_execnz .LBB212_81
.LBB212_49:                             ;   in Loop: Header=BB212_36 Depth=1
	s_or_b32 exec_lo, exec_lo, s73
	s_and_saveexec_b32 s73, s13
	s_cbranch_execnz .LBB212_82
.LBB212_50:                             ;   in Loop: Header=BB212_36 Depth=1
	s_or_b32 exec_lo, exec_lo, s73
	s_and_saveexec_b32 s73, s14
	s_cbranch_execnz .LBB212_83
.LBB212_51:                             ;   in Loop: Header=BB212_36 Depth=1
	s_or_b32 exec_lo, exec_lo, s73
	s_and_saveexec_b32 s73, s15
	s_cbranch_execnz .LBB212_84
.LBB212_52:                             ;   in Loop: Header=BB212_36 Depth=1
	s_or_b32 exec_lo, exec_lo, s73
	s_and_saveexec_b32 s73, s16
	s_cbranch_execnz .LBB212_85
.LBB212_53:                             ;   in Loop: Header=BB212_36 Depth=1
	s_or_b32 exec_lo, exec_lo, s73
	s_and_saveexec_b32 s73, s17
	s_cbranch_execnz .LBB212_86
.LBB212_54:                             ;   in Loop: Header=BB212_36 Depth=1
	s_or_b32 exec_lo, exec_lo, s73
	s_and_saveexec_b32 s73, s18
	s_cbranch_execnz .LBB212_87
.LBB212_55:                             ;   in Loop: Header=BB212_36 Depth=1
	s_or_b32 exec_lo, exec_lo, s73
	s_and_saveexec_b32 s73, s19
	s_cbranch_execnz .LBB212_88
.LBB212_56:                             ;   in Loop: Header=BB212_36 Depth=1
	s_or_b32 exec_lo, exec_lo, s73
	s_and_saveexec_b32 s73, s20
	s_cbranch_execnz .LBB212_89
.LBB212_57:                             ;   in Loop: Header=BB212_36 Depth=1
	s_or_b32 exec_lo, exec_lo, s73
	s_and_saveexec_b32 s73, s21
	s_cbranch_execnz .LBB212_90
.LBB212_58:                             ;   in Loop: Header=BB212_36 Depth=1
	s_or_b32 exec_lo, exec_lo, s73
	s_and_saveexec_b32 s73, s22
	s_cbranch_execnz .LBB212_91
.LBB212_59:                             ;   in Loop: Header=BB212_36 Depth=1
	s_or_b32 exec_lo, exec_lo, s73
	s_and_saveexec_b32 s73, s23
	s_cbranch_execnz .LBB212_92
.LBB212_60:                             ;   in Loop: Header=BB212_36 Depth=1
	s_or_b32 exec_lo, exec_lo, s73
	s_and_saveexec_b32 s73, s24
	s_cbranch_execnz .LBB212_93
.LBB212_61:                             ;   in Loop: Header=BB212_36 Depth=1
	s_or_b32 exec_lo, exec_lo, s73
	s_and_saveexec_b32 s73, s25
	s_cbranch_execnz .LBB212_94
.LBB212_62:                             ;   in Loop: Header=BB212_36 Depth=1
	s_or_b32 exec_lo, exec_lo, s73
	s_and_saveexec_b32 s73, s26
	s_cbranch_execnz .LBB212_95
.LBB212_63:                             ;   in Loop: Header=BB212_36 Depth=1
	s_or_b32 exec_lo, exec_lo, s73
	s_and_saveexec_b32 s73, s27
	s_cbranch_execnz .LBB212_96
.LBB212_64:                             ;   in Loop: Header=BB212_36 Depth=1
	s_or_b32 exec_lo, exec_lo, s73
	s_and_saveexec_b32 s73, s28
	s_cbranch_execnz .LBB212_97
.LBB212_65:                             ;   in Loop: Header=BB212_36 Depth=1
	s_or_b32 exec_lo, exec_lo, s73
	s_and_saveexec_b32 s73, s29
	s_cbranch_execnz .LBB212_98
.LBB212_66:                             ;   in Loop: Header=BB212_36 Depth=1
	s_or_b32 exec_lo, exec_lo, s73
	s_and_saveexec_b32 s73, s30
	s_cbranch_execnz .LBB212_99
.LBB212_67:                             ;   in Loop: Header=BB212_36 Depth=1
	s_or_b32 exec_lo, exec_lo, s73
	s_and_saveexec_b32 s73, s31
	s_cbranch_execnz .LBB212_100
.LBB212_68:                             ;   in Loop: Header=BB212_36 Depth=1
	s_or_b32 exec_lo, exec_lo, s73
	s_and_saveexec_b32 s31, vcc_lo
	s_cbranch_execz .LBB212_35
	s_branch .LBB212_101
.LBB212_69:                             ;   in Loop: Header=BB212_36 Depth=1
	v_mov_b32_e32 v12, s37
	ds_load_b32 v12, v12
	s_waitcnt lgkmcnt(0)
	v_add_nc_u32_e32 v11, v12, v11
	s_or_b32 exec_lo, exec_lo, s73
	s_and_saveexec_b32 s73, s1
	s_cbranch_execz .LBB212_38
.LBB212_70:                             ;   in Loop: Header=BB212_36 Depth=1
	v_mov_b32_e32 v12, s39
	ds_load_b32 v12, v12
	s_waitcnt lgkmcnt(0)
	v_add_nc_u32_e32 v11, v12, v11
	s_or_b32 exec_lo, exec_lo, s73
	s_and_saveexec_b32 s73, s2
	s_cbranch_execz .LBB212_39
.LBB212_71:                             ;   in Loop: Header=BB212_36 Depth=1
	v_mov_b32_e32 v12, s43
	ds_load_b32 v12, v12
	s_waitcnt lgkmcnt(0)
	v_add_nc_u32_e32 v11, v12, v11
	s_or_b32 exec_lo, exec_lo, s73
	s_and_saveexec_b32 s73, s3
	s_cbranch_execz .LBB212_40
.LBB212_72:                             ;   in Loop: Header=BB212_36 Depth=1
	v_mov_b32_e32 v12, s44
	ds_load_b32 v12, v12
	s_waitcnt lgkmcnt(0)
	v_add_nc_u32_e32 v11, v12, v11
	s_or_b32 exec_lo, exec_lo, s73
	s_and_saveexec_b32 s73, s4
	s_cbranch_execz .LBB212_41
.LBB212_73:                             ;   in Loop: Header=BB212_36 Depth=1
	v_mov_b32_e32 v12, s45
	ds_load_b32 v12, v12
	s_waitcnt lgkmcnt(0)
	v_add_nc_u32_e32 v11, v12, v11
	s_or_b32 exec_lo, exec_lo, s73
	s_and_saveexec_b32 s73, s5
	s_cbranch_execz .LBB212_42
.LBB212_74:                             ;   in Loop: Header=BB212_36 Depth=1
	v_mov_b32_e32 v12, s46
	ds_load_b32 v12, v12
	s_waitcnt lgkmcnt(0)
	v_add_nc_u32_e32 v11, v12, v11
	s_or_b32 exec_lo, exec_lo, s73
	s_and_saveexec_b32 s73, s6
	s_cbranch_execz .LBB212_43
.LBB212_75:                             ;   in Loop: Header=BB212_36 Depth=1
	v_mov_b32_e32 v12, s47
	ds_load_b32 v12, v12
	s_waitcnt lgkmcnt(0)
	v_add_nc_u32_e32 v11, v12, v11
	s_or_b32 exec_lo, exec_lo, s73
	s_and_saveexec_b32 s73, s7
	s_cbranch_execz .LBB212_44
.LBB212_76:                             ;   in Loop: Header=BB212_36 Depth=1
	v_mov_b32_e32 v12, s48
	ds_load_b32 v12, v12
	s_waitcnt lgkmcnt(0)
	v_add_nc_u32_e32 v11, v12, v11
	s_or_b32 exec_lo, exec_lo, s73
	s_and_saveexec_b32 s73, s8
	s_cbranch_execz .LBB212_45
.LBB212_77:                             ;   in Loop: Header=BB212_36 Depth=1
	v_mov_b32_e32 v12, s49
	ds_load_b32 v12, v12
	s_waitcnt lgkmcnt(0)
	v_add_nc_u32_e32 v11, v12, v11
	s_or_b32 exec_lo, exec_lo, s73
	s_and_saveexec_b32 s73, s9
	s_cbranch_execz .LBB212_46
.LBB212_78:                             ;   in Loop: Header=BB212_36 Depth=1
	v_mov_b32_e32 v12, s50
	ds_load_b32 v12, v12
	s_waitcnt lgkmcnt(0)
	v_add_nc_u32_e32 v11, v12, v11
	s_or_b32 exec_lo, exec_lo, s73
	s_and_saveexec_b32 s73, s10
	s_cbranch_execz .LBB212_47
.LBB212_79:                             ;   in Loop: Header=BB212_36 Depth=1
	v_mov_b32_e32 v12, s51
	ds_load_b32 v12, v12
	s_waitcnt lgkmcnt(0)
	v_add_nc_u32_e32 v11, v12, v11
	s_or_b32 exec_lo, exec_lo, s73
	s_and_saveexec_b32 s73, s11
	s_cbranch_execz .LBB212_48
.LBB212_80:                             ;   in Loop: Header=BB212_36 Depth=1
	v_mov_b32_e32 v12, s52
	ds_load_b32 v12, v12
	s_waitcnt lgkmcnt(0)
	v_add_nc_u32_e32 v11, v12, v11
	s_or_b32 exec_lo, exec_lo, s73
	s_and_saveexec_b32 s73, s12
	s_cbranch_execz .LBB212_49
.LBB212_81:                             ;   in Loop: Header=BB212_36 Depth=1
	v_mov_b32_e32 v12, s53
	ds_load_b32 v12, v12
	s_waitcnt lgkmcnt(0)
	v_add_nc_u32_e32 v11, v12, v11
	s_or_b32 exec_lo, exec_lo, s73
	s_and_saveexec_b32 s73, s13
	s_cbranch_execz .LBB212_50
.LBB212_82:                             ;   in Loop: Header=BB212_36 Depth=1
	v_mov_b32_e32 v12, s54
	ds_load_b32 v12, v12
	s_waitcnt lgkmcnt(0)
	v_add_nc_u32_e32 v11, v12, v11
	s_or_b32 exec_lo, exec_lo, s73
	s_and_saveexec_b32 s73, s14
	s_cbranch_execz .LBB212_51
.LBB212_83:                             ;   in Loop: Header=BB212_36 Depth=1
	v_mov_b32_e32 v12, s55
	ds_load_b32 v12, v12
	s_waitcnt lgkmcnt(0)
	v_add_nc_u32_e32 v11, v12, v11
	s_or_b32 exec_lo, exec_lo, s73
	s_and_saveexec_b32 s73, s15
	s_cbranch_execz .LBB212_52
.LBB212_84:                             ;   in Loop: Header=BB212_36 Depth=1
	v_mov_b32_e32 v12, s56
	ds_load_b32 v12, v12
	s_waitcnt lgkmcnt(0)
	v_add_nc_u32_e32 v11, v12, v11
	s_or_b32 exec_lo, exec_lo, s73
	s_and_saveexec_b32 s73, s16
	s_cbranch_execz .LBB212_53
.LBB212_85:                             ;   in Loop: Header=BB212_36 Depth=1
	v_mov_b32_e32 v12, s57
	ds_load_b32 v12, v12
	s_waitcnt lgkmcnt(0)
	v_add_nc_u32_e32 v11, v12, v11
	s_or_b32 exec_lo, exec_lo, s73
	s_and_saveexec_b32 s73, s17
	s_cbranch_execz .LBB212_54
.LBB212_86:                             ;   in Loop: Header=BB212_36 Depth=1
	v_mov_b32_e32 v12, s58
	ds_load_b32 v12, v12
	s_waitcnt lgkmcnt(0)
	v_add_nc_u32_e32 v11, v12, v11
	s_or_b32 exec_lo, exec_lo, s73
	s_and_saveexec_b32 s73, s18
	s_cbranch_execz .LBB212_55
.LBB212_87:                             ;   in Loop: Header=BB212_36 Depth=1
	v_mov_b32_e32 v12, s59
	ds_load_b32 v12, v12
	s_waitcnt lgkmcnt(0)
	v_add_nc_u32_e32 v11, v12, v11
	s_or_b32 exec_lo, exec_lo, s73
	s_and_saveexec_b32 s73, s19
	s_cbranch_execz .LBB212_56
.LBB212_88:                             ;   in Loop: Header=BB212_36 Depth=1
	v_mov_b32_e32 v12, s60
	ds_load_b32 v12, v12
	s_waitcnt lgkmcnt(0)
	v_add_nc_u32_e32 v11, v12, v11
	s_or_b32 exec_lo, exec_lo, s73
	s_and_saveexec_b32 s73, s20
	s_cbranch_execz .LBB212_57
.LBB212_89:                             ;   in Loop: Header=BB212_36 Depth=1
	v_mov_b32_e32 v12, s61
	ds_load_b32 v12, v12
	s_waitcnt lgkmcnt(0)
	v_add_nc_u32_e32 v11, v12, v11
	s_or_b32 exec_lo, exec_lo, s73
	s_and_saveexec_b32 s73, s21
	s_cbranch_execz .LBB212_58
.LBB212_90:                             ;   in Loop: Header=BB212_36 Depth=1
	v_mov_b32_e32 v12, s62
	ds_load_b32 v12, v12
	s_waitcnt lgkmcnt(0)
	v_add_nc_u32_e32 v11, v12, v11
	s_or_b32 exec_lo, exec_lo, s73
	s_and_saveexec_b32 s73, s22
	s_cbranch_execz .LBB212_59
.LBB212_91:                             ;   in Loop: Header=BB212_36 Depth=1
	v_mov_b32_e32 v12, s63
	ds_load_b32 v12, v12
	s_waitcnt lgkmcnt(0)
	v_add_nc_u32_e32 v11, v12, v11
	s_or_b32 exec_lo, exec_lo, s73
	s_and_saveexec_b32 s73, s23
	s_cbranch_execz .LBB212_60
.LBB212_92:                             ;   in Loop: Header=BB212_36 Depth=1
	v_mov_b32_e32 v12, s64
	ds_load_b32 v12, v12
	s_waitcnt lgkmcnt(0)
	v_add_nc_u32_e32 v11, v12, v11
	s_or_b32 exec_lo, exec_lo, s73
	s_and_saveexec_b32 s73, s24
	s_cbranch_execz .LBB212_61
.LBB212_93:                             ;   in Loop: Header=BB212_36 Depth=1
	v_mov_b32_e32 v12, s65
	ds_load_b32 v12, v12
	s_waitcnt lgkmcnt(0)
	v_add_nc_u32_e32 v11, v12, v11
	s_or_b32 exec_lo, exec_lo, s73
	s_and_saveexec_b32 s73, s25
	s_cbranch_execz .LBB212_62
.LBB212_94:                             ;   in Loop: Header=BB212_36 Depth=1
	v_mov_b32_e32 v12, s66
	ds_load_b32 v12, v12
	s_waitcnt lgkmcnt(0)
	v_add_nc_u32_e32 v11, v12, v11
	s_or_b32 exec_lo, exec_lo, s73
	s_and_saveexec_b32 s73, s26
	s_cbranch_execz .LBB212_63
.LBB212_95:                             ;   in Loop: Header=BB212_36 Depth=1
	v_mov_b32_e32 v12, s67
	ds_load_b32 v12, v12
	s_waitcnt lgkmcnt(0)
	v_add_nc_u32_e32 v11, v12, v11
	s_or_b32 exec_lo, exec_lo, s73
	s_and_saveexec_b32 s73, s27
	s_cbranch_execz .LBB212_64
.LBB212_96:                             ;   in Loop: Header=BB212_36 Depth=1
	v_mov_b32_e32 v12, s69
	ds_load_b32 v12, v12
	s_waitcnt lgkmcnt(0)
	v_add_nc_u32_e32 v11, v12, v11
	s_or_b32 exec_lo, exec_lo, s73
	s_and_saveexec_b32 s73, s28
	s_cbranch_execz .LBB212_65
.LBB212_97:                             ;   in Loop: Header=BB212_36 Depth=1
	v_mov_b32_e32 v12, s70
	ds_load_b32 v12, v12
	s_waitcnt lgkmcnt(0)
	v_add_nc_u32_e32 v11, v12, v11
	s_or_b32 exec_lo, exec_lo, s73
	s_and_saveexec_b32 s73, s29
	s_cbranch_execz .LBB212_66
.LBB212_98:                             ;   in Loop: Header=BB212_36 Depth=1
	v_mov_b32_e32 v12, s71
	ds_load_b32 v12, v12
	s_waitcnt lgkmcnt(0)
	v_add_nc_u32_e32 v11, v12, v11
	s_or_b32 exec_lo, exec_lo, s73
	s_and_saveexec_b32 s73, s30
	s_cbranch_execz .LBB212_67
.LBB212_99:                             ;   in Loop: Header=BB212_36 Depth=1
	v_mov_b32_e32 v12, s72
	ds_load_b32 v12, v12
	s_waitcnt lgkmcnt(0)
	v_add_nc_u32_e32 v11, v12, v11
	s_or_b32 exec_lo, exec_lo, s73
	s_and_saveexec_b32 s73, s31
	s_cbranch_execz .LBB212_68
.LBB212_100:                            ;   in Loop: Header=BB212_36 Depth=1
	s_delay_alu instid0(VALU_DEP_1) | instskip(NEXT) | instid1(VALU_DEP_1)
	v_add3_u32 v12, v8, -1, v11
	v_lshlrev_b32_e32 v13, 3, v12
	v_lshl_add_u32 v12, v12, 2, 0
	s_delay_alu instid0(VALU_DEP_2)
	v_add3_u32 v13, 0, v13, 0x8000
	ds_store_b32 v12, v10
	ds_store_2addr_b32 v13, v2, v3 offset1:1
	s_or_b32 exec_lo, exec_lo, s73
	s_and_saveexec_b32 s31, vcc_lo
	s_cbranch_execz .LBB212_35
.LBB212_101:                            ;   in Loop: Header=BB212_36 Depth=1
	v_mov_b32_e32 v2, s68
	ds_store_b32 v2, v11
	s_branch .LBB212_35
.LBB212_102:                            ;   in Loop: Header=BB212_103 Depth=1
	s_or_b32 exec_lo, exec_lo, s5
	v_add_co_u32 v1, vcc_lo, 0x400, v1
	v_add_co_ci_u32_e32 v2, vcc_lo, 0, v2, vcc_lo
	s_delay_alu instid0(VALU_DEP_1) | instskip(SKIP_1) | instid1(SALU_CYCLE_1)
	v_cmp_le_i64_e32 vcc_lo, s[0:1], v[1:2]
	s_or_b32 s4, vcc_lo, s4
	s_and_not1_b32 exec_lo, exec_lo, s4
	s_cbranch_execz .LBB212_33
.LBB212_103:                            ; =>This Loop Header: Depth=1
                                        ;     Child Loop BB212_105 Depth 2
	v_lshlrev_b64 v[3:4], 2, v[1:2]
	v_lshlrev_b64 v[5:6], 3, v[1:2]
	s_mov_b32 s5, 0
	s_delay_alu instid0(VALU_DEP_2) | instskip(NEXT) | instid1(VALU_DEP_3)
	v_add_co_u32 v3, vcc_lo, s24, v3
	v_add_co_ci_u32_e32 v4, vcc_lo, s25, v4, vcc_lo
	global_load_b32 v11, v[3:4], off
	v_add_co_u32 v3, vcc_lo, s26, v5
	v_add_co_ci_u32_e32 v4, vcc_lo, s27, v6, vcc_lo
	global_load_b64 v[9:10], v[3:4], off
	s_waitcnt vmcnt(1)
	v_subrev_nc_u32_e32 v3, s39, v11
	s_delay_alu instid0(VALU_DEP_1) | instskip(SKIP_2) | instid1(VALU_DEP_1)
	v_mul_lo_u32 v6, 0x89, v3
	s_waitcnt vmcnt(0)
	v_mul_f32_e64 v4, v10, -s12
	v_dual_mul_f32 v5, s2, v10 :: v_dual_fmac_f32 v4, s2, v9
	s_delay_alu instid0(VALU_DEP_1)
	v_dual_fmac_f32 v5, s12, v9 :: v_dual_and_b32 v6, 0x1fff, v6
	s_branch .LBB212_105
.LBB212_104:                            ;   in Loop: Header=BB212_105 Depth=2
	s_or_b32 exec_lo, exec_lo, s6
	s_xor_b32 s6, s7, -1
	s_delay_alu instid0(SALU_CYCLE_1) | instskip(NEXT) | instid1(SALU_CYCLE_1)
	s_and_b32 s6, exec_lo, s6
	s_or_b32 s5, s6, s5
	s_delay_alu instid0(SALU_CYCLE_1)
	s_and_not1_b32 exec_lo, exec_lo, s5
	s_cbranch_execz .LBB212_102
.LBB212_105:                            ;   Parent Loop BB212_103 Depth=1
                                        ; =>  This Inner Loop Header: Depth=2
	s_delay_alu instid0(VALU_DEP_1)
	v_lshl_add_u32 v9, v6, 2, 0
	s_mov_b32 s6, exec_lo
                                        ; implicit-def: $sgpr7
	ds_load_b32 v10, v9
	s_waitcnt lgkmcnt(0)
	v_cmpx_ne_u32_e64 v10, v3
	s_xor_b32 s6, exec_lo, s6
	s_cbranch_execz .LBB212_113
; %bb.106:                              ;   in Loop: Header=BB212_105 Depth=2
	s_mov_b32 s8, exec_lo
                                        ; implicit-def: $sgpr7
	v_cmpx_ne_u32_e64 s33, v10
	s_xor_b32 s8, exec_lo, s8
; %bb.107:                              ;   in Loop: Header=BB212_105 Depth=2
	v_add_nc_u32_e32 v6, 1, v6
	s_mov_b32 s7, -1
                                        ; implicit-def: $vgpr9
	s_delay_alu instid0(VALU_DEP_1)
	v_and_b32_e32 v6, 0x1fff, v6
; %bb.108:                              ;   in Loop: Header=BB212_105 Depth=2
	s_and_not1_saveexec_b32 s8, s8
	s_cbranch_execz .LBB212_112
; %bb.109:                              ;   in Loop: Header=BB212_105 Depth=2
	v_mov_b32_e32 v10, s33
	s_mov_b32 s9, -1
	s_mov_b32 s10, exec_lo
	ds_cmpstore_rtn_b32 v10, v9, v3, v10
	s_waitcnt lgkmcnt(0)
	v_cmpx_eq_u32_e64 s33, v10
	s_cbranch_execz .LBB212_111
; %bb.110:                              ;   in Loop: Header=BB212_105 Depth=2
	v_lshl_add_u32 v9, v6, 2, v9
	s_xor_b32 s9, exec_lo, -1
	ds_add_f32 v9, v4 offset:32768
	ds_add_f32 v9, v5 offset:32772
.LBB212_111:                            ;   in Loop: Header=BB212_105 Depth=2
	s_or_b32 exec_lo, exec_lo, s10
	s_delay_alu instid0(SALU_CYCLE_1) | instskip(SKIP_1) | instid1(SALU_CYCLE_1)
	s_and_not1_b32 s7, s7, exec_lo
	s_and_b32 s9, s9, exec_lo
	s_or_b32 s7, s7, s9
.LBB212_112:                            ;   in Loop: Header=BB212_105 Depth=2
	s_or_b32 exec_lo, exec_lo, s8
	s_delay_alu instid0(SALU_CYCLE_1)
	s_and_b32 s7, s7, exec_lo
                                        ; implicit-def: $vgpr9
.LBB212_113:                            ;   in Loop: Header=BB212_105 Depth=2
	s_and_not1_saveexec_b32 s6, s6
	s_cbranch_execz .LBB212_104
; %bb.114:                              ;   in Loop: Header=BB212_105 Depth=2
	v_lshl_add_u32 v9, v6, 2, v9
	s_and_not1_b32 s7, s7, exec_lo
	ds_add_f32 v9, v4 offset:32768
	ds_add_f32 v9, v5 offset:32772
	s_branch .LBB212_104
.LBB212_115:
	s_or_b32 exec_lo, exec_lo, s36
	s_ashr_i32 s43, s42, 31
	s_mov_b32 s4, exec_lo
	s_lshl_b64 s[0:1], s[42:43], 3
	s_delay_alu instid0(SALU_CYCLE_1) | instskip(SKIP_4) | instid1(SALU_CYCLE_1)
	s_add_u32 s0, s40, s0
	s_addc_u32 s1, s41, s1
	s_load_b128 s[0:3], s[0:1], 0x0
	s_waitcnt lgkmcnt(0)
	s_sub_i32 s3, s2, s0
	v_cmpx_gt_i32_e64 s3, v0
	s_cbranch_execz .LBB212_125
; %bb.116:
	s_sub_u32 s4, s0, s38
	s_subb_u32 s5, s1, 0
	s_sub_i32 s0, s0, s2
	s_and_b32 s1, s3, 7
	s_cmp_lt_u32 s0, -7
	s_mov_b32 s8, 0
	s_cselect_b32 s2, -1, 0
	s_and_b32 s6, s3, -8
	s_cmp_lg_u32 s1, 0
	s_cselect_b32 s7, -1, 0
	s_branch .LBB212_118
.LBB212_117:                            ;   in Loop: Header=BB212_118 Depth=1
	s_delay_alu instid0(VALU_DEP_1) | instskip(SKIP_1) | instid1(VALU_DEP_1)
	v_lshlrev_b64 v[3:4], 3, v[3:4]
	v_add_nc_u32_e32 v0, 0x400, v0
	v_cmp_le_i32_e32 vcc_lo, s3, v0
	s_delay_alu instid0(VALU_DEP_3) | instskip(NEXT) | instid1(VALU_DEP_1)
	v_add_co_u32 v3, s0, s34, v3
	v_add_co_ci_u32_e64 v4, s0, s35, v4, s0
	s_or_b32 s8, vcc_lo, s8
	s_waitcnt lgkmcnt(0)
	global_store_b64 v[3:4], v[1:2], off
	s_and_not1_b32 exec_lo, exec_lo, s8
	s_cbranch_execz .LBB212_125
.LBB212_118:                            ; =>This Loop Header: Depth=1
                                        ;     Child Loop BB212_120 Depth 2
                                        ;     Child Loop BB212_124 Depth 2
	v_lshlrev_b32_e32 v1, 2, v0
	v_dual_mov_b32 v3, s4 :: v_dual_mov_b32 v4, s5
	s_and_not1_b32 vcc_lo, exec_lo, s2
	s_mov_b32 s0, 0
	s_delay_alu instid0(VALU_DEP_2) | instskip(NEXT) | instid1(VALU_DEP_1)
	v_add_nc_u32_e32 v2, 0, v1
	v_add3_u32 v1, v2, v1, 0x8000
	ds_load_b32 v5, v2
	ds_load_2addr_b32 v[1:2], v1 offset1:1
	s_cbranch_vccnz .LBB212_122
; %bb.119:                              ;   in Loop: Header=BB212_118 Depth=1
	v_dual_mov_b32 v3, s4 :: v_dual_mov_b32 v4, s5
	s_mov_b32 s9, 0
	s_mov_b32 s10, 0
.LBB212_120:                            ;   Parent Loop BB212_118 Depth=1
                                        ; =>  This Inner Loop Header: Depth=2
	s_delay_alu instid0(SALU_CYCLE_1)
	v_mov_b32_e32 v12, s10
	s_add_i32 s9, s9, 8
	s_add_i32 s10, s10, 32
	s_cmp_eq_u32 s6, s9
	ds_load_2addr_b32 v[6:7], v12 offset1:1
	ds_load_2addr_b32 v[8:9], v12 offset0:2 offset1:3
	ds_load_2addr_b32 v[10:11], v12 offset0:4 offset1:5
	;; [unrolled: 1-line block ×3, first 2 shown]
	s_waitcnt lgkmcnt(3)
	v_cmp_gt_i32_e32 vcc_lo, v5, v6
	v_cndmask_b32_e64 v6, 0, 1, vcc_lo
	v_cmp_gt_i32_e32 vcc_lo, v5, v7
	v_cndmask_b32_e64 v7, 0, 1, vcc_lo
	s_waitcnt lgkmcnt(2)
	v_cmp_gt_i32_e32 vcc_lo, v5, v8
	v_cndmask_b32_e64 v8, 0, 1, vcc_lo
	v_cmp_gt_i32_e32 vcc_lo, v5, v9
	v_cndmask_b32_e64 v9, 0, 1, vcc_lo
	s_waitcnt lgkmcnt(1)
	v_cmp_gt_i32_e32 vcc_lo, v5, v10
	v_cndmask_b32_e64 v10, 0, 1, vcc_lo
	v_add_co_u32 v3, vcc_lo, v3, v6
	v_add_co_ci_u32_e32 v4, vcc_lo, 0, v4, vcc_lo
	v_cmp_gt_i32_e32 vcc_lo, v5, v11
	s_delay_alu instid0(VALU_DEP_3) | instskip(NEXT) | instid1(VALU_DEP_1)
	v_add_co_u32 v3, s0, v3, v7
	v_add_co_ci_u32_e64 v4, s0, 0, v4, s0
	v_cndmask_b32_e64 v6, 0, 1, vcc_lo
	s_delay_alu instid0(VALU_DEP_3) | instskip(NEXT) | instid1(VALU_DEP_3)
	v_add_co_u32 v3, vcc_lo, v3, v8
	v_add_co_ci_u32_e32 v4, vcc_lo, 0, v4, vcc_lo
	s_waitcnt lgkmcnt(0)
	v_cmp_gt_i32_e32 vcc_lo, v5, v12
	s_delay_alu instid0(VALU_DEP_3) | instskip(NEXT) | instid1(VALU_DEP_1)
	v_add_co_u32 v3, s0, v3, v9
	v_add_co_ci_u32_e64 v4, s0, 0, v4, s0
	v_cndmask_b32_e64 v7, 0, 1, vcc_lo
	s_delay_alu instid0(VALU_DEP_3) | instskip(NEXT) | instid1(VALU_DEP_3)
	v_add_co_u32 v3, vcc_lo, v3, v10
	v_add_co_ci_u32_e32 v4, vcc_lo, 0, v4, vcc_lo
	v_cmp_gt_i32_e32 vcc_lo, v5, v13
	s_delay_alu instid0(VALU_DEP_3) | instskip(NEXT) | instid1(VALU_DEP_1)
	v_add_co_u32 v3, s0, v3, v6
	v_add_co_ci_u32_e64 v4, s0, 0, v4, s0
	v_cndmask_b32_e64 v6, 0, 1, vcc_lo
	s_delay_alu instid0(VALU_DEP_3) | instskip(NEXT) | instid1(VALU_DEP_3)
	v_add_co_u32 v3, vcc_lo, v3, v7
	v_add_co_ci_u32_e32 v4, vcc_lo, 0, v4, vcc_lo
	s_delay_alu instid0(VALU_DEP_2) | instskip(NEXT) | instid1(VALU_DEP_2)
	v_add_co_u32 v3, vcc_lo, v3, v6
	v_add_co_ci_u32_e32 v4, vcc_lo, 0, v4, vcc_lo
	s_cbranch_scc0 .LBB212_120
; %bb.121:                              ;   in Loop: Header=BB212_118 Depth=1
	s_mov_b32 s0, s6
.LBB212_122:                            ;   in Loop: Header=BB212_118 Depth=1
	s_and_not1_b32 vcc_lo, exec_lo, s7
	s_cbranch_vccnz .LBB212_117
; %bb.123:                              ;   in Loop: Header=BB212_118 Depth=1
	s_lshl_b32 s0, s0, 2
	s_mov_b32 s9, s1
	s_add_i32 s0, s0, 0
.LBB212_124:                            ;   Parent Loop BB212_118 Depth=1
                                        ; =>  This Inner Loop Header: Depth=2
	s_delay_alu instid0(SALU_CYCLE_1)
	v_mov_b32_e32 v6, s0
	s_add_i32 s9, s9, -1
	s_add_i32 s0, s0, 4
	s_cmp_lg_u32 s9, 0
	ds_load_b32 v6, v6
	s_waitcnt lgkmcnt(0)
	v_cmp_gt_i32_e32 vcc_lo, v5, v6
	v_cndmask_b32_e64 v6, 0, 1, vcc_lo
	s_delay_alu instid0(VALU_DEP_1)
	v_add_co_u32 v3, vcc_lo, v3, v6
	v_add_co_ci_u32_e32 v4, vcc_lo, 0, v4, vcc_lo
	s_cbranch_scc1 .LBB212_124
	s_branch .LBB212_117
.LBB212_125:
	s_nop 0
	s_sendmsg sendmsg(MSG_DEALLOC_VGPRS)
	s_endpgm
	.section	.rodata,"a",@progbits
	.p2align	6, 0x0
	.amdhsa_kernel _ZN9rocsparseL41csrgemm_numeric_fill_block_per_row_kernelILj1024ELj64ELj8192ELj137ELj32Eli21rocsparse_complex_numIfEEEvT5_PKS3_S5_NS_24const_host_device_scalarIT6_EEPKT4_S5_PKS7_SB_S5_SD_S8_SB_S5_SD_SB_S5_PS7_21rocsparse_index_base_SF_SF_SF_bbb
		.amdhsa_group_segment_fixed_size 0
		.amdhsa_private_segment_fixed_size 0
		.amdhsa_kernarg_size 156
		.amdhsa_user_sgpr_count 15
		.amdhsa_user_sgpr_dispatch_ptr 0
		.amdhsa_user_sgpr_queue_ptr 0
		.amdhsa_user_sgpr_kernarg_segment_ptr 1
		.amdhsa_user_sgpr_dispatch_id 0
		.amdhsa_user_sgpr_private_segment_size 0
		.amdhsa_wavefront_size32 1
		.amdhsa_uses_dynamic_stack 0
		.amdhsa_enable_private_segment 0
		.amdhsa_system_sgpr_workgroup_id_x 1
		.amdhsa_system_sgpr_workgroup_id_y 0
		.amdhsa_system_sgpr_workgroup_id_z 0
		.amdhsa_system_sgpr_workgroup_info 0
		.amdhsa_system_vgpr_workitem_id 0
		.amdhsa_next_free_vgpr 19
		.amdhsa_next_free_sgpr 74
		.amdhsa_reserve_vcc 1
		.amdhsa_float_round_mode_32 0
		.amdhsa_float_round_mode_16_64 0
		.amdhsa_float_denorm_mode_32 3
		.amdhsa_float_denorm_mode_16_64 3
		.amdhsa_dx10_clamp 1
		.amdhsa_ieee_mode 1
		.amdhsa_fp16_overflow 0
		.amdhsa_workgroup_processor_mode 1
		.amdhsa_memory_ordered 1
		.amdhsa_forward_progress 0
		.amdhsa_shared_vgpr_count 0
		.amdhsa_exception_fp_ieee_invalid_op 0
		.amdhsa_exception_fp_denorm_src 0
		.amdhsa_exception_fp_ieee_div_zero 0
		.amdhsa_exception_fp_ieee_overflow 0
		.amdhsa_exception_fp_ieee_underflow 0
		.amdhsa_exception_fp_ieee_inexact 0
		.amdhsa_exception_int_div_zero 0
	.end_amdhsa_kernel
	.section	.text._ZN9rocsparseL41csrgemm_numeric_fill_block_per_row_kernelILj1024ELj64ELj8192ELj137ELj32Eli21rocsparse_complex_numIfEEEvT5_PKS3_S5_NS_24const_host_device_scalarIT6_EEPKT4_S5_PKS7_SB_S5_SD_S8_SB_S5_SD_SB_S5_PS7_21rocsparse_index_base_SF_SF_SF_bbb,"axG",@progbits,_ZN9rocsparseL41csrgemm_numeric_fill_block_per_row_kernelILj1024ELj64ELj8192ELj137ELj32Eli21rocsparse_complex_numIfEEEvT5_PKS3_S5_NS_24const_host_device_scalarIT6_EEPKT4_S5_PKS7_SB_S5_SD_S8_SB_S5_SD_SB_S5_PS7_21rocsparse_index_base_SF_SF_SF_bbb,comdat
.Lfunc_end212:
	.size	_ZN9rocsparseL41csrgemm_numeric_fill_block_per_row_kernelILj1024ELj64ELj8192ELj137ELj32Eli21rocsparse_complex_numIfEEEvT5_PKS3_S5_NS_24const_host_device_scalarIT6_EEPKT4_S5_PKS7_SB_S5_SD_S8_SB_S5_SD_SB_S5_PS7_21rocsparse_index_base_SF_SF_SF_bbb, .Lfunc_end212-_ZN9rocsparseL41csrgemm_numeric_fill_block_per_row_kernelILj1024ELj64ELj8192ELj137ELj32Eli21rocsparse_complex_numIfEEEvT5_PKS3_S5_NS_24const_host_device_scalarIT6_EEPKT4_S5_PKS7_SB_S5_SD_S8_SB_S5_SD_SB_S5_PS7_21rocsparse_index_base_SF_SF_SF_bbb
                                        ; -- End function
	.section	.AMDGPU.csdata,"",@progbits
; Kernel info:
; codeLenInByte = 4920
; NumSgprs: 76
; NumVgprs: 19
; ScratchSize: 0
; MemoryBound: 0
; FloatMode: 240
; IeeeMode: 1
; LDSByteSize: 0 bytes/workgroup (compile time only)
; SGPRBlocks: 9
; VGPRBlocks: 2
; NumSGPRsForWavesPerEU: 76
; NumVGPRsForWavesPerEU: 19
; Occupancy: 16
; WaveLimiterHint : 1
; COMPUTE_PGM_RSRC2:SCRATCH_EN: 0
; COMPUTE_PGM_RSRC2:USER_SGPR: 15
; COMPUTE_PGM_RSRC2:TRAP_HANDLER: 0
; COMPUTE_PGM_RSRC2:TGID_X_EN: 1
; COMPUTE_PGM_RSRC2:TGID_Y_EN: 0
; COMPUTE_PGM_RSRC2:TGID_Z_EN: 0
; COMPUTE_PGM_RSRC2:TIDIG_COMP_CNT: 0
	.section	.text._ZN9rocsparseL41csrgemm_numeric_fill_block_per_row_kernelILj1024ELj64ELj8192ELj137ELj64Eli21rocsparse_complex_numIfEEEvT5_PKS3_S5_NS_24const_host_device_scalarIT6_EEPKT4_S5_PKS7_SB_S5_SD_S8_SB_S5_SD_SB_S5_PS7_21rocsparse_index_base_SF_SF_SF_bbb,"axG",@progbits,_ZN9rocsparseL41csrgemm_numeric_fill_block_per_row_kernelILj1024ELj64ELj8192ELj137ELj64Eli21rocsparse_complex_numIfEEEvT5_PKS3_S5_NS_24const_host_device_scalarIT6_EEPKT4_S5_PKS7_SB_S5_SD_S8_SB_S5_SD_SB_S5_PS7_21rocsparse_index_base_SF_SF_SF_bbb,comdat
	.globl	_ZN9rocsparseL41csrgemm_numeric_fill_block_per_row_kernelILj1024ELj64ELj8192ELj137ELj64Eli21rocsparse_complex_numIfEEEvT5_PKS3_S5_NS_24const_host_device_scalarIT6_EEPKT4_S5_PKS7_SB_S5_SD_S8_SB_S5_SD_SB_S5_PS7_21rocsparse_index_base_SF_SF_SF_bbb ; -- Begin function _ZN9rocsparseL41csrgemm_numeric_fill_block_per_row_kernelILj1024ELj64ELj8192ELj137ELj64Eli21rocsparse_complex_numIfEEEvT5_PKS3_S5_NS_24const_host_device_scalarIT6_EEPKT4_S5_PKS7_SB_S5_SD_S8_SB_S5_SD_SB_S5_PS7_21rocsparse_index_base_SF_SF_SF_bbb
	.p2align	8
	.type	_ZN9rocsparseL41csrgemm_numeric_fill_block_per_row_kernelILj1024ELj64ELj8192ELj137ELj64Eli21rocsparse_complex_numIfEEEvT5_PKS3_S5_NS_24const_host_device_scalarIT6_EEPKT4_S5_PKS7_SB_S5_SD_S8_SB_S5_SD_SB_S5_PS7_21rocsparse_index_base_SF_SF_SF_bbb,@function
_ZN9rocsparseL41csrgemm_numeric_fill_block_per_row_kernelILj1024ELj64ELj8192ELj137ELj64Eli21rocsparse_complex_numIfEEEvT5_PKS3_S5_NS_24const_host_device_scalarIT6_EEPKT4_S5_PKS7_SB_S5_SD_S8_SB_S5_SD_SB_S5_PS7_21rocsparse_index_base_SF_SF_SF_bbb: ; @_ZN9rocsparseL41csrgemm_numeric_fill_block_per_row_kernelILj1024ELj64ELj8192ELj137ELj64Eli21rocsparse_complex_numIfEEEvT5_PKS3_S5_NS_24const_host_device_scalarIT6_EEPKT4_S5_PKS7_SB_S5_SD_S8_SB_S5_SD_SB_S5_PS7_21rocsparse_index_base_SF_SF_SF_bbb
; %bb.0:
	s_clause 0x7
	s_load_b32 s12, s[0:1], 0x98
	s_load_b64 s[40:41], s[0:1], 0x70
	s_load_b128 s[28:31], s[0:1], 0x60
	s_load_b256 s[4:11], s[0:1], 0x40
	s_load_b128 s[36:39], s[0:1], 0x8
	s_load_b256 s[16:23], s[0:1], 0x20
	s_load_b64 s[34:35], s[0:1], 0x80
	s_load_b128 s[24:27], s[0:1], 0x88
	s_mov_b32 s3, 0
	s_mov_b32 s13, 0
	s_waitcnt lgkmcnt(0)
	s_bitcmp1_b32 s12, 0
	s_cselect_b32 s42, -1, 0
	s_bitcmp1_b32 s12, 16
	s_cselect_b32 s2, -1, 0
	s_delay_alu instid0(SALU_CYCLE_1) | instskip(SKIP_2) | instid1(VALU_DEP_1)
	s_xor_b32 s14, s2, -1
	s_bitcmp0_b32 s12, 0
	v_cndmask_b32_e64 v1, 0, 1, s14
	v_cmp_ne_u32_e32 vcc_lo, 1, v1
	s_cbranch_scc1 .LBB213_5
; %bb.1:
	s_load_b64 s[2:3], s[0:1], 0x18
	s_and_b32 vcc_lo, exec_lo, vcc_lo
	s_waitcnt lgkmcnt(0)
	s_mov_b32 s13, s2
	s_cbranch_vccnz .LBB213_3
; %bb.2:
	s_load_b32 s13, s[2:3], 0x0
.LBB213_3:
	s_and_not1_b32 vcc_lo, exec_lo, s14
	s_cbranch_vccnz .LBB213_5
; %bb.4:
	s_load_b32 s3, s[2:3], 0x4
.LBB213_5:
	s_bitcmp1_b32 s12, 8
	s_cselect_b32 s14, -1, 0
	s_bfe_u32 s2, s12, 0x10008
	s_mov_b32 s12, 0
	s_cmp_eq_u32 s2, 0
	s_mov_b32 s2, 0
	s_cbranch_scc1 .LBB213_11
; %bb.6:
	v_cmp_ne_u32_e32 vcc_lo, 1, v1
	s_mov_b32 s2, s8
	s_cbranch_vccnz .LBB213_8
; %bb.7:
	s_load_b32 s2, s[8:9], 0x0
.LBB213_8:
	v_cmp_ne_u32_e32 vcc_lo, 1, v1
	s_cbranch_vccnz .LBB213_10
; %bb.9:
	s_load_b32 s9, s[8:9], 0x4
.LBB213_10:
	s_waitcnt lgkmcnt(0)
	s_mov_b32 s12, s9
.LBB213_11:
	s_load_b32 s33, s[0:1], 0x0
	v_lshlrev_b32_e32 v1, 2, v0
	v_dual_mov_b32 v3, 0 :: v_dual_lshlrev_b32 v8, 3, v0
	s_mov_b32 s1, 0
	s_delay_alu instid0(VALU_DEP_2) | instskip(NEXT) | instid1(VALU_DEP_2)
	v_add_nc_u32_e32 v7, 0, v1
	v_add3_u32 v2, 0, 0x8000, v8
	s_delay_alu instid0(VALU_DEP_2) | instskip(NEXT) | instid1(VALU_DEP_2)
	v_add3_u32 v1, v7, v1, 0x8000
	v_add_nc_u32_e32 v4, 0x2000, v2
	v_add_nc_u32_e32 v5, 0x4000, v2
	;; [unrolled: 1-line block ×3, first 2 shown]
	s_waitcnt lgkmcnt(0)
	v_dual_mov_b32 v12, s33 :: v_dual_add_nc_u32 v9, 0x8000, v2
	v_mov_b32_e32 v10, s33
	ds_store_2addr_b32 v1, v3, v3 offset1:1
	ds_store_2addr_b32 v4, v3, v3 offset1:1
	;; [unrolled: 1-line block ×4, first 2 shown]
	v_dual_mov_b32 v1, s33 :: v_dual_mov_b32 v4, s33
	v_dual_mov_b32 v5, s33 :: v_dual_mov_b32 v6, s33
	v_mov_b32_e32 v11, s33
	v_mov_b32_e32 v13, s33
	ds_store_2addr_stride64_b32 v7, v1, v4 offset1:16
	ds_store_2addr_stride64_b32 v7, v5, v6 offset0:32 offset1:48
	ds_store_2addr_stride64_b32 v7, v10, v11 offset0:64 offset1:80
	v_add_nc_u32_e32 v1, 0xa000, v2
	v_add_nc_u32_e32 v4, 0xc000, v2
	;; [unrolled: 1-line block ×3, first 2 shown]
	ds_store_2addr_stride64_b32 v7, v12, v13 offset0:96 offset1:112
	ds_store_2addr_b32 v9, v3, v3 offset1:1
	ds_store_2addr_b32 v1, v3, v3 offset1:1
	;; [unrolled: 1-line block ×4, first 2 shown]
	s_waitcnt lgkmcnt(0)
	s_barrier
	buffer_gl0_inv
	s_load_b32 s0, s[36:37], 0x0
	v_lshrrev_b32_e32 v9, 6, v0
	s_waitcnt lgkmcnt(0)
	s_add_i32 s0, s0, s15
	s_delay_alu instid0(SALU_CYCLE_1) | instskip(NEXT) | instid1(SALU_CYCLE_1)
	s_lshl_b64 s[0:1], s[0:1], 2
	s_add_u32 s0, s38, s0
	s_addc_u32 s1, s39, s1
	s_and_not1_b32 vcc_lo, exec_lo, s42
	s_load_b32 s36, s[0:1], 0x0
	s_cbranch_vccnz .LBB213_31
; %bb.12:
	s_waitcnt lgkmcnt(0)
	s_ashr_i32 s37, s36, 31
	s_mov_b32 s8, exec_lo
	s_lshl_b64 s[0:1], s[36:37], 3
	s_delay_alu instid0(SALU_CYCLE_1) | instskip(SKIP_3) | instid1(VALU_DEP_1)
	s_add_u32 s0, s16, s0
	s_addc_u32 s1, s17, s1
	s_load_b128 s[44:47], s[0:1], 0x0
	v_sub_co_u32 v1, s0, v9, s24
	v_sub_co_ci_u32_e64 v2, null, 0, 0, s0
	s_waitcnt lgkmcnt(0)
	s_delay_alu instid0(VALU_DEP_2) | instskip(NEXT) | instid1(VALU_DEP_2)
	v_add_co_u32 v1, vcc_lo, s44, v1
	v_add_co_ci_u32_e32 v2, vcc_lo, s45, v2, vcc_lo
	s_sub_u32 s0, s46, s24
	s_subb_u32 s1, s47, 0
	s_delay_alu instid0(VALU_DEP_1) | instid1(SALU_CYCLE_1)
	v_cmpx_gt_i64_e64 s[0:1], v[1:2]
	s_cbranch_execz .LBB213_30
; %bb.13:
	v_and_b32_e32 v3, 63, v0
	s_mov_b32 s15, s25
	s_delay_alu instid0(VALU_DEP_1) | instskip(NEXT) | instid1(VALU_DEP_1)
	v_sub_co_u32 v10, s9, v3, s25
	v_sub_co_ci_u32_e64 v11, null, 0, 0, s9
	s_mov_b32 s9, 0
	s_branch .LBB213_15
.LBB213_14:                             ;   in Loop: Header=BB213_15 Depth=1
	s_or_b32 exec_lo, exec_lo, s16
	v_add_co_u32 v1, vcc_lo, v1, 16
	v_add_co_ci_u32_e32 v2, vcc_lo, 0, v2, vcc_lo
	s_delay_alu instid0(VALU_DEP_1) | instskip(SKIP_1) | instid1(SALU_CYCLE_1)
	v_cmp_le_i64_e32 vcc_lo, s[0:1], v[1:2]
	s_or_b32 s9, vcc_lo, s9
	s_and_not1_b32 exec_lo, exec_lo, s9
	s_cbranch_execz .LBB213_30
.LBB213_15:                             ; =>This Loop Header: Depth=1
                                        ;     Child Loop BB213_18 Depth 2
                                        ;       Child Loop BB213_20 Depth 3
	v_lshlrev_b64 v[3:4], 2, v[1:2]
	s_mov_b32 s16, exec_lo
	s_delay_alu instid0(VALU_DEP_1) | instskip(NEXT) | instid1(VALU_DEP_2)
	v_add_co_u32 v3, vcc_lo, s18, v3
	v_add_co_ci_u32_e32 v4, vcc_lo, s19, v4, vcc_lo
	global_load_b32 v3, v[3:4], off
	s_waitcnt vmcnt(0)
	v_subrev_nc_u32_e32 v3, s24, v3
	s_delay_alu instid0(VALU_DEP_1) | instskip(NEXT) | instid1(VALU_DEP_1)
	v_ashrrev_i32_e32 v4, 31, v3
	v_lshlrev_b64 v[3:4], 3, v[3:4]
	s_delay_alu instid0(VALU_DEP_1) | instskip(NEXT) | instid1(VALU_DEP_2)
	v_add_co_u32 v3, vcc_lo, s22, v3
	v_add_co_ci_u32_e32 v4, vcc_lo, s23, v4, vcc_lo
	global_load_b128 v[12:15], v[3:4], off
	s_waitcnt vmcnt(0)
	v_sub_co_u32 v3, vcc_lo, v14, s15
	v_subrev_co_ci_u32_e32 v4, vcc_lo, 0, v15, vcc_lo
	v_add_co_u32 v5, vcc_lo, v12, v10
	v_add_co_ci_u32_e32 v6, vcc_lo, v13, v11, vcc_lo
	s_delay_alu instid0(VALU_DEP_1)
	v_cmpx_lt_i64_e64 v[5:6], v[3:4]
	s_cbranch_execz .LBB213_14
; %bb.16:                               ;   in Loop: Header=BB213_15 Depth=1
	v_lshlrev_b64 v[12:13], 3, v[1:2]
	s_mov_b32 s17, 0
	s_delay_alu instid0(VALU_DEP_1) | instskip(NEXT) | instid1(VALU_DEP_2)
	v_add_co_u32 v12, vcc_lo, s20, v12
	v_add_co_ci_u32_e32 v13, vcc_lo, s21, v13, vcc_lo
	global_load_b64 v[14:15], v[12:13], off
	s_waitcnt vmcnt(0)
	v_mul_f32_e64 v12, v15, -s3
	s_delay_alu instid0(VALU_DEP_1) | instskip(NEXT) | instid1(VALU_DEP_1)
	v_dual_mul_f32 v13, s13, v15 :: v_dual_fmac_f32 v12, s13, v14
	v_fmac_f32_e32 v13, s3, v14
	s_branch .LBB213_18
.LBB213_17:                             ;   in Loop: Header=BB213_18 Depth=2
	s_or_b32 exec_lo, exec_lo, s37
	v_add_co_u32 v5, vcc_lo, v5, 64
	v_add_co_ci_u32_e32 v6, vcc_lo, 0, v6, vcc_lo
	s_delay_alu instid0(VALU_DEP_1) | instskip(SKIP_1) | instid1(SALU_CYCLE_1)
	v_cmp_ge_i64_e32 vcc_lo, v[5:6], v[3:4]
	s_or_b32 s17, vcc_lo, s17
	s_and_not1_b32 exec_lo, exec_lo, s17
	s_cbranch_execz .LBB213_14
.LBB213_18:                             ;   Parent Loop BB213_15 Depth=1
                                        ; =>  This Loop Header: Depth=2
                                        ;       Child Loop BB213_20 Depth 3
	v_lshlrev_b64 v[14:15], 2, v[5:6]
	v_lshlrev_b64 v[16:17], 3, v[5:6]
	s_mov_b32 s37, 0
	s_delay_alu instid0(VALU_DEP_2) | instskip(NEXT) | instid1(VALU_DEP_3)
	v_add_co_u32 v14, vcc_lo, s4, v14
	v_add_co_ci_u32_e32 v15, vcc_lo, s5, v15, vcc_lo
	global_load_b32 v19, v[14:15], off
	v_add_co_u32 v14, vcc_lo, s6, v16
	v_add_co_ci_u32_e32 v15, vcc_lo, s7, v17, vcc_lo
	global_load_b64 v[17:18], v[14:15], off
	s_waitcnt vmcnt(1)
	v_subrev_nc_u32_e32 v14, s25, v19
	s_delay_alu instid0(VALU_DEP_1) | instskip(SKIP_3) | instid1(VALU_DEP_2)
	v_mul_lo_u32 v19, 0x89, v14
	s_waitcnt vmcnt(0)
	v_mul_f32_e64 v15, v18, -v13
	v_mul_f32_e32 v16, v12, v18
	v_fmac_f32_e32 v15, v12, v17
	s_delay_alu instid0(VALU_DEP_2)
	v_dual_fmac_f32 v16, v13, v17 :: v_dual_and_b32 v17, 0x1fff, v19
	s_branch .LBB213_20
.LBB213_19:                             ;   in Loop: Header=BB213_20 Depth=3
	s_or_b32 exec_lo, exec_lo, s38
	s_xor_b32 s38, s39, -1
	s_delay_alu instid0(SALU_CYCLE_1) | instskip(NEXT) | instid1(SALU_CYCLE_1)
	s_and_b32 s38, exec_lo, s38
	s_or_b32 s37, s38, s37
	s_delay_alu instid0(SALU_CYCLE_1)
	s_and_not1_b32 exec_lo, exec_lo, s37
	s_cbranch_execz .LBB213_17
.LBB213_20:                             ;   Parent Loop BB213_15 Depth=1
                                        ;     Parent Loop BB213_18 Depth=2
                                        ; =>    This Inner Loop Header: Depth=3
	s_delay_alu instid0(VALU_DEP_1)
	v_lshl_add_u32 v18, v17, 2, 0
	s_mov_b32 s38, exec_lo
                                        ; implicit-def: $sgpr39
	ds_load_b32 v19, v18
	s_waitcnt lgkmcnt(0)
	v_cmpx_ne_u32_e64 v19, v14
	s_xor_b32 s38, exec_lo, s38
	s_cbranch_execz .LBB213_28
; %bb.21:                               ;   in Loop: Header=BB213_20 Depth=3
	s_mov_b32 s42, exec_lo
                                        ; implicit-def: $sgpr39
	v_cmpx_ne_u32_e64 s33, v19
	s_xor_b32 s42, exec_lo, s42
; %bb.22:                               ;   in Loop: Header=BB213_20 Depth=3
	v_add_nc_u32_e32 v17, 1, v17
	s_mov_b32 s39, -1
                                        ; implicit-def: $vgpr18
	s_delay_alu instid0(VALU_DEP_1)
	v_and_b32_e32 v17, 0x1fff, v17
; %bb.23:                               ;   in Loop: Header=BB213_20 Depth=3
	s_and_not1_saveexec_b32 s42, s42
	s_cbranch_execz .LBB213_27
; %bb.24:                               ;   in Loop: Header=BB213_20 Depth=3
	v_mov_b32_e32 v19, s33
	s_mov_b32 s43, -1
	s_mov_b32 s44, exec_lo
	ds_cmpstore_rtn_b32 v19, v18, v14, v19
	s_waitcnt lgkmcnt(0)
	v_cmpx_eq_u32_e64 s33, v19
	s_cbranch_execz .LBB213_26
; %bb.25:                               ;   in Loop: Header=BB213_20 Depth=3
	v_lshl_add_u32 v18, v17, 2, v18
	s_xor_b32 s43, exec_lo, -1
	ds_add_f32 v18, v15 offset:32768
	ds_add_f32 v18, v16 offset:32772
.LBB213_26:                             ;   in Loop: Header=BB213_20 Depth=3
	s_or_b32 exec_lo, exec_lo, s44
	s_delay_alu instid0(SALU_CYCLE_1) | instskip(SKIP_1) | instid1(SALU_CYCLE_1)
	s_and_not1_b32 s39, s39, exec_lo
	s_and_b32 s43, s43, exec_lo
	s_or_b32 s39, s39, s43
.LBB213_27:                             ;   in Loop: Header=BB213_20 Depth=3
	s_or_b32 exec_lo, exec_lo, s42
	s_delay_alu instid0(SALU_CYCLE_1)
	s_and_b32 s39, s39, exec_lo
                                        ; implicit-def: $vgpr18
.LBB213_28:                             ;   in Loop: Header=BB213_20 Depth=3
	s_and_not1_saveexec_b32 s38, s38
	s_cbranch_execz .LBB213_19
; %bb.29:                               ;   in Loop: Header=BB213_20 Depth=3
	v_lshl_add_u32 v18, v17, 2, v18
	s_and_not1_b32 s39, s39, exec_lo
	ds_add_f32 v18, v15 offset:32768
	ds_add_f32 v18, v16 offset:32772
	s_branch .LBB213_19
.LBB213_30:
	s_or_b32 exec_lo, exec_lo, s8
.LBB213_31:
	s_delay_alu instid0(SALU_CYCLE_1)
	s_and_not1_b32 vcc_lo, exec_lo, s14
	s_cbranch_vccnz .LBB213_34
; %bb.32:
	s_waitcnt lgkmcnt(0)
	s_ashr_i32 s37, s36, 31
	s_mov_b32 s3, exec_lo
	s_lshl_b64 s[0:1], s[36:37], 3
	s_delay_alu instid0(SALU_CYCLE_1) | instskip(SKIP_3) | instid1(VALU_DEP_1)
	s_add_u32 s0, s10, s0
	s_addc_u32 s1, s11, s1
	s_load_b128 s[4:7], s[0:1], 0x0
	v_sub_co_u32 v1, s0, v0, s27
	v_sub_co_ci_u32_e64 v2, null, 0, 0, s0
	s_waitcnt lgkmcnt(0)
	s_delay_alu instid0(VALU_DEP_2) | instskip(NEXT) | instid1(VALU_DEP_2)
	v_add_co_u32 v1, vcc_lo, s4, v1
	v_add_co_ci_u32_e32 v2, vcc_lo, s5, v2, vcc_lo
	s_sub_u32 s0, s6, s27
	s_subb_u32 s1, s7, 0
	s_mov_b32 s4, 0
	s_delay_alu instid0(VALU_DEP_1)
	v_cmpx_gt_i64_e64 s[0:1], v[1:2]
	s_cbranch_execnz .LBB213_71
.LBB213_33:
	s_or_b32 exec_lo, exec_lo, s3
.LBB213_34:
	v_mbcnt_lo_u32_b32 v1, -1, 0
	s_add_i32 s29, 0, 0x1803c
	s_delay_alu instid0(SALU_CYCLE_1) | instskip(SKIP_1) | instid1(VALU_DEP_3)
	v_dual_mov_b32 v9, s29 :: v_dual_lshlrev_b32 v2, 2, v9
	v_cmp_eq_u32_e32 vcc_lo, 0x3ff, v0
	v_xor_b32_e32 v1, 63, v1
	v_cmp_lt_u32_e64 s0, 63, v0
	s_delay_alu instid0(VALU_DEP_4)
	v_add3_u32 v4, 0, 0x18000, v2
	v_cmp_lt_u32_e64 s1, 0x7f, v0
	v_cmp_lt_u32_e64 s2, 0xbf, v0
	v_lshrrev_b64 v[1:2], v1, -1
	v_cmp_lt_u32_e64 s3, 0xff, v0
	v_cmp_lt_u32_e64 s4, 0x13f, v0
	;; [unrolled: 1-line block ×12, first 2 shown]
	v_add3_u32 v5, v8, 0, 0x8000
	v_or_b32_e32 v6, 0xfffffc00, v0
	v_mov_b32_e32 v8, 0
	s_mov_b32 s16, 0
	s_add_i32 s17, 0, 0x18000
	s_add_i32 s18, 0, 0x18004
	;; [unrolled: 1-line block ×15, first 2 shown]
	s_waitcnt lgkmcnt(0)
	s_barrier
	buffer_gl0_inv
	s_branch .LBB213_36
.LBB213_35:                             ;   in Loop: Header=BB213_36 Depth=1
	s_or_b32 exec_lo, exec_lo, s15
	s_waitcnt lgkmcnt(0)
	s_barrier
	buffer_gl0_inv
	ds_load_b32 v2, v9
	v_add_nc_u32_e32 v6, 0x400, v6
	v_add_nc_u32_e32 v5, 0x2000, v5
	;; [unrolled: 1-line block ×3, first 2 shown]
	s_delay_alu instid0(VALU_DEP_3) | instskip(NEXT) | instid1(VALU_DEP_1)
	v_cmp_lt_u32_e64 s15, 0x1bff, v6
	s_or_b32 s16, s15, s16
	s_waitcnt lgkmcnt(0)
	v_add_nc_u32_e32 v8, v2, v8
	s_and_not1_b32 exec_lo, exec_lo, s16
	s_cbranch_execz .LBB213_83
.LBB213_36:                             ; =>This Inner Loop Header: Depth=1
	ds_load_b32 v10, v7
	ds_load_2addr_b32 v[2:3], v5 offset1:1
	s_waitcnt lgkmcnt(0)
	s_barrier
	buffer_gl0_inv
	v_cmp_gt_i32_e64 s15, s33, v10
	s_delay_alu instid0(VALU_DEP_1) | instskip(NEXT) | instid1(SALU_CYCLE_1)
	s_bcnt1_i32_b32 s39, s15
	v_dual_mov_b32 v12, s39 :: v_dual_and_b32 v11, s15, v1
	s_delay_alu instid0(VALU_DEP_1)
	v_bcnt_u32_b32 v11, v11, 0
	ds_store_b32 v4, v12
	s_waitcnt lgkmcnt(0)
	s_barrier
	buffer_gl0_inv
	s_and_saveexec_b32 s39, s0
	s_cbranch_execnz .LBB213_53
; %bb.37:                               ;   in Loop: Header=BB213_36 Depth=1
	s_or_b32 exec_lo, exec_lo, s39
	s_and_saveexec_b32 s39, s1
	s_cbranch_execnz .LBB213_54
.LBB213_38:                             ;   in Loop: Header=BB213_36 Depth=1
	s_or_b32 exec_lo, exec_lo, s39
	s_and_saveexec_b32 s39, s2
	s_cbranch_execnz .LBB213_55
.LBB213_39:                             ;   in Loop: Header=BB213_36 Depth=1
	s_or_b32 exec_lo, exec_lo, s39
	s_and_saveexec_b32 s39, s3
	s_cbranch_execnz .LBB213_56
.LBB213_40:                             ;   in Loop: Header=BB213_36 Depth=1
	s_or_b32 exec_lo, exec_lo, s39
	s_and_saveexec_b32 s39, s4
	s_cbranch_execnz .LBB213_57
.LBB213_41:                             ;   in Loop: Header=BB213_36 Depth=1
	s_or_b32 exec_lo, exec_lo, s39
	s_and_saveexec_b32 s39, s5
	s_cbranch_execnz .LBB213_58
.LBB213_42:                             ;   in Loop: Header=BB213_36 Depth=1
	s_or_b32 exec_lo, exec_lo, s39
	s_and_saveexec_b32 s39, s6
	s_cbranch_execnz .LBB213_59
.LBB213_43:                             ;   in Loop: Header=BB213_36 Depth=1
	s_or_b32 exec_lo, exec_lo, s39
	s_and_saveexec_b32 s39, s7
	s_cbranch_execnz .LBB213_60
.LBB213_44:                             ;   in Loop: Header=BB213_36 Depth=1
	s_or_b32 exec_lo, exec_lo, s39
	s_and_saveexec_b32 s39, s8
	s_cbranch_execnz .LBB213_61
.LBB213_45:                             ;   in Loop: Header=BB213_36 Depth=1
	s_or_b32 exec_lo, exec_lo, s39
	s_and_saveexec_b32 s39, s9
	s_cbranch_execnz .LBB213_62
.LBB213_46:                             ;   in Loop: Header=BB213_36 Depth=1
	s_or_b32 exec_lo, exec_lo, s39
	s_and_saveexec_b32 s39, s10
	s_cbranch_execnz .LBB213_63
.LBB213_47:                             ;   in Loop: Header=BB213_36 Depth=1
	s_or_b32 exec_lo, exec_lo, s39
	s_and_saveexec_b32 s39, s11
	s_cbranch_execnz .LBB213_64
.LBB213_48:                             ;   in Loop: Header=BB213_36 Depth=1
	s_or_b32 exec_lo, exec_lo, s39
	s_and_saveexec_b32 s39, s12
	s_cbranch_execnz .LBB213_65
.LBB213_49:                             ;   in Loop: Header=BB213_36 Depth=1
	s_or_b32 exec_lo, exec_lo, s39
	s_and_saveexec_b32 s39, s13
	s_cbranch_execnz .LBB213_66
.LBB213_50:                             ;   in Loop: Header=BB213_36 Depth=1
	s_or_b32 exec_lo, exec_lo, s39
	s_and_saveexec_b32 s39, s14
	s_cbranch_execnz .LBB213_67
.LBB213_51:                             ;   in Loop: Header=BB213_36 Depth=1
	s_or_b32 exec_lo, exec_lo, s39
	s_and_saveexec_b32 s39, s15
	s_cbranch_execnz .LBB213_68
.LBB213_52:                             ;   in Loop: Header=BB213_36 Depth=1
	s_or_b32 exec_lo, exec_lo, s39
	s_and_saveexec_b32 s15, vcc_lo
	s_cbranch_execz .LBB213_35
	s_branch .LBB213_69
.LBB213_53:                             ;   in Loop: Header=BB213_36 Depth=1
	v_mov_b32_e32 v12, s17
	ds_load_b32 v12, v12
	s_waitcnt lgkmcnt(0)
	v_add_nc_u32_e32 v11, v12, v11
	s_or_b32 exec_lo, exec_lo, s39
	s_and_saveexec_b32 s39, s1
	s_cbranch_execz .LBB213_38
.LBB213_54:                             ;   in Loop: Header=BB213_36 Depth=1
	v_mov_b32_e32 v12, s18
	ds_load_b32 v12, v12
	s_waitcnt lgkmcnt(0)
	v_add_nc_u32_e32 v11, v12, v11
	s_or_b32 exec_lo, exec_lo, s39
	s_and_saveexec_b32 s39, s2
	s_cbranch_execz .LBB213_39
.LBB213_55:                             ;   in Loop: Header=BB213_36 Depth=1
	v_mov_b32_e32 v12, s19
	ds_load_b32 v12, v12
	s_waitcnt lgkmcnt(0)
	v_add_nc_u32_e32 v11, v12, v11
	s_or_b32 exec_lo, exec_lo, s39
	s_and_saveexec_b32 s39, s3
	s_cbranch_execz .LBB213_40
.LBB213_56:                             ;   in Loop: Header=BB213_36 Depth=1
	v_mov_b32_e32 v12, s20
	ds_load_b32 v12, v12
	s_waitcnt lgkmcnt(0)
	v_add_nc_u32_e32 v11, v12, v11
	s_or_b32 exec_lo, exec_lo, s39
	s_and_saveexec_b32 s39, s4
	s_cbranch_execz .LBB213_41
.LBB213_57:                             ;   in Loop: Header=BB213_36 Depth=1
	v_mov_b32_e32 v12, s21
	ds_load_b32 v12, v12
	s_waitcnt lgkmcnt(0)
	v_add_nc_u32_e32 v11, v12, v11
	s_or_b32 exec_lo, exec_lo, s39
	s_and_saveexec_b32 s39, s5
	s_cbranch_execz .LBB213_42
.LBB213_58:                             ;   in Loop: Header=BB213_36 Depth=1
	v_mov_b32_e32 v12, s22
	ds_load_b32 v12, v12
	s_waitcnt lgkmcnt(0)
	v_add_nc_u32_e32 v11, v12, v11
	s_or_b32 exec_lo, exec_lo, s39
	s_and_saveexec_b32 s39, s6
	s_cbranch_execz .LBB213_43
.LBB213_59:                             ;   in Loop: Header=BB213_36 Depth=1
	v_mov_b32_e32 v12, s23
	ds_load_b32 v12, v12
	s_waitcnt lgkmcnt(0)
	v_add_nc_u32_e32 v11, v12, v11
	s_or_b32 exec_lo, exec_lo, s39
	s_and_saveexec_b32 s39, s7
	s_cbranch_execz .LBB213_44
.LBB213_60:                             ;   in Loop: Header=BB213_36 Depth=1
	v_mov_b32_e32 v12, s24
	ds_load_b32 v12, v12
	s_waitcnt lgkmcnt(0)
	v_add_nc_u32_e32 v11, v12, v11
	s_or_b32 exec_lo, exec_lo, s39
	s_and_saveexec_b32 s39, s8
	s_cbranch_execz .LBB213_45
.LBB213_61:                             ;   in Loop: Header=BB213_36 Depth=1
	v_mov_b32_e32 v12, s25
	ds_load_b32 v12, v12
	s_waitcnt lgkmcnt(0)
	v_add_nc_u32_e32 v11, v12, v11
	s_or_b32 exec_lo, exec_lo, s39
	s_and_saveexec_b32 s39, s9
	s_cbranch_execz .LBB213_46
.LBB213_62:                             ;   in Loop: Header=BB213_36 Depth=1
	v_mov_b32_e32 v12, s27
	ds_load_b32 v12, v12
	s_waitcnt lgkmcnt(0)
	v_add_nc_u32_e32 v11, v12, v11
	s_or_b32 exec_lo, exec_lo, s39
	s_and_saveexec_b32 s39, s10
	s_cbranch_execz .LBB213_47
.LBB213_63:                             ;   in Loop: Header=BB213_36 Depth=1
	v_mov_b32_e32 v12, s28
	ds_load_b32 v12, v12
	s_waitcnt lgkmcnt(0)
	v_add_nc_u32_e32 v11, v12, v11
	s_or_b32 exec_lo, exec_lo, s39
	s_and_saveexec_b32 s39, s11
	s_cbranch_execz .LBB213_48
.LBB213_64:                             ;   in Loop: Header=BB213_36 Depth=1
	v_mov_b32_e32 v12, s30
	ds_load_b32 v12, v12
	s_waitcnt lgkmcnt(0)
	v_add_nc_u32_e32 v11, v12, v11
	s_or_b32 exec_lo, exec_lo, s39
	s_and_saveexec_b32 s39, s12
	s_cbranch_execz .LBB213_49
.LBB213_65:                             ;   in Loop: Header=BB213_36 Depth=1
	v_mov_b32_e32 v12, s31
	ds_load_b32 v12, v12
	s_waitcnt lgkmcnt(0)
	v_add_nc_u32_e32 v11, v12, v11
	s_or_b32 exec_lo, exec_lo, s39
	s_and_saveexec_b32 s39, s13
	s_cbranch_execz .LBB213_50
.LBB213_66:                             ;   in Loop: Header=BB213_36 Depth=1
	v_mov_b32_e32 v12, s37
	ds_load_b32 v12, v12
	s_waitcnt lgkmcnt(0)
	v_add_nc_u32_e32 v11, v12, v11
	s_or_b32 exec_lo, exec_lo, s39
	s_and_saveexec_b32 s39, s14
	s_cbranch_execz .LBB213_51
.LBB213_67:                             ;   in Loop: Header=BB213_36 Depth=1
	v_mov_b32_e32 v12, s38
	ds_load_b32 v12, v12
	s_waitcnt lgkmcnt(0)
	v_add_nc_u32_e32 v11, v12, v11
	s_or_b32 exec_lo, exec_lo, s39
	s_and_saveexec_b32 s39, s15
	s_cbranch_execz .LBB213_52
.LBB213_68:                             ;   in Loop: Header=BB213_36 Depth=1
	s_delay_alu instid0(VALU_DEP_1) | instskip(NEXT) | instid1(VALU_DEP_1)
	v_add3_u32 v12, v8, -1, v11
	v_lshlrev_b32_e32 v13, 3, v12
	v_lshl_add_u32 v12, v12, 2, 0
	s_delay_alu instid0(VALU_DEP_2)
	v_add3_u32 v13, 0, v13, 0x8000
	ds_store_b32 v12, v10
	ds_store_2addr_b32 v13, v2, v3 offset1:1
	s_or_b32 exec_lo, exec_lo, s39
	s_and_saveexec_b32 s15, vcc_lo
	s_cbranch_execz .LBB213_35
.LBB213_69:                             ;   in Loop: Header=BB213_36 Depth=1
	v_mov_b32_e32 v2, s29
	ds_store_b32 v2, v11
	s_branch .LBB213_35
.LBB213_70:                             ;   in Loop: Header=BB213_71 Depth=1
	s_or_b32 exec_lo, exec_lo, s5
	v_add_co_u32 v1, vcc_lo, 0x400, v1
	v_add_co_ci_u32_e32 v2, vcc_lo, 0, v2, vcc_lo
	s_delay_alu instid0(VALU_DEP_1) | instskip(SKIP_1) | instid1(SALU_CYCLE_1)
	v_cmp_le_i64_e32 vcc_lo, s[0:1], v[1:2]
	s_or_b32 s4, vcc_lo, s4
	s_and_not1_b32 exec_lo, exec_lo, s4
	s_cbranch_execz .LBB213_33
.LBB213_71:                             ; =>This Loop Header: Depth=1
                                        ;     Child Loop BB213_73 Depth 2
	v_lshlrev_b64 v[3:4], 2, v[1:2]
	v_lshlrev_b64 v[5:6], 3, v[1:2]
	s_mov_b32 s5, 0
	s_delay_alu instid0(VALU_DEP_2) | instskip(NEXT) | instid1(VALU_DEP_3)
	v_add_co_u32 v3, vcc_lo, s28, v3
	v_add_co_ci_u32_e32 v4, vcc_lo, s29, v4, vcc_lo
	global_load_b32 v12, v[3:4], off
	v_add_co_u32 v3, vcc_lo, s30, v5
	v_add_co_ci_u32_e32 v4, vcc_lo, s31, v6, vcc_lo
	global_load_b64 v[10:11], v[3:4], off
	s_waitcnt vmcnt(1)
	v_subrev_nc_u32_e32 v3, s27, v12
	s_delay_alu instid0(VALU_DEP_1) | instskip(SKIP_2) | instid1(VALU_DEP_1)
	v_mul_lo_u32 v6, 0x89, v3
	s_waitcnt vmcnt(0)
	v_mul_f32_e64 v4, v11, -s12
	v_dual_mul_f32 v5, s2, v11 :: v_dual_fmac_f32 v4, s2, v10
	s_delay_alu instid0(VALU_DEP_1) | instskip(NEXT) | instid1(VALU_DEP_4)
	v_fmac_f32_e32 v5, s12, v10
	v_and_b32_e32 v6, 0x1fff, v6
	s_branch .LBB213_73
.LBB213_72:                             ;   in Loop: Header=BB213_73 Depth=2
	s_or_b32 exec_lo, exec_lo, s6
	s_xor_b32 s6, s7, -1
	s_delay_alu instid0(SALU_CYCLE_1) | instskip(NEXT) | instid1(SALU_CYCLE_1)
	s_and_b32 s6, exec_lo, s6
	s_or_b32 s5, s6, s5
	s_delay_alu instid0(SALU_CYCLE_1)
	s_and_not1_b32 exec_lo, exec_lo, s5
	s_cbranch_execz .LBB213_70
.LBB213_73:                             ;   Parent Loop BB213_71 Depth=1
                                        ; =>  This Inner Loop Header: Depth=2
	s_delay_alu instid0(VALU_DEP_1)
	v_lshl_add_u32 v10, v6, 2, 0
	s_mov_b32 s6, exec_lo
                                        ; implicit-def: $sgpr7
	ds_load_b32 v11, v10
	s_waitcnt lgkmcnt(0)
	v_cmpx_ne_u32_e64 v11, v3
	s_xor_b32 s6, exec_lo, s6
	s_cbranch_execz .LBB213_81
; %bb.74:                               ;   in Loop: Header=BB213_73 Depth=2
	s_mov_b32 s8, exec_lo
                                        ; implicit-def: $sgpr7
	v_cmpx_ne_u32_e64 s33, v11
	s_xor_b32 s8, exec_lo, s8
; %bb.75:                               ;   in Loop: Header=BB213_73 Depth=2
	v_add_nc_u32_e32 v6, 1, v6
	s_mov_b32 s7, -1
                                        ; implicit-def: $vgpr10
	s_delay_alu instid0(VALU_DEP_1)
	v_and_b32_e32 v6, 0x1fff, v6
; %bb.76:                               ;   in Loop: Header=BB213_73 Depth=2
	s_and_not1_saveexec_b32 s8, s8
	s_cbranch_execz .LBB213_80
; %bb.77:                               ;   in Loop: Header=BB213_73 Depth=2
	v_mov_b32_e32 v11, s33
	s_mov_b32 s9, -1
	s_mov_b32 s10, exec_lo
	ds_cmpstore_rtn_b32 v11, v10, v3, v11
	s_waitcnt lgkmcnt(0)
	v_cmpx_eq_u32_e64 s33, v11
	s_cbranch_execz .LBB213_79
; %bb.78:                               ;   in Loop: Header=BB213_73 Depth=2
	v_lshl_add_u32 v10, v6, 2, v10
	s_xor_b32 s9, exec_lo, -1
	ds_add_f32 v10, v4 offset:32768
	ds_add_f32 v10, v5 offset:32772
.LBB213_79:                             ;   in Loop: Header=BB213_73 Depth=2
	s_or_b32 exec_lo, exec_lo, s10
	s_delay_alu instid0(SALU_CYCLE_1) | instskip(SKIP_1) | instid1(SALU_CYCLE_1)
	s_and_not1_b32 s7, s7, exec_lo
	s_and_b32 s9, s9, exec_lo
	s_or_b32 s7, s7, s9
.LBB213_80:                             ;   in Loop: Header=BB213_73 Depth=2
	s_or_b32 exec_lo, exec_lo, s8
	s_delay_alu instid0(SALU_CYCLE_1)
	s_and_b32 s7, s7, exec_lo
                                        ; implicit-def: $vgpr10
.LBB213_81:                             ;   in Loop: Header=BB213_73 Depth=2
	s_and_not1_saveexec_b32 s6, s6
	s_cbranch_execz .LBB213_72
; %bb.82:                               ;   in Loop: Header=BB213_73 Depth=2
	v_lshl_add_u32 v10, v6, 2, v10
	s_and_not1_b32 s7, s7, exec_lo
	ds_add_f32 v10, v4 offset:32768
	ds_add_f32 v10, v5 offset:32772
	s_branch .LBB213_72
.LBB213_83:
	s_or_b32 exec_lo, exec_lo, s16
	s_ashr_i32 s37, s36, 31
	s_mov_b32 s4, exec_lo
	s_lshl_b64 s[0:1], s[36:37], 3
	s_delay_alu instid0(SALU_CYCLE_1) | instskip(SKIP_4) | instid1(SALU_CYCLE_1)
	s_add_u32 s0, s40, s0
	s_addc_u32 s1, s41, s1
	s_load_b128 s[0:3], s[0:1], 0x0
	s_waitcnt lgkmcnt(0)
	s_sub_i32 s3, s2, s0
	v_cmpx_gt_i32_e64 s3, v0
	s_cbranch_execz .LBB213_93
; %bb.84:
	s_sub_u32 s4, s0, s26
	s_subb_u32 s5, s1, 0
	s_sub_i32 s0, s0, s2
	s_and_b32 s1, s3, 7
	s_cmp_lt_u32 s0, -7
	s_mov_b32 s8, 0
	s_cselect_b32 s2, -1, 0
	s_and_b32 s6, s3, -8
	s_cmp_lg_u32 s1, 0
	s_cselect_b32 s7, -1, 0
	s_branch .LBB213_86
.LBB213_85:                             ;   in Loop: Header=BB213_86 Depth=1
	s_delay_alu instid0(VALU_DEP_1) | instskip(SKIP_1) | instid1(VALU_DEP_1)
	v_lshlrev_b64 v[3:4], 3, v[3:4]
	v_add_nc_u32_e32 v0, 0x400, v0
	v_cmp_le_i32_e32 vcc_lo, s3, v0
	s_delay_alu instid0(VALU_DEP_3) | instskip(NEXT) | instid1(VALU_DEP_1)
	v_add_co_u32 v3, s0, s34, v3
	v_add_co_ci_u32_e64 v4, s0, s35, v4, s0
	s_or_b32 s8, vcc_lo, s8
	s_waitcnt lgkmcnt(0)
	global_store_b64 v[3:4], v[1:2], off
	s_and_not1_b32 exec_lo, exec_lo, s8
	s_cbranch_execz .LBB213_93
.LBB213_86:                             ; =>This Loop Header: Depth=1
                                        ;     Child Loop BB213_88 Depth 2
                                        ;     Child Loop BB213_92 Depth 2
	v_lshlrev_b32_e32 v1, 2, v0
	v_dual_mov_b32 v3, s4 :: v_dual_mov_b32 v4, s5
	s_and_not1_b32 vcc_lo, exec_lo, s2
	s_mov_b32 s0, 0
	s_delay_alu instid0(VALU_DEP_2) | instskip(NEXT) | instid1(VALU_DEP_1)
	v_add_nc_u32_e32 v2, 0, v1
	v_add3_u32 v1, v2, v1, 0x8000
	ds_load_b32 v5, v2
	ds_load_2addr_b32 v[1:2], v1 offset1:1
	s_cbranch_vccnz .LBB213_90
; %bb.87:                               ;   in Loop: Header=BB213_86 Depth=1
	v_dual_mov_b32 v3, s4 :: v_dual_mov_b32 v4, s5
	s_mov_b32 s9, 0
	s_mov_b32 s10, 0
.LBB213_88:                             ;   Parent Loop BB213_86 Depth=1
                                        ; =>  This Inner Loop Header: Depth=2
	s_delay_alu instid0(SALU_CYCLE_1)
	v_mov_b32_e32 v12, s10
	s_add_i32 s9, s9, 8
	s_add_i32 s10, s10, 32
	s_cmp_eq_u32 s6, s9
	ds_load_2addr_b32 v[6:7], v12 offset1:1
	ds_load_2addr_b32 v[8:9], v12 offset0:2 offset1:3
	ds_load_2addr_b32 v[10:11], v12 offset0:4 offset1:5
	;; [unrolled: 1-line block ×3, first 2 shown]
	s_waitcnt lgkmcnt(3)
	v_cmp_gt_i32_e32 vcc_lo, v5, v6
	v_cndmask_b32_e64 v6, 0, 1, vcc_lo
	v_cmp_gt_i32_e32 vcc_lo, v5, v7
	v_cndmask_b32_e64 v7, 0, 1, vcc_lo
	s_waitcnt lgkmcnt(2)
	v_cmp_gt_i32_e32 vcc_lo, v5, v8
	v_cndmask_b32_e64 v8, 0, 1, vcc_lo
	v_cmp_gt_i32_e32 vcc_lo, v5, v9
	v_cndmask_b32_e64 v9, 0, 1, vcc_lo
	s_waitcnt lgkmcnt(1)
	v_cmp_gt_i32_e32 vcc_lo, v5, v10
	v_cndmask_b32_e64 v10, 0, 1, vcc_lo
	v_add_co_u32 v3, vcc_lo, v3, v6
	v_add_co_ci_u32_e32 v4, vcc_lo, 0, v4, vcc_lo
	v_cmp_gt_i32_e32 vcc_lo, v5, v11
	s_delay_alu instid0(VALU_DEP_3) | instskip(NEXT) | instid1(VALU_DEP_1)
	v_add_co_u32 v3, s0, v3, v7
	v_add_co_ci_u32_e64 v4, s0, 0, v4, s0
	v_cndmask_b32_e64 v6, 0, 1, vcc_lo
	s_delay_alu instid0(VALU_DEP_3) | instskip(NEXT) | instid1(VALU_DEP_3)
	v_add_co_u32 v3, vcc_lo, v3, v8
	v_add_co_ci_u32_e32 v4, vcc_lo, 0, v4, vcc_lo
	s_waitcnt lgkmcnt(0)
	v_cmp_gt_i32_e32 vcc_lo, v5, v12
	s_delay_alu instid0(VALU_DEP_3) | instskip(NEXT) | instid1(VALU_DEP_1)
	v_add_co_u32 v3, s0, v3, v9
	v_add_co_ci_u32_e64 v4, s0, 0, v4, s0
	v_cndmask_b32_e64 v7, 0, 1, vcc_lo
	s_delay_alu instid0(VALU_DEP_3) | instskip(NEXT) | instid1(VALU_DEP_3)
	v_add_co_u32 v3, vcc_lo, v3, v10
	v_add_co_ci_u32_e32 v4, vcc_lo, 0, v4, vcc_lo
	v_cmp_gt_i32_e32 vcc_lo, v5, v13
	s_delay_alu instid0(VALU_DEP_3) | instskip(NEXT) | instid1(VALU_DEP_1)
	v_add_co_u32 v3, s0, v3, v6
	v_add_co_ci_u32_e64 v4, s0, 0, v4, s0
	v_cndmask_b32_e64 v6, 0, 1, vcc_lo
	s_delay_alu instid0(VALU_DEP_3) | instskip(NEXT) | instid1(VALU_DEP_3)
	v_add_co_u32 v3, vcc_lo, v3, v7
	v_add_co_ci_u32_e32 v4, vcc_lo, 0, v4, vcc_lo
	s_delay_alu instid0(VALU_DEP_2) | instskip(NEXT) | instid1(VALU_DEP_2)
	v_add_co_u32 v3, vcc_lo, v3, v6
	v_add_co_ci_u32_e32 v4, vcc_lo, 0, v4, vcc_lo
	s_cbranch_scc0 .LBB213_88
; %bb.89:                               ;   in Loop: Header=BB213_86 Depth=1
	s_mov_b32 s0, s6
.LBB213_90:                             ;   in Loop: Header=BB213_86 Depth=1
	s_and_not1_b32 vcc_lo, exec_lo, s7
	s_cbranch_vccnz .LBB213_85
; %bb.91:                               ;   in Loop: Header=BB213_86 Depth=1
	s_lshl_b32 s0, s0, 2
	s_mov_b32 s9, s1
	s_add_i32 s0, s0, 0
.LBB213_92:                             ;   Parent Loop BB213_86 Depth=1
                                        ; =>  This Inner Loop Header: Depth=2
	s_delay_alu instid0(SALU_CYCLE_1)
	v_mov_b32_e32 v6, s0
	s_add_i32 s9, s9, -1
	s_add_i32 s0, s0, 4
	s_cmp_lg_u32 s9, 0
	ds_load_b32 v6, v6
	s_waitcnt lgkmcnt(0)
	v_cmp_gt_i32_e32 vcc_lo, v5, v6
	v_cndmask_b32_e64 v6, 0, 1, vcc_lo
	s_delay_alu instid0(VALU_DEP_1)
	v_add_co_u32 v3, vcc_lo, v3, v6
	v_add_co_ci_u32_e32 v4, vcc_lo, 0, v4, vcc_lo
	s_cbranch_scc1 .LBB213_92
	s_branch .LBB213_85
.LBB213_93:
	s_nop 0
	s_sendmsg sendmsg(MSG_DEALLOC_VGPRS)
	s_endpgm
	.section	.rodata,"a",@progbits
	.p2align	6, 0x0
	.amdhsa_kernel _ZN9rocsparseL41csrgemm_numeric_fill_block_per_row_kernelILj1024ELj64ELj8192ELj137ELj64Eli21rocsparse_complex_numIfEEEvT5_PKS3_S5_NS_24const_host_device_scalarIT6_EEPKT4_S5_PKS7_SB_S5_SD_S8_SB_S5_SD_SB_S5_PS7_21rocsparse_index_base_SF_SF_SF_bbb
		.amdhsa_group_segment_fixed_size 0
		.amdhsa_private_segment_fixed_size 0
		.amdhsa_kernarg_size 156
		.amdhsa_user_sgpr_count 15
		.amdhsa_user_sgpr_dispatch_ptr 0
		.amdhsa_user_sgpr_queue_ptr 0
		.amdhsa_user_sgpr_kernarg_segment_ptr 1
		.amdhsa_user_sgpr_dispatch_id 0
		.amdhsa_user_sgpr_private_segment_size 0
		.amdhsa_wavefront_size32 1
		.amdhsa_uses_dynamic_stack 0
		.amdhsa_enable_private_segment 0
		.amdhsa_system_sgpr_workgroup_id_x 1
		.amdhsa_system_sgpr_workgroup_id_y 0
		.amdhsa_system_sgpr_workgroup_id_z 0
		.amdhsa_system_sgpr_workgroup_info 0
		.amdhsa_system_vgpr_workitem_id 0
		.amdhsa_next_free_vgpr 20
		.amdhsa_next_free_sgpr 48
		.amdhsa_reserve_vcc 1
		.amdhsa_float_round_mode_32 0
		.amdhsa_float_round_mode_16_64 0
		.amdhsa_float_denorm_mode_32 3
		.amdhsa_float_denorm_mode_16_64 3
		.amdhsa_dx10_clamp 1
		.amdhsa_ieee_mode 1
		.amdhsa_fp16_overflow 0
		.amdhsa_workgroup_processor_mode 1
		.amdhsa_memory_ordered 1
		.amdhsa_forward_progress 0
		.amdhsa_shared_vgpr_count 0
		.amdhsa_exception_fp_ieee_invalid_op 0
		.amdhsa_exception_fp_denorm_src 0
		.amdhsa_exception_fp_ieee_div_zero 0
		.amdhsa_exception_fp_ieee_overflow 0
		.amdhsa_exception_fp_ieee_underflow 0
		.amdhsa_exception_fp_ieee_inexact 0
		.amdhsa_exception_int_div_zero 0
	.end_amdhsa_kernel
	.section	.text._ZN9rocsparseL41csrgemm_numeric_fill_block_per_row_kernelILj1024ELj64ELj8192ELj137ELj64Eli21rocsparse_complex_numIfEEEvT5_PKS3_S5_NS_24const_host_device_scalarIT6_EEPKT4_S5_PKS7_SB_S5_SD_S8_SB_S5_SD_SB_S5_PS7_21rocsparse_index_base_SF_SF_SF_bbb,"axG",@progbits,_ZN9rocsparseL41csrgemm_numeric_fill_block_per_row_kernelILj1024ELj64ELj8192ELj137ELj64Eli21rocsparse_complex_numIfEEEvT5_PKS3_S5_NS_24const_host_device_scalarIT6_EEPKT4_S5_PKS7_SB_S5_SD_S8_SB_S5_SD_SB_S5_PS7_21rocsparse_index_base_SF_SF_SF_bbb,comdat
.Lfunc_end213:
	.size	_ZN9rocsparseL41csrgemm_numeric_fill_block_per_row_kernelILj1024ELj64ELj8192ELj137ELj64Eli21rocsparse_complex_numIfEEEvT5_PKS3_S5_NS_24const_host_device_scalarIT6_EEPKT4_S5_PKS7_SB_S5_SD_S8_SB_S5_SD_SB_S5_PS7_21rocsparse_index_base_SF_SF_SF_bbb, .Lfunc_end213-_ZN9rocsparseL41csrgemm_numeric_fill_block_per_row_kernelILj1024ELj64ELj8192ELj137ELj64Eli21rocsparse_complex_numIfEEEvT5_PKS3_S5_NS_24const_host_device_scalarIT6_EEPKT4_S5_PKS7_SB_S5_SD_S8_SB_S5_SD_SB_S5_PS7_21rocsparse_index_base_SF_SF_SF_bbb
                                        ; -- End function
	.section	.AMDGPU.csdata,"",@progbits
; Kernel info:
; codeLenInByte = 3900
; NumSgprs: 50
; NumVgprs: 20
; ScratchSize: 0
; MemoryBound: 0
; FloatMode: 240
; IeeeMode: 1
; LDSByteSize: 0 bytes/workgroup (compile time only)
; SGPRBlocks: 6
; VGPRBlocks: 2
; NumSGPRsForWavesPerEU: 50
; NumVGPRsForWavesPerEU: 20
; Occupancy: 16
; WaveLimiterHint : 1
; COMPUTE_PGM_RSRC2:SCRATCH_EN: 0
; COMPUTE_PGM_RSRC2:USER_SGPR: 15
; COMPUTE_PGM_RSRC2:TRAP_HANDLER: 0
; COMPUTE_PGM_RSRC2:TGID_X_EN: 1
; COMPUTE_PGM_RSRC2:TGID_Y_EN: 0
; COMPUTE_PGM_RSRC2:TGID_Z_EN: 0
; COMPUTE_PGM_RSRC2:TIDIG_COMP_CNT: 0
	.section	.text._ZN9rocsparseL41csrgemm_numeric_fill_block_per_row_kernelILj1024ELj64ELj16384ELj137ELj32Eli21rocsparse_complex_numIfEEEvT5_PKS3_S5_NS_24const_host_device_scalarIT6_EEPKT4_S5_PKS7_SB_S5_SD_S8_SB_S5_SD_SB_S5_PS7_21rocsparse_index_base_SF_SF_SF_bbb,"axG",@progbits,_ZN9rocsparseL41csrgemm_numeric_fill_block_per_row_kernelILj1024ELj64ELj16384ELj137ELj32Eli21rocsparse_complex_numIfEEEvT5_PKS3_S5_NS_24const_host_device_scalarIT6_EEPKT4_S5_PKS7_SB_S5_SD_S8_SB_S5_SD_SB_S5_PS7_21rocsparse_index_base_SF_SF_SF_bbb,comdat
	.globl	_ZN9rocsparseL41csrgemm_numeric_fill_block_per_row_kernelILj1024ELj64ELj16384ELj137ELj32Eli21rocsparse_complex_numIfEEEvT5_PKS3_S5_NS_24const_host_device_scalarIT6_EEPKT4_S5_PKS7_SB_S5_SD_S8_SB_S5_SD_SB_S5_PS7_21rocsparse_index_base_SF_SF_SF_bbb ; -- Begin function _ZN9rocsparseL41csrgemm_numeric_fill_block_per_row_kernelILj1024ELj64ELj16384ELj137ELj32Eli21rocsparse_complex_numIfEEEvT5_PKS3_S5_NS_24const_host_device_scalarIT6_EEPKT4_S5_PKS7_SB_S5_SD_S8_SB_S5_SD_SB_S5_PS7_21rocsparse_index_base_SF_SF_SF_bbb
	.p2align	8
	.type	_ZN9rocsparseL41csrgemm_numeric_fill_block_per_row_kernelILj1024ELj64ELj16384ELj137ELj32Eli21rocsparse_complex_numIfEEEvT5_PKS3_S5_NS_24const_host_device_scalarIT6_EEPKT4_S5_PKS7_SB_S5_SD_S8_SB_S5_SD_SB_S5_PS7_21rocsparse_index_base_SF_SF_SF_bbb,@function
_ZN9rocsparseL41csrgemm_numeric_fill_block_per_row_kernelILj1024ELj64ELj16384ELj137ELj32Eli21rocsparse_complex_numIfEEEvT5_PKS3_S5_NS_24const_host_device_scalarIT6_EEPKT4_S5_PKS7_SB_S5_SD_S8_SB_S5_SD_SB_S5_PS7_21rocsparse_index_base_SF_SF_SF_bbb: ; @_ZN9rocsparseL41csrgemm_numeric_fill_block_per_row_kernelILj1024ELj64ELj16384ELj137ELj32Eli21rocsparse_complex_numIfEEEvT5_PKS3_S5_NS_24const_host_device_scalarIT6_EEPKT4_S5_PKS7_SB_S5_SD_S8_SB_S5_SD_SB_S5_PS7_21rocsparse_index_base_SF_SF_SF_bbb
; %bb.0:
	s_clause 0x7
	s_load_b32 s12, s[0:1], 0x98
	s_load_b64 s[40:41], s[0:1], 0x70
	s_load_b128 s[24:27], s[0:1], 0x60
	s_load_b256 s[4:11], s[0:1], 0x40
	s_load_b128 s[28:31], s[0:1], 0x8
	s_load_b256 s[16:23], s[0:1], 0x20
	s_load_b64 s[34:35], s[0:1], 0x80
	s_load_b128 s[36:39], s[0:1], 0x88
	s_mov_b32 s3, 0
	s_mov_b32 s13, 0
	s_waitcnt lgkmcnt(0)
	s_bitcmp1_b32 s12, 0
	s_cselect_b32 s43, -1, 0
	s_bitcmp1_b32 s12, 16
	s_cselect_b32 s2, -1, 0
	s_delay_alu instid0(SALU_CYCLE_1) | instskip(SKIP_2) | instid1(VALU_DEP_1)
	s_xor_b32 s14, s2, -1
	s_bitcmp0_b32 s12, 0
	v_cndmask_b32_e64 v1, 0, 1, s14
	v_cmp_ne_u32_e32 vcc_lo, 1, v1
	s_cbranch_scc1 .LBB214_5
; %bb.1:
	s_load_b64 s[2:3], s[0:1], 0x18
	s_and_b32 vcc_lo, exec_lo, vcc_lo
	s_waitcnt lgkmcnt(0)
	s_mov_b32 s13, s2
	s_cbranch_vccnz .LBB214_3
; %bb.2:
	s_load_b32 s13, s[2:3], 0x0
.LBB214_3:
	s_and_not1_b32 vcc_lo, exec_lo, s14
	s_cbranch_vccnz .LBB214_5
; %bb.4:
	s_load_b32 s3, s[2:3], 0x4
.LBB214_5:
	s_bitcmp1_b32 s12, 8
	s_cselect_b32 s14, -1, 0
	s_bfe_u32 s2, s12, 0x10008
	s_mov_b32 s12, 0
	s_cmp_eq_u32 s2, 0
	s_mov_b32 s2, 0
	s_cbranch_scc1 .LBB214_11
; %bb.6:
	v_cmp_ne_u32_e32 vcc_lo, 1, v1
	s_mov_b32 s2, s8
	s_cbranch_vccnz .LBB214_8
; %bb.7:
	s_load_b32 s2, s[8:9], 0x0
.LBB214_8:
	v_cmp_ne_u32_e32 vcc_lo, 1, v1
	s_cbranch_vccnz .LBB214_10
; %bb.9:
	s_load_b32 s9, s[8:9], 0x4
.LBB214_10:
	s_waitcnt lgkmcnt(0)
	s_mov_b32 s12, s9
.LBB214_11:
	s_load_b32 s33, s[0:1], 0x0
	v_lshlrev_b32_e32 v9, 3, v0
	v_lshl_add_u32 v7, v0, 2, 0
	v_or_b32_e32 v8, 0xfffffc00, v0
	v_mov_b32_e32 v1, 0
	s_mov_b32 s0, 0
	s_delay_alu instid0(VALU_DEP_3)
	v_mov_b32_e32 v3, v7
	s_waitcnt lgkmcnt(0)
	v_dual_mov_b32 v5, v8 :: v_dual_mov_b32 v4, s33
	v_add3_u32 v2, v9, 0, 0x10004
.LBB214_12:                             ; =>This Inner Loop Header: Depth=1
	s_delay_alu instid0(VALU_DEP_2)
	v_add_nc_u32_e32 v5, 0x400, v5
	ds_store_b32 v3, v4
	v_add_nc_u32_e32 v6, -4, v2
	v_add_nc_u32_e32 v2, 0x2000, v2
	v_add_nc_u32_e32 v3, 0x1000, v3
	v_cmp_lt_u32_e32 vcc_lo, 0x3bff, v5
	ds_store_2addr_b32 v6, v1, v1 offset1:1
	s_or_b32 s0, vcc_lo, s0
	s_delay_alu instid0(SALU_CYCLE_1)
	s_and_not1_b32 exec_lo, exec_lo, s0
	s_cbranch_execnz .LBB214_12
; %bb.13:
	s_or_b32 exec_lo, exec_lo, s0
	s_waitcnt lgkmcnt(0)
	s_barrier
	buffer_gl0_inv
	s_load_b32 s0, s[28:29], 0x0
	s_mov_b32 s1, 0
	s_waitcnt lgkmcnt(0)
	s_add_i32 s0, s0, s15
	s_delay_alu instid0(SALU_CYCLE_1) | instskip(NEXT) | instid1(SALU_CYCLE_1)
	s_lshl_b64 s[0:1], s[0:1], 2
	s_add_u32 s0, s30, s0
	s_addc_u32 s1, s31, s1
	s_and_b32 vcc_lo, exec_lo, s43
	s_load_b32 s42, s[0:1], 0x0
	s_cbranch_vccz .LBB214_33
; %bb.14:
	s_waitcnt lgkmcnt(0)
	s_ashr_i32 s43, s42, 31
	v_lshrrev_b32_e32 v1, 6, v0
	s_lshl_b64 s[0:1], s[42:43], 3
	s_mov_b32 s8, exec_lo
	s_add_u32 s0, s16, s0
	s_addc_u32 s1, s17, s1
	s_load_b128 s[28:31], s[0:1], 0x0
	v_sub_co_u32 v1, s0, v1, s36
	s_delay_alu instid0(VALU_DEP_1) | instskip(SKIP_1) | instid1(VALU_DEP_2)
	v_sub_co_ci_u32_e64 v2, null, 0, 0, s0
	s_waitcnt lgkmcnt(0)
	v_add_co_u32 v1, vcc_lo, s28, v1
	s_delay_alu instid0(VALU_DEP_2)
	v_add_co_ci_u32_e32 v2, vcc_lo, s29, v2, vcc_lo
	s_sub_u32 s0, s30, s36
	s_subb_u32 s1, s31, 0
	s_delay_alu instid0(VALU_DEP_1) | instid1(SALU_CYCLE_1)
	v_cmpx_gt_i64_e64 s[0:1], v[1:2]
	s_cbranch_execz .LBB214_32
; %bb.15:
	v_and_b32_e32 v3, 63, v0
	s_mov_b32 s15, s37
	s_delay_alu instid0(VALU_DEP_1) | instskip(NEXT) | instid1(VALU_DEP_1)
	v_sub_co_u32 v10, s9, v3, s37
	v_sub_co_ci_u32_e64 v11, null, 0, 0, s9
	s_mov_b32 s9, 0
	s_branch .LBB214_17
.LBB214_16:                             ;   in Loop: Header=BB214_17 Depth=1
	s_or_b32 exec_lo, exec_lo, s16
	v_add_co_u32 v1, vcc_lo, v1, 16
	v_add_co_ci_u32_e32 v2, vcc_lo, 0, v2, vcc_lo
	s_delay_alu instid0(VALU_DEP_1) | instskip(SKIP_1) | instid1(SALU_CYCLE_1)
	v_cmp_le_i64_e32 vcc_lo, s[0:1], v[1:2]
	s_or_b32 s9, vcc_lo, s9
	s_and_not1_b32 exec_lo, exec_lo, s9
	s_cbranch_execz .LBB214_32
.LBB214_17:                             ; =>This Loop Header: Depth=1
                                        ;     Child Loop BB214_20 Depth 2
                                        ;       Child Loop BB214_22 Depth 3
	v_lshlrev_b64 v[3:4], 2, v[1:2]
	s_mov_b32 s16, exec_lo
	s_delay_alu instid0(VALU_DEP_1) | instskip(NEXT) | instid1(VALU_DEP_2)
	v_add_co_u32 v3, vcc_lo, s18, v3
	v_add_co_ci_u32_e32 v4, vcc_lo, s19, v4, vcc_lo
	global_load_b32 v3, v[3:4], off
	s_waitcnt vmcnt(0)
	v_subrev_nc_u32_e32 v3, s36, v3
	s_delay_alu instid0(VALU_DEP_1) | instskip(NEXT) | instid1(VALU_DEP_1)
	v_ashrrev_i32_e32 v4, 31, v3
	v_lshlrev_b64 v[3:4], 3, v[3:4]
	s_delay_alu instid0(VALU_DEP_1) | instskip(NEXT) | instid1(VALU_DEP_2)
	v_add_co_u32 v3, vcc_lo, s22, v3
	v_add_co_ci_u32_e32 v4, vcc_lo, s23, v4, vcc_lo
	global_load_b128 v[12:15], v[3:4], off
	s_waitcnt vmcnt(0)
	v_sub_co_u32 v3, vcc_lo, v14, s15
	v_subrev_co_ci_u32_e32 v4, vcc_lo, 0, v15, vcc_lo
	v_add_co_u32 v5, vcc_lo, v12, v10
	v_add_co_ci_u32_e32 v6, vcc_lo, v13, v11, vcc_lo
	s_delay_alu instid0(VALU_DEP_1)
	v_cmpx_lt_i64_e64 v[5:6], v[3:4]
	s_cbranch_execz .LBB214_16
; %bb.18:                               ;   in Loop: Header=BB214_17 Depth=1
	v_lshlrev_b64 v[12:13], 3, v[1:2]
	s_mov_b32 s17, 0
	s_delay_alu instid0(VALU_DEP_1) | instskip(NEXT) | instid1(VALU_DEP_2)
	v_add_co_u32 v12, vcc_lo, s20, v12
	v_add_co_ci_u32_e32 v13, vcc_lo, s21, v13, vcc_lo
	global_load_b64 v[14:15], v[12:13], off
	s_waitcnt vmcnt(0)
	v_mul_f32_e64 v12, v15, -s3
	s_delay_alu instid0(VALU_DEP_1) | instskip(NEXT) | instid1(VALU_DEP_1)
	v_dual_mul_f32 v13, s13, v15 :: v_dual_fmac_f32 v12, s13, v14
	v_fmac_f32_e32 v13, s3, v14
	s_branch .LBB214_20
.LBB214_19:                             ;   in Loop: Header=BB214_20 Depth=2
	s_or_b32 exec_lo, exec_lo, s28
	v_add_co_u32 v5, vcc_lo, v5, 64
	v_add_co_ci_u32_e32 v6, vcc_lo, 0, v6, vcc_lo
	s_delay_alu instid0(VALU_DEP_1) | instskip(SKIP_1) | instid1(SALU_CYCLE_1)
	v_cmp_ge_i64_e32 vcc_lo, v[5:6], v[3:4]
	s_or_b32 s17, vcc_lo, s17
	s_and_not1_b32 exec_lo, exec_lo, s17
	s_cbranch_execz .LBB214_16
.LBB214_20:                             ;   Parent Loop BB214_17 Depth=1
                                        ; =>  This Loop Header: Depth=2
                                        ;       Child Loop BB214_22 Depth 3
	v_lshlrev_b64 v[14:15], 2, v[5:6]
	v_lshlrev_b64 v[16:17], 3, v[5:6]
	s_mov_b32 s28, 0
	s_delay_alu instid0(VALU_DEP_2) | instskip(NEXT) | instid1(VALU_DEP_3)
	v_add_co_u32 v14, vcc_lo, s4, v14
	v_add_co_ci_u32_e32 v15, vcc_lo, s5, v15, vcc_lo
	global_load_b32 v19, v[14:15], off
	v_add_co_u32 v14, vcc_lo, s6, v16
	v_add_co_ci_u32_e32 v15, vcc_lo, s7, v17, vcc_lo
	global_load_b64 v[17:18], v[14:15], off
	s_waitcnt vmcnt(1)
	v_subrev_nc_u32_e32 v14, s37, v19
	s_delay_alu instid0(VALU_DEP_1) | instskip(SKIP_3) | instid1(VALU_DEP_2)
	v_mul_lo_u32 v19, 0x89, v14
	s_waitcnt vmcnt(0)
	v_mul_f32_e64 v15, v18, -v13
	v_mul_f32_e32 v16, v12, v18
	v_fmac_f32_e32 v15, v12, v17
	s_delay_alu instid0(VALU_DEP_2)
	v_dual_fmac_f32 v16, v13, v17 :: v_dual_and_b32 v17, 0x3fff, v19
	s_branch .LBB214_22
.LBB214_21:                             ;   in Loop: Header=BB214_22 Depth=3
	s_or_b32 exec_lo, exec_lo, s29
	s_xor_b32 s29, s30, -1
	s_delay_alu instid0(SALU_CYCLE_1) | instskip(NEXT) | instid1(SALU_CYCLE_1)
	s_and_b32 s29, exec_lo, s29
	s_or_b32 s28, s29, s28
	s_delay_alu instid0(SALU_CYCLE_1)
	s_and_not1_b32 exec_lo, exec_lo, s28
	s_cbranch_execz .LBB214_19
.LBB214_22:                             ;   Parent Loop BB214_17 Depth=1
                                        ;     Parent Loop BB214_20 Depth=2
                                        ; =>    This Inner Loop Header: Depth=3
	s_delay_alu instid0(VALU_DEP_1)
	v_lshl_add_u32 v18, v17, 2, 0
	s_mov_b32 s29, exec_lo
                                        ; implicit-def: $sgpr30
	ds_load_b32 v19, v18
	s_waitcnt lgkmcnt(0)
	v_cmpx_ne_u32_e64 v19, v14
	s_xor_b32 s29, exec_lo, s29
	s_cbranch_execz .LBB214_30
; %bb.23:                               ;   in Loop: Header=BB214_22 Depth=3
	s_mov_b32 s31, exec_lo
                                        ; implicit-def: $sgpr30
	v_cmpx_ne_u32_e64 s33, v19
	s_xor_b32 s31, exec_lo, s31
; %bb.24:                               ;   in Loop: Header=BB214_22 Depth=3
	v_add_nc_u32_e32 v17, 1, v17
	s_mov_b32 s30, -1
                                        ; implicit-def: $vgpr18
	s_delay_alu instid0(VALU_DEP_1)
	v_and_b32_e32 v17, 0x3fff, v17
; %bb.25:                               ;   in Loop: Header=BB214_22 Depth=3
	s_and_not1_saveexec_b32 s31, s31
	s_cbranch_execz .LBB214_29
; %bb.26:                               ;   in Loop: Header=BB214_22 Depth=3
	v_mov_b32_e32 v19, s33
	s_mov_b32 s44, -1
	s_mov_b32 s43, exec_lo
	ds_cmpstore_rtn_b32 v18, v18, v14, v19
	s_waitcnt lgkmcnt(0)
	v_cmpx_eq_u32_e64 s33, v18
	s_cbranch_execz .LBB214_28
; %bb.27:                               ;   in Loop: Header=BB214_22 Depth=3
	v_lshlrev_b32_e32 v18, 3, v17
	s_xor_b32 s44, exec_lo, -1
	s_delay_alu instid0(VALU_DEP_1)
	v_add3_u32 v18, 0, v18, 0x10000
	ds_add_f32 v18, v15
	ds_add_f32 v18, v16 offset:4
.LBB214_28:                             ;   in Loop: Header=BB214_22 Depth=3
	s_or_b32 exec_lo, exec_lo, s43
	s_delay_alu instid0(SALU_CYCLE_1) | instskip(SKIP_1) | instid1(SALU_CYCLE_1)
	s_and_not1_b32 s30, s30, exec_lo
	s_and_b32 s43, s44, exec_lo
	s_or_b32 s30, s30, s43
.LBB214_29:                             ;   in Loop: Header=BB214_22 Depth=3
	s_or_b32 exec_lo, exec_lo, s31
	s_delay_alu instid0(SALU_CYCLE_1)
	s_and_b32 s30, s30, exec_lo
.LBB214_30:                             ;   in Loop: Header=BB214_22 Depth=3
	s_and_not1_saveexec_b32 s29, s29
	s_cbranch_execz .LBB214_21
; %bb.31:                               ;   in Loop: Header=BB214_22 Depth=3
	v_lshlrev_b32_e32 v18, 3, v17
	s_and_not1_b32 s30, s30, exec_lo
	s_delay_alu instid0(VALU_DEP_1)
	v_add3_u32 v18, 0, v18, 0x10000
	ds_add_f32 v18, v15
	ds_add_f32 v18, v16 offset:4
	s_branch .LBB214_21
.LBB214_32:
	s_or_b32 exec_lo, exec_lo, s8
.LBB214_33:
	s_delay_alu instid0(SALU_CYCLE_1)
	s_and_not1_b32 vcc_lo, exec_lo, s14
	s_cbranch_vccnz .LBB214_36
; %bb.34:
	s_waitcnt lgkmcnt(0)
	s_ashr_i32 s43, s42, 31
	s_mov_b32 s3, exec_lo
	s_lshl_b64 s[0:1], s[42:43], 3
	s_delay_alu instid0(SALU_CYCLE_1) | instskip(SKIP_3) | instid1(VALU_DEP_1)
	s_add_u32 s0, s10, s0
	s_addc_u32 s1, s11, s1
	s_load_b128 s[4:7], s[0:1], 0x0
	v_sub_co_u32 v1, s0, v0, s39
	v_sub_co_ci_u32_e64 v2, null, 0, 0, s0
	s_waitcnt lgkmcnt(0)
	s_delay_alu instid0(VALU_DEP_2) | instskip(NEXT) | instid1(VALU_DEP_2)
	v_add_co_u32 v1, vcc_lo, s4, v1
	v_add_co_ci_u32_e32 v2, vcc_lo, s5, v2, vcc_lo
	s_sub_u32 s0, s6, s39
	s_subb_u32 s1, s7, 0
	s_mov_b32 s4, 0
	s_delay_alu instid0(VALU_DEP_1)
	v_cmpx_gt_i64_e64 s[0:1], v[1:2]
	s_cbranch_execnz .LBB214_105
.LBB214_35:
	s_or_b32 exec_lo, exec_lo, s3
.LBB214_36:
	v_mbcnt_lo_u32_b32 v1, -1, 0
	v_lshrrev_b32_e32 v2, 3, v0
	s_add_i32 s68, 0, 0x3007c
	v_cmp_eq_u32_e32 vcc_lo, 0x3ff, v0
	v_cmp_lt_u32_e64 s0, 31, v0
	v_xor_b32_e32 v1, 63, v1
	v_dual_mov_b32 v6, 0 :: v_dual_and_b32 v3, 0x7c, v2
	v_cmp_lt_u32_e64 s1, 63, v0
	v_cmp_lt_u32_e64 s2, 0x5f, v0
	s_delay_alu instid0(VALU_DEP_4) | instskip(NEXT) | instid1(VALU_DEP_4)
	v_lshrrev_b64 v[1:2], v1, -1
	v_add3_u32 v4, 0, 0x30000, v3
	v_cmp_lt_u32_e64 s3, 0x7f, v0
	v_cmp_lt_u32_e64 s4, 0x9f, v0
	;; [unrolled: 1-line block ×28, first 2 shown]
	v_add3_u32 v5, v9, 0, 0x10000
	v_mov_b32_e32 v9, s68
	s_mov_b32 s36, 0
	s_add_i32 s37, 0, 0x30000
	s_add_i32 s39, 0, 0x30004
	;; [unrolled: 1-line block ×31, first 2 shown]
	s_waitcnt lgkmcnt(0)
	s_barrier
	buffer_gl0_inv
	s_branch .LBB214_38
.LBB214_37:                             ;   in Loop: Header=BB214_38 Depth=1
	s_or_b32 exec_lo, exec_lo, s31
	s_waitcnt lgkmcnt(0)
	s_barrier
	buffer_gl0_inv
	ds_load_b32 v2, v9
	v_add_nc_u32_e32 v8, 0x400, v8
	v_add_nc_u32_e32 v5, 0x2000, v5
	v_add_nc_u32_e32 v7, 0x1000, v7
	s_delay_alu instid0(VALU_DEP_3) | instskip(NEXT) | instid1(VALU_DEP_1)
	v_cmp_lt_u32_e64 s31, 0x3bff, v8
	s_or_b32 s36, s31, s36
	s_waitcnt lgkmcnt(0)
	v_add_nc_u32_e32 v6, v2, v6
	s_and_not1_b32 exec_lo, exec_lo, s36
	s_cbranch_execz .LBB214_117
.LBB214_38:                             ; =>This Inner Loop Header: Depth=1
	ds_load_b32 v10, v7
	ds_load_2addr_b32 v[2:3], v5 offset1:1
	s_waitcnt lgkmcnt(0)
	s_barrier
	buffer_gl0_inv
	v_cmp_gt_i32_e64 s31, s33, v10
	s_delay_alu instid0(VALU_DEP_1) | instskip(NEXT) | instid1(SALU_CYCLE_1)
	s_bcnt1_i32_b32 s73, s31
	v_dual_mov_b32 v12, s73 :: v_dual_and_b32 v11, s31, v1
	s_delay_alu instid0(VALU_DEP_1)
	v_bcnt_u32_b32 v11, v11, 0
	ds_store_b32 v4, v12
	s_waitcnt lgkmcnt(0)
	s_barrier
	buffer_gl0_inv
	s_and_saveexec_b32 s73, s0
	s_cbranch_execnz .LBB214_71
; %bb.39:                               ;   in Loop: Header=BB214_38 Depth=1
	s_or_b32 exec_lo, exec_lo, s73
	s_and_saveexec_b32 s73, s1
	s_cbranch_execnz .LBB214_72
.LBB214_40:                             ;   in Loop: Header=BB214_38 Depth=1
	s_or_b32 exec_lo, exec_lo, s73
	s_and_saveexec_b32 s73, s2
	s_cbranch_execnz .LBB214_73
.LBB214_41:                             ;   in Loop: Header=BB214_38 Depth=1
	s_or_b32 exec_lo, exec_lo, s73
	s_and_saveexec_b32 s73, s3
	s_cbranch_execnz .LBB214_74
.LBB214_42:                             ;   in Loop: Header=BB214_38 Depth=1
	s_or_b32 exec_lo, exec_lo, s73
	s_and_saveexec_b32 s73, s4
	s_cbranch_execnz .LBB214_75
.LBB214_43:                             ;   in Loop: Header=BB214_38 Depth=1
	s_or_b32 exec_lo, exec_lo, s73
	s_and_saveexec_b32 s73, s5
	s_cbranch_execnz .LBB214_76
.LBB214_44:                             ;   in Loop: Header=BB214_38 Depth=1
	s_or_b32 exec_lo, exec_lo, s73
	s_and_saveexec_b32 s73, s6
	s_cbranch_execnz .LBB214_77
.LBB214_45:                             ;   in Loop: Header=BB214_38 Depth=1
	s_or_b32 exec_lo, exec_lo, s73
	s_and_saveexec_b32 s73, s7
	s_cbranch_execnz .LBB214_78
.LBB214_46:                             ;   in Loop: Header=BB214_38 Depth=1
	s_or_b32 exec_lo, exec_lo, s73
	s_and_saveexec_b32 s73, s8
	s_cbranch_execnz .LBB214_79
.LBB214_47:                             ;   in Loop: Header=BB214_38 Depth=1
	s_or_b32 exec_lo, exec_lo, s73
	s_and_saveexec_b32 s73, s9
	s_cbranch_execnz .LBB214_80
.LBB214_48:                             ;   in Loop: Header=BB214_38 Depth=1
	s_or_b32 exec_lo, exec_lo, s73
	s_and_saveexec_b32 s73, s10
	s_cbranch_execnz .LBB214_81
.LBB214_49:                             ;   in Loop: Header=BB214_38 Depth=1
	s_or_b32 exec_lo, exec_lo, s73
	s_and_saveexec_b32 s73, s11
	s_cbranch_execnz .LBB214_82
.LBB214_50:                             ;   in Loop: Header=BB214_38 Depth=1
	s_or_b32 exec_lo, exec_lo, s73
	s_and_saveexec_b32 s73, s12
	s_cbranch_execnz .LBB214_83
.LBB214_51:                             ;   in Loop: Header=BB214_38 Depth=1
	s_or_b32 exec_lo, exec_lo, s73
	s_and_saveexec_b32 s73, s13
	s_cbranch_execnz .LBB214_84
.LBB214_52:                             ;   in Loop: Header=BB214_38 Depth=1
	s_or_b32 exec_lo, exec_lo, s73
	s_and_saveexec_b32 s73, s14
	s_cbranch_execnz .LBB214_85
.LBB214_53:                             ;   in Loop: Header=BB214_38 Depth=1
	s_or_b32 exec_lo, exec_lo, s73
	s_and_saveexec_b32 s73, s15
	s_cbranch_execnz .LBB214_86
.LBB214_54:                             ;   in Loop: Header=BB214_38 Depth=1
	s_or_b32 exec_lo, exec_lo, s73
	s_and_saveexec_b32 s73, s16
	s_cbranch_execnz .LBB214_87
.LBB214_55:                             ;   in Loop: Header=BB214_38 Depth=1
	s_or_b32 exec_lo, exec_lo, s73
	s_and_saveexec_b32 s73, s17
	s_cbranch_execnz .LBB214_88
.LBB214_56:                             ;   in Loop: Header=BB214_38 Depth=1
	s_or_b32 exec_lo, exec_lo, s73
	s_and_saveexec_b32 s73, s18
	s_cbranch_execnz .LBB214_89
.LBB214_57:                             ;   in Loop: Header=BB214_38 Depth=1
	s_or_b32 exec_lo, exec_lo, s73
	s_and_saveexec_b32 s73, s19
	s_cbranch_execnz .LBB214_90
.LBB214_58:                             ;   in Loop: Header=BB214_38 Depth=1
	s_or_b32 exec_lo, exec_lo, s73
	s_and_saveexec_b32 s73, s20
	s_cbranch_execnz .LBB214_91
.LBB214_59:                             ;   in Loop: Header=BB214_38 Depth=1
	s_or_b32 exec_lo, exec_lo, s73
	s_and_saveexec_b32 s73, s21
	s_cbranch_execnz .LBB214_92
.LBB214_60:                             ;   in Loop: Header=BB214_38 Depth=1
	s_or_b32 exec_lo, exec_lo, s73
	s_and_saveexec_b32 s73, s22
	s_cbranch_execnz .LBB214_93
.LBB214_61:                             ;   in Loop: Header=BB214_38 Depth=1
	s_or_b32 exec_lo, exec_lo, s73
	s_and_saveexec_b32 s73, s23
	s_cbranch_execnz .LBB214_94
.LBB214_62:                             ;   in Loop: Header=BB214_38 Depth=1
	s_or_b32 exec_lo, exec_lo, s73
	s_and_saveexec_b32 s73, s24
	s_cbranch_execnz .LBB214_95
.LBB214_63:                             ;   in Loop: Header=BB214_38 Depth=1
	s_or_b32 exec_lo, exec_lo, s73
	s_and_saveexec_b32 s73, s25
	s_cbranch_execnz .LBB214_96
.LBB214_64:                             ;   in Loop: Header=BB214_38 Depth=1
	s_or_b32 exec_lo, exec_lo, s73
	s_and_saveexec_b32 s73, s26
	s_cbranch_execnz .LBB214_97
.LBB214_65:                             ;   in Loop: Header=BB214_38 Depth=1
	s_or_b32 exec_lo, exec_lo, s73
	s_and_saveexec_b32 s73, s27
	s_cbranch_execnz .LBB214_98
.LBB214_66:                             ;   in Loop: Header=BB214_38 Depth=1
	s_or_b32 exec_lo, exec_lo, s73
	s_and_saveexec_b32 s73, s28
	s_cbranch_execnz .LBB214_99
.LBB214_67:                             ;   in Loop: Header=BB214_38 Depth=1
	s_or_b32 exec_lo, exec_lo, s73
	s_and_saveexec_b32 s73, s29
	s_cbranch_execnz .LBB214_100
.LBB214_68:                             ;   in Loop: Header=BB214_38 Depth=1
	s_or_b32 exec_lo, exec_lo, s73
	s_and_saveexec_b32 s73, s30
	s_cbranch_execnz .LBB214_101
.LBB214_69:                             ;   in Loop: Header=BB214_38 Depth=1
	s_or_b32 exec_lo, exec_lo, s73
	s_and_saveexec_b32 s73, s31
	s_cbranch_execnz .LBB214_102
.LBB214_70:                             ;   in Loop: Header=BB214_38 Depth=1
	s_or_b32 exec_lo, exec_lo, s73
	s_and_saveexec_b32 s31, vcc_lo
	s_cbranch_execz .LBB214_37
	s_branch .LBB214_103
.LBB214_71:                             ;   in Loop: Header=BB214_38 Depth=1
	v_mov_b32_e32 v12, s37
	ds_load_b32 v12, v12
	s_waitcnt lgkmcnt(0)
	v_add_nc_u32_e32 v11, v12, v11
	s_or_b32 exec_lo, exec_lo, s73
	s_and_saveexec_b32 s73, s1
	s_cbranch_execz .LBB214_40
.LBB214_72:                             ;   in Loop: Header=BB214_38 Depth=1
	v_mov_b32_e32 v12, s39
	ds_load_b32 v12, v12
	s_waitcnt lgkmcnt(0)
	v_add_nc_u32_e32 v11, v12, v11
	s_or_b32 exec_lo, exec_lo, s73
	s_and_saveexec_b32 s73, s2
	s_cbranch_execz .LBB214_41
.LBB214_73:                             ;   in Loop: Header=BB214_38 Depth=1
	v_mov_b32_e32 v12, s43
	ds_load_b32 v12, v12
	s_waitcnt lgkmcnt(0)
	v_add_nc_u32_e32 v11, v12, v11
	s_or_b32 exec_lo, exec_lo, s73
	s_and_saveexec_b32 s73, s3
	s_cbranch_execz .LBB214_42
.LBB214_74:                             ;   in Loop: Header=BB214_38 Depth=1
	v_mov_b32_e32 v12, s44
	ds_load_b32 v12, v12
	s_waitcnt lgkmcnt(0)
	v_add_nc_u32_e32 v11, v12, v11
	s_or_b32 exec_lo, exec_lo, s73
	s_and_saveexec_b32 s73, s4
	s_cbranch_execz .LBB214_43
.LBB214_75:                             ;   in Loop: Header=BB214_38 Depth=1
	v_mov_b32_e32 v12, s45
	ds_load_b32 v12, v12
	s_waitcnt lgkmcnt(0)
	v_add_nc_u32_e32 v11, v12, v11
	s_or_b32 exec_lo, exec_lo, s73
	s_and_saveexec_b32 s73, s5
	s_cbranch_execz .LBB214_44
.LBB214_76:                             ;   in Loop: Header=BB214_38 Depth=1
	v_mov_b32_e32 v12, s46
	ds_load_b32 v12, v12
	s_waitcnt lgkmcnt(0)
	v_add_nc_u32_e32 v11, v12, v11
	s_or_b32 exec_lo, exec_lo, s73
	s_and_saveexec_b32 s73, s6
	s_cbranch_execz .LBB214_45
.LBB214_77:                             ;   in Loop: Header=BB214_38 Depth=1
	v_mov_b32_e32 v12, s47
	ds_load_b32 v12, v12
	s_waitcnt lgkmcnt(0)
	v_add_nc_u32_e32 v11, v12, v11
	s_or_b32 exec_lo, exec_lo, s73
	s_and_saveexec_b32 s73, s7
	s_cbranch_execz .LBB214_46
.LBB214_78:                             ;   in Loop: Header=BB214_38 Depth=1
	v_mov_b32_e32 v12, s48
	ds_load_b32 v12, v12
	s_waitcnt lgkmcnt(0)
	v_add_nc_u32_e32 v11, v12, v11
	s_or_b32 exec_lo, exec_lo, s73
	s_and_saveexec_b32 s73, s8
	s_cbranch_execz .LBB214_47
.LBB214_79:                             ;   in Loop: Header=BB214_38 Depth=1
	v_mov_b32_e32 v12, s49
	ds_load_b32 v12, v12
	s_waitcnt lgkmcnt(0)
	v_add_nc_u32_e32 v11, v12, v11
	s_or_b32 exec_lo, exec_lo, s73
	s_and_saveexec_b32 s73, s9
	s_cbranch_execz .LBB214_48
.LBB214_80:                             ;   in Loop: Header=BB214_38 Depth=1
	v_mov_b32_e32 v12, s50
	ds_load_b32 v12, v12
	s_waitcnt lgkmcnt(0)
	v_add_nc_u32_e32 v11, v12, v11
	s_or_b32 exec_lo, exec_lo, s73
	s_and_saveexec_b32 s73, s10
	s_cbranch_execz .LBB214_49
.LBB214_81:                             ;   in Loop: Header=BB214_38 Depth=1
	v_mov_b32_e32 v12, s51
	ds_load_b32 v12, v12
	s_waitcnt lgkmcnt(0)
	v_add_nc_u32_e32 v11, v12, v11
	s_or_b32 exec_lo, exec_lo, s73
	s_and_saveexec_b32 s73, s11
	s_cbranch_execz .LBB214_50
.LBB214_82:                             ;   in Loop: Header=BB214_38 Depth=1
	v_mov_b32_e32 v12, s52
	ds_load_b32 v12, v12
	s_waitcnt lgkmcnt(0)
	v_add_nc_u32_e32 v11, v12, v11
	s_or_b32 exec_lo, exec_lo, s73
	s_and_saveexec_b32 s73, s12
	s_cbranch_execz .LBB214_51
.LBB214_83:                             ;   in Loop: Header=BB214_38 Depth=1
	v_mov_b32_e32 v12, s53
	ds_load_b32 v12, v12
	s_waitcnt lgkmcnt(0)
	v_add_nc_u32_e32 v11, v12, v11
	s_or_b32 exec_lo, exec_lo, s73
	s_and_saveexec_b32 s73, s13
	s_cbranch_execz .LBB214_52
.LBB214_84:                             ;   in Loop: Header=BB214_38 Depth=1
	v_mov_b32_e32 v12, s54
	ds_load_b32 v12, v12
	s_waitcnt lgkmcnt(0)
	v_add_nc_u32_e32 v11, v12, v11
	s_or_b32 exec_lo, exec_lo, s73
	s_and_saveexec_b32 s73, s14
	s_cbranch_execz .LBB214_53
.LBB214_85:                             ;   in Loop: Header=BB214_38 Depth=1
	v_mov_b32_e32 v12, s55
	ds_load_b32 v12, v12
	s_waitcnt lgkmcnt(0)
	v_add_nc_u32_e32 v11, v12, v11
	s_or_b32 exec_lo, exec_lo, s73
	s_and_saveexec_b32 s73, s15
	s_cbranch_execz .LBB214_54
.LBB214_86:                             ;   in Loop: Header=BB214_38 Depth=1
	v_mov_b32_e32 v12, s56
	ds_load_b32 v12, v12
	s_waitcnt lgkmcnt(0)
	v_add_nc_u32_e32 v11, v12, v11
	s_or_b32 exec_lo, exec_lo, s73
	s_and_saveexec_b32 s73, s16
	s_cbranch_execz .LBB214_55
.LBB214_87:                             ;   in Loop: Header=BB214_38 Depth=1
	v_mov_b32_e32 v12, s57
	ds_load_b32 v12, v12
	s_waitcnt lgkmcnt(0)
	v_add_nc_u32_e32 v11, v12, v11
	s_or_b32 exec_lo, exec_lo, s73
	s_and_saveexec_b32 s73, s17
	s_cbranch_execz .LBB214_56
.LBB214_88:                             ;   in Loop: Header=BB214_38 Depth=1
	v_mov_b32_e32 v12, s58
	ds_load_b32 v12, v12
	s_waitcnt lgkmcnt(0)
	v_add_nc_u32_e32 v11, v12, v11
	s_or_b32 exec_lo, exec_lo, s73
	s_and_saveexec_b32 s73, s18
	s_cbranch_execz .LBB214_57
.LBB214_89:                             ;   in Loop: Header=BB214_38 Depth=1
	v_mov_b32_e32 v12, s59
	ds_load_b32 v12, v12
	s_waitcnt lgkmcnt(0)
	v_add_nc_u32_e32 v11, v12, v11
	s_or_b32 exec_lo, exec_lo, s73
	s_and_saveexec_b32 s73, s19
	s_cbranch_execz .LBB214_58
.LBB214_90:                             ;   in Loop: Header=BB214_38 Depth=1
	v_mov_b32_e32 v12, s60
	ds_load_b32 v12, v12
	s_waitcnt lgkmcnt(0)
	v_add_nc_u32_e32 v11, v12, v11
	s_or_b32 exec_lo, exec_lo, s73
	s_and_saveexec_b32 s73, s20
	s_cbranch_execz .LBB214_59
.LBB214_91:                             ;   in Loop: Header=BB214_38 Depth=1
	v_mov_b32_e32 v12, s61
	ds_load_b32 v12, v12
	s_waitcnt lgkmcnt(0)
	v_add_nc_u32_e32 v11, v12, v11
	s_or_b32 exec_lo, exec_lo, s73
	s_and_saveexec_b32 s73, s21
	s_cbranch_execz .LBB214_60
.LBB214_92:                             ;   in Loop: Header=BB214_38 Depth=1
	v_mov_b32_e32 v12, s62
	ds_load_b32 v12, v12
	s_waitcnt lgkmcnt(0)
	v_add_nc_u32_e32 v11, v12, v11
	s_or_b32 exec_lo, exec_lo, s73
	s_and_saveexec_b32 s73, s22
	s_cbranch_execz .LBB214_61
.LBB214_93:                             ;   in Loop: Header=BB214_38 Depth=1
	v_mov_b32_e32 v12, s63
	ds_load_b32 v12, v12
	s_waitcnt lgkmcnt(0)
	v_add_nc_u32_e32 v11, v12, v11
	s_or_b32 exec_lo, exec_lo, s73
	s_and_saveexec_b32 s73, s23
	s_cbranch_execz .LBB214_62
.LBB214_94:                             ;   in Loop: Header=BB214_38 Depth=1
	v_mov_b32_e32 v12, s64
	ds_load_b32 v12, v12
	s_waitcnt lgkmcnt(0)
	v_add_nc_u32_e32 v11, v12, v11
	s_or_b32 exec_lo, exec_lo, s73
	s_and_saveexec_b32 s73, s24
	s_cbranch_execz .LBB214_63
.LBB214_95:                             ;   in Loop: Header=BB214_38 Depth=1
	v_mov_b32_e32 v12, s65
	ds_load_b32 v12, v12
	s_waitcnt lgkmcnt(0)
	v_add_nc_u32_e32 v11, v12, v11
	s_or_b32 exec_lo, exec_lo, s73
	s_and_saveexec_b32 s73, s25
	s_cbranch_execz .LBB214_64
.LBB214_96:                             ;   in Loop: Header=BB214_38 Depth=1
	v_mov_b32_e32 v12, s66
	ds_load_b32 v12, v12
	s_waitcnt lgkmcnt(0)
	v_add_nc_u32_e32 v11, v12, v11
	s_or_b32 exec_lo, exec_lo, s73
	s_and_saveexec_b32 s73, s26
	s_cbranch_execz .LBB214_65
.LBB214_97:                             ;   in Loop: Header=BB214_38 Depth=1
	v_mov_b32_e32 v12, s67
	ds_load_b32 v12, v12
	s_waitcnt lgkmcnt(0)
	v_add_nc_u32_e32 v11, v12, v11
	s_or_b32 exec_lo, exec_lo, s73
	s_and_saveexec_b32 s73, s27
	s_cbranch_execz .LBB214_66
.LBB214_98:                             ;   in Loop: Header=BB214_38 Depth=1
	v_mov_b32_e32 v12, s69
	ds_load_b32 v12, v12
	s_waitcnt lgkmcnt(0)
	v_add_nc_u32_e32 v11, v12, v11
	s_or_b32 exec_lo, exec_lo, s73
	s_and_saveexec_b32 s73, s28
	s_cbranch_execz .LBB214_67
.LBB214_99:                             ;   in Loop: Header=BB214_38 Depth=1
	v_mov_b32_e32 v12, s70
	ds_load_b32 v12, v12
	s_waitcnt lgkmcnt(0)
	v_add_nc_u32_e32 v11, v12, v11
	s_or_b32 exec_lo, exec_lo, s73
	s_and_saveexec_b32 s73, s29
	s_cbranch_execz .LBB214_68
.LBB214_100:                            ;   in Loop: Header=BB214_38 Depth=1
	v_mov_b32_e32 v12, s71
	ds_load_b32 v12, v12
	s_waitcnt lgkmcnt(0)
	v_add_nc_u32_e32 v11, v12, v11
	s_or_b32 exec_lo, exec_lo, s73
	s_and_saveexec_b32 s73, s30
	s_cbranch_execz .LBB214_69
.LBB214_101:                            ;   in Loop: Header=BB214_38 Depth=1
	v_mov_b32_e32 v12, s72
	ds_load_b32 v12, v12
	s_waitcnt lgkmcnt(0)
	v_add_nc_u32_e32 v11, v12, v11
	s_or_b32 exec_lo, exec_lo, s73
	s_and_saveexec_b32 s73, s31
	s_cbranch_execz .LBB214_70
.LBB214_102:                            ;   in Loop: Header=BB214_38 Depth=1
	s_delay_alu instid0(VALU_DEP_1) | instskip(NEXT) | instid1(VALU_DEP_1)
	v_add3_u32 v12, v6, -1, v11
	v_lshlrev_b32_e32 v13, 3, v12
	v_lshl_add_u32 v12, v12, 2, 0
	s_delay_alu instid0(VALU_DEP_2)
	v_add3_u32 v13, 0, v13, 0x10000
	ds_store_b32 v12, v10
	ds_store_2addr_b32 v13, v2, v3 offset1:1
	s_or_b32 exec_lo, exec_lo, s73
	s_and_saveexec_b32 s31, vcc_lo
	s_cbranch_execz .LBB214_37
.LBB214_103:                            ;   in Loop: Header=BB214_38 Depth=1
	v_mov_b32_e32 v2, s68
	ds_store_b32 v2, v11
	s_branch .LBB214_37
.LBB214_104:                            ;   in Loop: Header=BB214_105 Depth=1
	s_or_b32 exec_lo, exec_lo, s5
	v_add_co_u32 v1, vcc_lo, 0x400, v1
	v_add_co_ci_u32_e32 v2, vcc_lo, 0, v2, vcc_lo
	s_delay_alu instid0(VALU_DEP_1) | instskip(SKIP_1) | instid1(SALU_CYCLE_1)
	v_cmp_le_i64_e32 vcc_lo, s[0:1], v[1:2]
	s_or_b32 s4, vcc_lo, s4
	s_and_not1_b32 exec_lo, exec_lo, s4
	s_cbranch_execz .LBB214_35
.LBB214_105:                            ; =>This Loop Header: Depth=1
                                        ;     Child Loop BB214_107 Depth 2
	v_lshlrev_b64 v[3:4], 2, v[1:2]
	v_lshlrev_b64 v[5:6], 3, v[1:2]
	s_mov_b32 s5, 0
	s_delay_alu instid0(VALU_DEP_2) | instskip(NEXT) | instid1(VALU_DEP_3)
	v_add_co_u32 v3, vcc_lo, s24, v3
	v_add_co_ci_u32_e32 v4, vcc_lo, s25, v4, vcc_lo
	global_load_b32 v12, v[3:4], off
	v_add_co_u32 v3, vcc_lo, s26, v5
	v_add_co_ci_u32_e32 v4, vcc_lo, s27, v6, vcc_lo
	global_load_b64 v[10:11], v[3:4], off
	s_waitcnt vmcnt(1)
	v_subrev_nc_u32_e32 v3, s39, v12
	s_delay_alu instid0(VALU_DEP_1) | instskip(SKIP_2) | instid1(VALU_DEP_1)
	v_mul_lo_u32 v6, 0x89, v3
	s_waitcnt vmcnt(0)
	v_mul_f32_e64 v4, v11, -s12
	v_dual_mul_f32 v5, s2, v11 :: v_dual_fmac_f32 v4, s2, v10
	s_delay_alu instid0(VALU_DEP_1) | instskip(NEXT) | instid1(VALU_DEP_4)
	v_fmac_f32_e32 v5, s12, v10
	v_and_b32_e32 v6, 0x3fff, v6
	s_branch .LBB214_107
.LBB214_106:                            ;   in Loop: Header=BB214_107 Depth=2
	s_or_b32 exec_lo, exec_lo, s6
	s_xor_b32 s6, s7, -1
	s_delay_alu instid0(SALU_CYCLE_1) | instskip(NEXT) | instid1(SALU_CYCLE_1)
	s_and_b32 s6, exec_lo, s6
	s_or_b32 s5, s6, s5
	s_delay_alu instid0(SALU_CYCLE_1)
	s_and_not1_b32 exec_lo, exec_lo, s5
	s_cbranch_execz .LBB214_104
.LBB214_107:                            ;   Parent Loop BB214_105 Depth=1
                                        ; =>  This Inner Loop Header: Depth=2
	s_delay_alu instid0(VALU_DEP_1)
	v_lshl_add_u32 v10, v6, 2, 0
	s_mov_b32 s6, exec_lo
                                        ; implicit-def: $sgpr7
	ds_load_b32 v11, v10
	s_waitcnt lgkmcnt(0)
	v_cmpx_ne_u32_e64 v11, v3
	s_xor_b32 s6, exec_lo, s6
	s_cbranch_execz .LBB214_115
; %bb.108:                              ;   in Loop: Header=BB214_107 Depth=2
	s_mov_b32 s8, exec_lo
                                        ; implicit-def: $sgpr7
	v_cmpx_ne_u32_e64 s33, v11
	s_xor_b32 s8, exec_lo, s8
; %bb.109:                              ;   in Loop: Header=BB214_107 Depth=2
	v_add_nc_u32_e32 v6, 1, v6
	s_mov_b32 s7, -1
                                        ; implicit-def: $vgpr10
	s_delay_alu instid0(VALU_DEP_1)
	v_and_b32_e32 v6, 0x3fff, v6
; %bb.110:                              ;   in Loop: Header=BB214_107 Depth=2
	s_and_not1_saveexec_b32 s8, s8
	s_cbranch_execz .LBB214_114
; %bb.111:                              ;   in Loop: Header=BB214_107 Depth=2
	v_mov_b32_e32 v11, s33
	s_mov_b32 s10, -1
	s_mov_b32 s9, exec_lo
	ds_cmpstore_rtn_b32 v10, v10, v3, v11
	s_waitcnt lgkmcnt(0)
	v_cmpx_eq_u32_e64 s33, v10
	s_cbranch_execz .LBB214_113
; %bb.112:                              ;   in Loop: Header=BB214_107 Depth=2
	v_lshlrev_b32_e32 v10, 3, v6
	s_xor_b32 s10, exec_lo, -1
	s_delay_alu instid0(VALU_DEP_1)
	v_add3_u32 v10, 0, v10, 0x10000
	ds_add_f32 v10, v4
	ds_add_f32 v10, v5 offset:4
.LBB214_113:                            ;   in Loop: Header=BB214_107 Depth=2
	s_or_b32 exec_lo, exec_lo, s9
	s_delay_alu instid0(SALU_CYCLE_1) | instskip(SKIP_1) | instid1(SALU_CYCLE_1)
	s_and_not1_b32 s7, s7, exec_lo
	s_and_b32 s9, s10, exec_lo
	s_or_b32 s7, s7, s9
.LBB214_114:                            ;   in Loop: Header=BB214_107 Depth=2
	s_or_b32 exec_lo, exec_lo, s8
	s_delay_alu instid0(SALU_CYCLE_1)
	s_and_b32 s7, s7, exec_lo
.LBB214_115:                            ;   in Loop: Header=BB214_107 Depth=2
	s_and_not1_saveexec_b32 s6, s6
	s_cbranch_execz .LBB214_106
; %bb.116:                              ;   in Loop: Header=BB214_107 Depth=2
	v_lshlrev_b32_e32 v10, 3, v6
	s_and_not1_b32 s7, s7, exec_lo
	s_delay_alu instid0(VALU_DEP_1)
	v_add3_u32 v10, 0, v10, 0x10000
	ds_add_f32 v10, v4
	ds_add_f32 v10, v5 offset:4
	s_branch .LBB214_106
.LBB214_117:
	s_or_b32 exec_lo, exec_lo, s36
	s_ashr_i32 s43, s42, 31
	s_mov_b32 s4, exec_lo
	s_lshl_b64 s[0:1], s[42:43], 3
	s_delay_alu instid0(SALU_CYCLE_1) | instskip(SKIP_4) | instid1(SALU_CYCLE_1)
	s_add_u32 s0, s40, s0
	s_addc_u32 s1, s41, s1
	s_load_b128 s[0:3], s[0:1], 0x0
	s_waitcnt lgkmcnt(0)
	s_sub_i32 s3, s2, s0
	v_cmpx_gt_i32_e64 s3, v0
	s_cbranch_execz .LBB214_127
; %bb.118:
	s_sub_u32 s4, s0, s38
	s_subb_u32 s5, s1, 0
	s_sub_i32 s0, s0, s2
	s_and_b32 s1, s3, 7
	s_cmp_lt_u32 s0, -7
	s_mov_b32 s8, 0
	s_cselect_b32 s2, -1, 0
	s_and_b32 s6, s3, -8
	s_cmp_lg_u32 s1, 0
	s_cselect_b32 s7, -1, 0
	s_branch .LBB214_120
.LBB214_119:                            ;   in Loop: Header=BB214_120 Depth=1
	s_delay_alu instid0(VALU_DEP_1) | instskip(SKIP_1) | instid1(VALU_DEP_1)
	v_lshlrev_b64 v[3:4], 3, v[3:4]
	v_add_nc_u32_e32 v0, 0x400, v0
	v_cmp_le_i32_e32 vcc_lo, s3, v0
	s_delay_alu instid0(VALU_DEP_3) | instskip(NEXT) | instid1(VALU_DEP_1)
	v_add_co_u32 v3, s0, s34, v3
	v_add_co_ci_u32_e64 v4, s0, s35, v4, s0
	s_or_b32 s8, vcc_lo, s8
	s_waitcnt lgkmcnt(0)
	global_store_b64 v[3:4], v[1:2], off
	s_and_not1_b32 exec_lo, exec_lo, s8
	s_cbranch_execz .LBB214_127
.LBB214_120:                            ; =>This Loop Header: Depth=1
                                        ;     Child Loop BB214_122 Depth 2
                                        ;     Child Loop BB214_126 Depth 2
	v_lshlrev_b32_e32 v1, 3, v0
	v_lshl_add_u32 v2, v0, 2, 0
	v_dual_mov_b32 v3, s4 :: v_dual_mov_b32 v4, s5
	s_and_not1_b32 vcc_lo, exec_lo, s2
	s_delay_alu instid0(VALU_DEP_3)
	v_add3_u32 v1, 0, v1, 0x10000
	s_mov_b32 s0, 0
	ds_load_b32 v5, v2
	ds_load_2addr_b32 v[1:2], v1 offset1:1
	s_cbranch_vccnz .LBB214_124
; %bb.121:                              ;   in Loop: Header=BB214_120 Depth=1
	v_dual_mov_b32 v3, s4 :: v_dual_mov_b32 v4, s5
	s_mov_b32 s9, 0
	s_mov_b32 s10, 0
.LBB214_122:                            ;   Parent Loop BB214_120 Depth=1
                                        ; =>  This Inner Loop Header: Depth=2
	s_delay_alu instid0(SALU_CYCLE_1)
	v_mov_b32_e32 v12, s10
	s_add_i32 s9, s9, 8
	s_add_i32 s10, s10, 32
	s_cmp_eq_u32 s6, s9
	ds_load_2addr_b32 v[6:7], v12 offset1:1
	ds_load_2addr_b32 v[8:9], v12 offset0:2 offset1:3
	ds_load_2addr_b32 v[10:11], v12 offset0:4 offset1:5
	;; [unrolled: 1-line block ×3, first 2 shown]
	s_waitcnt lgkmcnt(3)
	v_cmp_gt_i32_e32 vcc_lo, v5, v6
	v_cndmask_b32_e64 v6, 0, 1, vcc_lo
	v_cmp_gt_i32_e32 vcc_lo, v5, v7
	v_cndmask_b32_e64 v7, 0, 1, vcc_lo
	s_waitcnt lgkmcnt(2)
	v_cmp_gt_i32_e32 vcc_lo, v5, v8
	v_cndmask_b32_e64 v8, 0, 1, vcc_lo
	v_cmp_gt_i32_e32 vcc_lo, v5, v9
	v_cndmask_b32_e64 v9, 0, 1, vcc_lo
	s_waitcnt lgkmcnt(1)
	v_cmp_gt_i32_e32 vcc_lo, v5, v10
	v_cndmask_b32_e64 v10, 0, 1, vcc_lo
	v_add_co_u32 v3, vcc_lo, v3, v6
	v_add_co_ci_u32_e32 v4, vcc_lo, 0, v4, vcc_lo
	v_cmp_gt_i32_e32 vcc_lo, v5, v11
	s_delay_alu instid0(VALU_DEP_3) | instskip(NEXT) | instid1(VALU_DEP_1)
	v_add_co_u32 v3, s0, v3, v7
	v_add_co_ci_u32_e64 v4, s0, 0, v4, s0
	v_cndmask_b32_e64 v6, 0, 1, vcc_lo
	s_delay_alu instid0(VALU_DEP_3) | instskip(NEXT) | instid1(VALU_DEP_3)
	v_add_co_u32 v3, vcc_lo, v3, v8
	v_add_co_ci_u32_e32 v4, vcc_lo, 0, v4, vcc_lo
	s_waitcnt lgkmcnt(0)
	v_cmp_gt_i32_e32 vcc_lo, v5, v12
	s_delay_alu instid0(VALU_DEP_3) | instskip(NEXT) | instid1(VALU_DEP_1)
	v_add_co_u32 v3, s0, v3, v9
	v_add_co_ci_u32_e64 v4, s0, 0, v4, s0
	v_cndmask_b32_e64 v7, 0, 1, vcc_lo
	s_delay_alu instid0(VALU_DEP_3) | instskip(NEXT) | instid1(VALU_DEP_3)
	v_add_co_u32 v3, vcc_lo, v3, v10
	v_add_co_ci_u32_e32 v4, vcc_lo, 0, v4, vcc_lo
	v_cmp_gt_i32_e32 vcc_lo, v5, v13
	s_delay_alu instid0(VALU_DEP_3) | instskip(NEXT) | instid1(VALU_DEP_1)
	v_add_co_u32 v3, s0, v3, v6
	v_add_co_ci_u32_e64 v4, s0, 0, v4, s0
	v_cndmask_b32_e64 v6, 0, 1, vcc_lo
	s_delay_alu instid0(VALU_DEP_3) | instskip(NEXT) | instid1(VALU_DEP_3)
	v_add_co_u32 v3, vcc_lo, v3, v7
	v_add_co_ci_u32_e32 v4, vcc_lo, 0, v4, vcc_lo
	s_delay_alu instid0(VALU_DEP_2) | instskip(NEXT) | instid1(VALU_DEP_2)
	v_add_co_u32 v3, vcc_lo, v3, v6
	v_add_co_ci_u32_e32 v4, vcc_lo, 0, v4, vcc_lo
	s_cbranch_scc0 .LBB214_122
; %bb.123:                              ;   in Loop: Header=BB214_120 Depth=1
	s_mov_b32 s0, s6
.LBB214_124:                            ;   in Loop: Header=BB214_120 Depth=1
	s_and_not1_b32 vcc_lo, exec_lo, s7
	s_cbranch_vccnz .LBB214_119
; %bb.125:                              ;   in Loop: Header=BB214_120 Depth=1
	s_lshl_b32 s0, s0, 2
	s_mov_b32 s9, s1
	s_add_i32 s0, s0, 0
.LBB214_126:                            ;   Parent Loop BB214_120 Depth=1
                                        ; =>  This Inner Loop Header: Depth=2
	s_delay_alu instid0(SALU_CYCLE_1)
	v_mov_b32_e32 v6, s0
	s_add_i32 s9, s9, -1
	s_add_i32 s0, s0, 4
	s_cmp_lg_u32 s9, 0
	ds_load_b32 v6, v6
	s_waitcnt lgkmcnt(0)
	v_cmp_gt_i32_e32 vcc_lo, v5, v6
	v_cndmask_b32_e64 v6, 0, 1, vcc_lo
	s_delay_alu instid0(VALU_DEP_1)
	v_add_co_u32 v3, vcc_lo, v3, v6
	v_add_co_ci_u32_e32 v4, vcc_lo, 0, v4, vcc_lo
	s_cbranch_scc1 .LBB214_126
	s_branch .LBB214_119
.LBB214_127:
	s_nop 0
	s_sendmsg sendmsg(MSG_DEALLOC_VGPRS)
	s_endpgm
	.section	.rodata,"a",@progbits
	.p2align	6, 0x0
	.amdhsa_kernel _ZN9rocsparseL41csrgemm_numeric_fill_block_per_row_kernelILj1024ELj64ELj16384ELj137ELj32Eli21rocsparse_complex_numIfEEEvT5_PKS3_S5_NS_24const_host_device_scalarIT6_EEPKT4_S5_PKS7_SB_S5_SD_S8_SB_S5_SD_SB_S5_PS7_21rocsparse_index_base_SF_SF_SF_bbb
		.amdhsa_group_segment_fixed_size 0
		.amdhsa_private_segment_fixed_size 0
		.amdhsa_kernarg_size 156
		.amdhsa_user_sgpr_count 15
		.amdhsa_user_sgpr_dispatch_ptr 0
		.amdhsa_user_sgpr_queue_ptr 0
		.amdhsa_user_sgpr_kernarg_segment_ptr 1
		.amdhsa_user_sgpr_dispatch_id 0
		.amdhsa_user_sgpr_private_segment_size 0
		.amdhsa_wavefront_size32 1
		.amdhsa_uses_dynamic_stack 0
		.amdhsa_enable_private_segment 0
		.amdhsa_system_sgpr_workgroup_id_x 1
		.amdhsa_system_sgpr_workgroup_id_y 0
		.amdhsa_system_sgpr_workgroup_id_z 0
		.amdhsa_system_sgpr_workgroup_info 0
		.amdhsa_system_vgpr_workitem_id 0
		.amdhsa_next_free_vgpr 20
		.amdhsa_next_free_sgpr 74
		.amdhsa_reserve_vcc 1
		.amdhsa_float_round_mode_32 0
		.amdhsa_float_round_mode_16_64 0
		.amdhsa_float_denorm_mode_32 3
		.amdhsa_float_denorm_mode_16_64 3
		.amdhsa_dx10_clamp 1
		.amdhsa_ieee_mode 1
		.amdhsa_fp16_overflow 0
		.amdhsa_workgroup_processor_mode 1
		.amdhsa_memory_ordered 1
		.amdhsa_forward_progress 0
		.amdhsa_shared_vgpr_count 0
		.amdhsa_exception_fp_ieee_invalid_op 0
		.amdhsa_exception_fp_denorm_src 0
		.amdhsa_exception_fp_ieee_div_zero 0
		.amdhsa_exception_fp_ieee_overflow 0
		.amdhsa_exception_fp_ieee_underflow 0
		.amdhsa_exception_fp_ieee_inexact 0
		.amdhsa_exception_int_div_zero 0
	.end_amdhsa_kernel
	.section	.text._ZN9rocsparseL41csrgemm_numeric_fill_block_per_row_kernelILj1024ELj64ELj16384ELj137ELj32Eli21rocsparse_complex_numIfEEEvT5_PKS3_S5_NS_24const_host_device_scalarIT6_EEPKT4_S5_PKS7_SB_S5_SD_S8_SB_S5_SD_SB_S5_PS7_21rocsparse_index_base_SF_SF_SF_bbb,"axG",@progbits,_ZN9rocsparseL41csrgemm_numeric_fill_block_per_row_kernelILj1024ELj64ELj16384ELj137ELj32Eli21rocsparse_complex_numIfEEEvT5_PKS3_S5_NS_24const_host_device_scalarIT6_EEPKT4_S5_PKS7_SB_S5_SD_S8_SB_S5_SD_SB_S5_PS7_21rocsparse_index_base_SF_SF_SF_bbb,comdat
.Lfunc_end214:
	.size	_ZN9rocsparseL41csrgemm_numeric_fill_block_per_row_kernelILj1024ELj64ELj16384ELj137ELj32Eli21rocsparse_complex_numIfEEEvT5_PKS3_S5_NS_24const_host_device_scalarIT6_EEPKT4_S5_PKS7_SB_S5_SD_S8_SB_S5_SD_SB_S5_PS7_21rocsparse_index_base_SF_SF_SF_bbb, .Lfunc_end214-_ZN9rocsparseL41csrgemm_numeric_fill_block_per_row_kernelILj1024ELj64ELj16384ELj137ELj32Eli21rocsparse_complex_numIfEEEvT5_PKS3_S5_NS_24const_host_device_scalarIT6_EEPKT4_S5_PKS7_SB_S5_SD_S8_SB_S5_SD_SB_S5_PS7_21rocsparse_index_base_SF_SF_SF_bbb
                                        ; -- End function
	.section	.AMDGPU.csdata,"",@progbits
; Kernel info:
; codeLenInByte = 4868
; NumSgprs: 76
; NumVgprs: 20
; ScratchSize: 0
; MemoryBound: 0
; FloatMode: 240
; IeeeMode: 1
; LDSByteSize: 0 bytes/workgroup (compile time only)
; SGPRBlocks: 9
; VGPRBlocks: 2
; NumSGPRsForWavesPerEU: 76
; NumVGPRsForWavesPerEU: 20
; Occupancy: 16
; WaveLimiterHint : 1
; COMPUTE_PGM_RSRC2:SCRATCH_EN: 0
; COMPUTE_PGM_RSRC2:USER_SGPR: 15
; COMPUTE_PGM_RSRC2:TRAP_HANDLER: 0
; COMPUTE_PGM_RSRC2:TGID_X_EN: 1
; COMPUTE_PGM_RSRC2:TGID_Y_EN: 0
; COMPUTE_PGM_RSRC2:TGID_Z_EN: 0
; COMPUTE_PGM_RSRC2:TIDIG_COMP_CNT: 0
	.section	.text._ZN9rocsparseL41csrgemm_numeric_fill_block_per_row_kernelILj1024ELj64ELj16384ELj137ELj64Eli21rocsparse_complex_numIfEEEvT5_PKS3_S5_NS_24const_host_device_scalarIT6_EEPKT4_S5_PKS7_SB_S5_SD_S8_SB_S5_SD_SB_S5_PS7_21rocsparse_index_base_SF_SF_SF_bbb,"axG",@progbits,_ZN9rocsparseL41csrgemm_numeric_fill_block_per_row_kernelILj1024ELj64ELj16384ELj137ELj64Eli21rocsparse_complex_numIfEEEvT5_PKS3_S5_NS_24const_host_device_scalarIT6_EEPKT4_S5_PKS7_SB_S5_SD_S8_SB_S5_SD_SB_S5_PS7_21rocsparse_index_base_SF_SF_SF_bbb,comdat
	.globl	_ZN9rocsparseL41csrgemm_numeric_fill_block_per_row_kernelILj1024ELj64ELj16384ELj137ELj64Eli21rocsparse_complex_numIfEEEvT5_PKS3_S5_NS_24const_host_device_scalarIT6_EEPKT4_S5_PKS7_SB_S5_SD_S8_SB_S5_SD_SB_S5_PS7_21rocsparse_index_base_SF_SF_SF_bbb ; -- Begin function _ZN9rocsparseL41csrgemm_numeric_fill_block_per_row_kernelILj1024ELj64ELj16384ELj137ELj64Eli21rocsparse_complex_numIfEEEvT5_PKS3_S5_NS_24const_host_device_scalarIT6_EEPKT4_S5_PKS7_SB_S5_SD_S8_SB_S5_SD_SB_S5_PS7_21rocsparse_index_base_SF_SF_SF_bbb
	.p2align	8
	.type	_ZN9rocsparseL41csrgemm_numeric_fill_block_per_row_kernelILj1024ELj64ELj16384ELj137ELj64Eli21rocsparse_complex_numIfEEEvT5_PKS3_S5_NS_24const_host_device_scalarIT6_EEPKT4_S5_PKS7_SB_S5_SD_S8_SB_S5_SD_SB_S5_PS7_21rocsparse_index_base_SF_SF_SF_bbb,@function
_ZN9rocsparseL41csrgemm_numeric_fill_block_per_row_kernelILj1024ELj64ELj16384ELj137ELj64Eli21rocsparse_complex_numIfEEEvT5_PKS3_S5_NS_24const_host_device_scalarIT6_EEPKT4_S5_PKS7_SB_S5_SD_S8_SB_S5_SD_SB_S5_PS7_21rocsparse_index_base_SF_SF_SF_bbb: ; @_ZN9rocsparseL41csrgemm_numeric_fill_block_per_row_kernelILj1024ELj64ELj16384ELj137ELj64Eli21rocsparse_complex_numIfEEEvT5_PKS3_S5_NS_24const_host_device_scalarIT6_EEPKT4_S5_PKS7_SB_S5_SD_S8_SB_S5_SD_SB_S5_PS7_21rocsparse_index_base_SF_SF_SF_bbb
; %bb.0:
	s_clause 0x7
	s_load_b32 s12, s[0:1], 0x98
	s_load_b64 s[40:41], s[0:1], 0x70
	s_load_b128 s[28:31], s[0:1], 0x60
	s_load_b256 s[4:11], s[0:1], 0x40
	s_load_b128 s[36:39], s[0:1], 0x8
	s_load_b256 s[16:23], s[0:1], 0x20
	s_load_b64 s[34:35], s[0:1], 0x80
	s_load_b128 s[24:27], s[0:1], 0x88
	s_mov_b32 s3, 0
	s_mov_b32 s13, 0
	s_waitcnt lgkmcnt(0)
	s_bitcmp1_b32 s12, 0
	s_cselect_b32 s42, -1, 0
	s_bitcmp1_b32 s12, 16
	s_cselect_b32 s2, -1, 0
	s_delay_alu instid0(SALU_CYCLE_1) | instskip(SKIP_2) | instid1(VALU_DEP_1)
	s_xor_b32 s14, s2, -1
	s_bitcmp0_b32 s12, 0
	v_cndmask_b32_e64 v1, 0, 1, s14
	v_cmp_ne_u32_e32 vcc_lo, 1, v1
	s_cbranch_scc1 .LBB215_5
; %bb.1:
	s_load_b64 s[2:3], s[0:1], 0x18
	s_and_b32 vcc_lo, exec_lo, vcc_lo
	s_waitcnt lgkmcnt(0)
	s_mov_b32 s13, s2
	s_cbranch_vccnz .LBB215_3
; %bb.2:
	s_load_b32 s13, s[2:3], 0x0
.LBB215_3:
	s_and_not1_b32 vcc_lo, exec_lo, s14
	s_cbranch_vccnz .LBB215_5
; %bb.4:
	s_load_b32 s3, s[2:3], 0x4
.LBB215_5:
	s_bitcmp1_b32 s12, 8
	s_cselect_b32 s14, -1, 0
	s_bfe_u32 s2, s12, 0x10008
	s_mov_b32 s12, 0
	s_cmp_eq_u32 s2, 0
	s_mov_b32 s2, 0
	s_cbranch_scc1 .LBB215_11
; %bb.6:
	v_cmp_ne_u32_e32 vcc_lo, 1, v1
	s_mov_b32 s2, s8
	s_cbranch_vccnz .LBB215_8
; %bb.7:
	s_load_b32 s2, s[8:9], 0x0
.LBB215_8:
	v_cmp_ne_u32_e32 vcc_lo, 1, v1
	s_cbranch_vccnz .LBB215_10
; %bb.9:
	s_load_b32 s9, s[8:9], 0x4
.LBB215_10:
	s_waitcnt lgkmcnt(0)
	s_mov_b32 s12, s9
.LBB215_11:
	s_load_b32 s33, s[0:1], 0x0
	v_lshlrev_b32_e32 v9, 3, v0
	v_lshl_add_u32 v7, v0, 2, 0
	v_or_b32_e32 v8, 0xfffffc00, v0
	v_mov_b32_e32 v1, 0
	s_mov_b32 s0, 0
	s_delay_alu instid0(VALU_DEP_3)
	v_mov_b32_e32 v3, v7
	s_waitcnt lgkmcnt(0)
	v_dual_mov_b32 v5, v8 :: v_dual_mov_b32 v4, s33
	v_add3_u32 v2, v9, 0, 0x10004
.LBB215_12:                             ; =>This Inner Loop Header: Depth=1
	s_delay_alu instid0(VALU_DEP_2)
	v_add_nc_u32_e32 v5, 0x400, v5
	ds_store_b32 v3, v4
	v_add_nc_u32_e32 v6, -4, v2
	v_add_nc_u32_e32 v2, 0x2000, v2
	v_add_nc_u32_e32 v3, 0x1000, v3
	v_cmp_lt_u32_e32 vcc_lo, 0x3bff, v5
	ds_store_2addr_b32 v6, v1, v1 offset1:1
	s_or_b32 s0, vcc_lo, s0
	s_delay_alu instid0(SALU_CYCLE_1)
	s_and_not1_b32 exec_lo, exec_lo, s0
	s_cbranch_execnz .LBB215_12
; %bb.13:
	s_or_b32 exec_lo, exec_lo, s0
	s_waitcnt lgkmcnt(0)
	s_barrier
	buffer_gl0_inv
	s_load_b32 s0, s[36:37], 0x0
	s_mov_b32 s1, 0
	v_lshrrev_b32_e32 v10, 6, v0
	s_waitcnt lgkmcnt(0)
	s_add_i32 s0, s0, s15
	s_delay_alu instid0(SALU_CYCLE_1) | instskip(NEXT) | instid1(SALU_CYCLE_1)
	s_lshl_b64 s[0:1], s[0:1], 2
	s_add_u32 s0, s38, s0
	s_addc_u32 s1, s39, s1
	s_and_b32 vcc_lo, exec_lo, s42
	s_load_b32 s36, s[0:1], 0x0
	s_cbranch_vccz .LBB215_33
; %bb.14:
	s_waitcnt lgkmcnt(0)
	s_ashr_i32 s37, s36, 31
	s_mov_b32 s8, exec_lo
	s_lshl_b64 s[0:1], s[36:37], 3
	s_delay_alu instid0(SALU_CYCLE_1) | instskip(SKIP_3) | instid1(VALU_DEP_1)
	s_add_u32 s0, s16, s0
	s_addc_u32 s1, s17, s1
	s_load_b128 s[44:47], s[0:1], 0x0
	v_sub_co_u32 v1, s0, v10, s24
	v_sub_co_ci_u32_e64 v2, null, 0, 0, s0
	s_waitcnt lgkmcnt(0)
	s_delay_alu instid0(VALU_DEP_2) | instskip(NEXT) | instid1(VALU_DEP_2)
	v_add_co_u32 v1, vcc_lo, s44, v1
	v_add_co_ci_u32_e32 v2, vcc_lo, s45, v2, vcc_lo
	s_sub_u32 s0, s46, s24
	s_subb_u32 s1, s47, 0
	s_delay_alu instid0(VALU_DEP_1) | instid1(SALU_CYCLE_1)
	v_cmpx_gt_i64_e64 s[0:1], v[1:2]
	s_cbranch_execz .LBB215_32
; %bb.15:
	v_and_b32_e32 v3, 63, v0
	s_mov_b32 s15, s25
	s_delay_alu instid0(VALU_DEP_1) | instskip(NEXT) | instid1(VALU_DEP_1)
	v_sub_co_u32 v11, s9, v3, s25
	v_sub_co_ci_u32_e64 v12, null, 0, 0, s9
	s_mov_b32 s9, 0
	s_branch .LBB215_17
.LBB215_16:                             ;   in Loop: Header=BB215_17 Depth=1
	s_or_b32 exec_lo, exec_lo, s16
	v_add_co_u32 v1, vcc_lo, v1, 16
	v_add_co_ci_u32_e32 v2, vcc_lo, 0, v2, vcc_lo
	s_delay_alu instid0(VALU_DEP_1) | instskip(SKIP_1) | instid1(SALU_CYCLE_1)
	v_cmp_le_i64_e32 vcc_lo, s[0:1], v[1:2]
	s_or_b32 s9, vcc_lo, s9
	s_and_not1_b32 exec_lo, exec_lo, s9
	s_cbranch_execz .LBB215_32
.LBB215_17:                             ; =>This Loop Header: Depth=1
                                        ;     Child Loop BB215_20 Depth 2
                                        ;       Child Loop BB215_22 Depth 3
	v_lshlrev_b64 v[3:4], 2, v[1:2]
	s_mov_b32 s16, exec_lo
	s_delay_alu instid0(VALU_DEP_1) | instskip(NEXT) | instid1(VALU_DEP_2)
	v_add_co_u32 v3, vcc_lo, s18, v3
	v_add_co_ci_u32_e32 v4, vcc_lo, s19, v4, vcc_lo
	global_load_b32 v3, v[3:4], off
	s_waitcnt vmcnt(0)
	v_subrev_nc_u32_e32 v3, s24, v3
	s_delay_alu instid0(VALU_DEP_1) | instskip(NEXT) | instid1(VALU_DEP_1)
	v_ashrrev_i32_e32 v4, 31, v3
	v_lshlrev_b64 v[3:4], 3, v[3:4]
	s_delay_alu instid0(VALU_DEP_1) | instskip(NEXT) | instid1(VALU_DEP_2)
	v_add_co_u32 v3, vcc_lo, s22, v3
	v_add_co_ci_u32_e32 v4, vcc_lo, s23, v4, vcc_lo
	global_load_b128 v[13:16], v[3:4], off
	s_waitcnt vmcnt(0)
	v_sub_co_u32 v3, vcc_lo, v15, s15
	v_subrev_co_ci_u32_e32 v4, vcc_lo, 0, v16, vcc_lo
	v_add_co_u32 v5, vcc_lo, v13, v11
	v_add_co_ci_u32_e32 v6, vcc_lo, v14, v12, vcc_lo
	s_delay_alu instid0(VALU_DEP_1)
	v_cmpx_lt_i64_e64 v[5:6], v[3:4]
	s_cbranch_execz .LBB215_16
; %bb.18:                               ;   in Loop: Header=BB215_17 Depth=1
	v_lshlrev_b64 v[13:14], 3, v[1:2]
	s_mov_b32 s17, 0
	s_delay_alu instid0(VALU_DEP_1) | instskip(NEXT) | instid1(VALU_DEP_2)
	v_add_co_u32 v13, vcc_lo, s20, v13
	v_add_co_ci_u32_e32 v14, vcc_lo, s21, v14, vcc_lo
	global_load_b64 v[15:16], v[13:14], off
	s_waitcnt vmcnt(0)
	v_mul_f32_e64 v13, v16, -s3
	s_delay_alu instid0(VALU_DEP_1) | instskip(NEXT) | instid1(VALU_DEP_1)
	v_dual_mul_f32 v14, s13, v16 :: v_dual_fmac_f32 v13, s13, v15
	v_fmac_f32_e32 v14, s3, v15
	s_branch .LBB215_20
.LBB215_19:                             ;   in Loop: Header=BB215_20 Depth=2
	s_or_b32 exec_lo, exec_lo, s37
	v_add_co_u32 v5, vcc_lo, v5, 64
	v_add_co_ci_u32_e32 v6, vcc_lo, 0, v6, vcc_lo
	s_delay_alu instid0(VALU_DEP_1) | instskip(SKIP_1) | instid1(SALU_CYCLE_1)
	v_cmp_ge_i64_e32 vcc_lo, v[5:6], v[3:4]
	s_or_b32 s17, vcc_lo, s17
	s_and_not1_b32 exec_lo, exec_lo, s17
	s_cbranch_execz .LBB215_16
.LBB215_20:                             ;   Parent Loop BB215_17 Depth=1
                                        ; =>  This Loop Header: Depth=2
                                        ;       Child Loop BB215_22 Depth 3
	v_lshlrev_b64 v[15:16], 2, v[5:6]
	v_lshlrev_b64 v[17:18], 3, v[5:6]
	s_mov_b32 s37, 0
	s_delay_alu instid0(VALU_DEP_2) | instskip(NEXT) | instid1(VALU_DEP_3)
	v_add_co_u32 v15, vcc_lo, s4, v15
	v_add_co_ci_u32_e32 v16, vcc_lo, s5, v16, vcc_lo
	global_load_b32 v20, v[15:16], off
	v_add_co_u32 v15, vcc_lo, s6, v17
	v_add_co_ci_u32_e32 v16, vcc_lo, s7, v18, vcc_lo
	global_load_b64 v[18:19], v[15:16], off
	s_waitcnt vmcnt(1)
	v_subrev_nc_u32_e32 v15, s25, v20
	s_delay_alu instid0(VALU_DEP_1) | instskip(SKIP_3) | instid1(VALU_DEP_2)
	v_mul_lo_u32 v20, 0x89, v15
	s_waitcnt vmcnt(0)
	v_mul_f32_e64 v16, v19, -v14
	v_mul_f32_e32 v17, v13, v19
	v_fmac_f32_e32 v16, v13, v18
	s_delay_alu instid0(VALU_DEP_2)
	v_dual_fmac_f32 v17, v14, v18 :: v_dual_and_b32 v18, 0x3fff, v20
	s_branch .LBB215_22
.LBB215_21:                             ;   in Loop: Header=BB215_22 Depth=3
	s_or_b32 exec_lo, exec_lo, s38
	s_xor_b32 s38, s39, -1
	s_delay_alu instid0(SALU_CYCLE_1) | instskip(NEXT) | instid1(SALU_CYCLE_1)
	s_and_b32 s38, exec_lo, s38
	s_or_b32 s37, s38, s37
	s_delay_alu instid0(SALU_CYCLE_1)
	s_and_not1_b32 exec_lo, exec_lo, s37
	s_cbranch_execz .LBB215_19
.LBB215_22:                             ;   Parent Loop BB215_17 Depth=1
                                        ;     Parent Loop BB215_20 Depth=2
                                        ; =>    This Inner Loop Header: Depth=3
	s_delay_alu instid0(VALU_DEP_1)
	v_lshl_add_u32 v19, v18, 2, 0
	s_mov_b32 s38, exec_lo
                                        ; implicit-def: $sgpr39
	ds_load_b32 v20, v19
	s_waitcnt lgkmcnt(0)
	v_cmpx_ne_u32_e64 v20, v15
	s_xor_b32 s38, exec_lo, s38
	s_cbranch_execz .LBB215_30
; %bb.23:                               ;   in Loop: Header=BB215_22 Depth=3
	s_mov_b32 s42, exec_lo
                                        ; implicit-def: $sgpr39
	v_cmpx_ne_u32_e64 s33, v20
	s_xor_b32 s42, exec_lo, s42
; %bb.24:                               ;   in Loop: Header=BB215_22 Depth=3
	v_add_nc_u32_e32 v18, 1, v18
	s_mov_b32 s39, -1
                                        ; implicit-def: $vgpr19
	s_delay_alu instid0(VALU_DEP_1)
	v_and_b32_e32 v18, 0x3fff, v18
; %bb.25:                               ;   in Loop: Header=BB215_22 Depth=3
	s_and_not1_saveexec_b32 s42, s42
	s_cbranch_execz .LBB215_29
; %bb.26:                               ;   in Loop: Header=BB215_22 Depth=3
	v_mov_b32_e32 v20, s33
	s_mov_b32 s44, -1
	s_mov_b32 s43, exec_lo
	ds_cmpstore_rtn_b32 v19, v19, v15, v20
	s_waitcnt lgkmcnt(0)
	v_cmpx_eq_u32_e64 s33, v19
	s_cbranch_execz .LBB215_28
; %bb.27:                               ;   in Loop: Header=BB215_22 Depth=3
	v_lshlrev_b32_e32 v19, 3, v18
	s_xor_b32 s44, exec_lo, -1
	s_delay_alu instid0(VALU_DEP_1)
	v_add3_u32 v19, 0, v19, 0x10000
	ds_add_f32 v19, v16
	ds_add_f32 v19, v17 offset:4
.LBB215_28:                             ;   in Loop: Header=BB215_22 Depth=3
	s_or_b32 exec_lo, exec_lo, s43
	s_delay_alu instid0(SALU_CYCLE_1) | instskip(SKIP_1) | instid1(SALU_CYCLE_1)
	s_and_not1_b32 s39, s39, exec_lo
	s_and_b32 s43, s44, exec_lo
	s_or_b32 s39, s39, s43
.LBB215_29:                             ;   in Loop: Header=BB215_22 Depth=3
	s_or_b32 exec_lo, exec_lo, s42
	s_delay_alu instid0(SALU_CYCLE_1)
	s_and_b32 s39, s39, exec_lo
.LBB215_30:                             ;   in Loop: Header=BB215_22 Depth=3
	s_and_not1_saveexec_b32 s38, s38
	s_cbranch_execz .LBB215_21
; %bb.31:                               ;   in Loop: Header=BB215_22 Depth=3
	v_lshlrev_b32_e32 v19, 3, v18
	s_and_not1_b32 s39, s39, exec_lo
	s_delay_alu instid0(VALU_DEP_1)
	v_add3_u32 v19, 0, v19, 0x10000
	ds_add_f32 v19, v16
	ds_add_f32 v19, v17 offset:4
	s_branch .LBB215_21
.LBB215_32:
	s_or_b32 exec_lo, exec_lo, s8
.LBB215_33:
	s_delay_alu instid0(SALU_CYCLE_1)
	s_and_not1_b32 vcc_lo, exec_lo, s14
	s_cbranch_vccnz .LBB215_36
; %bb.34:
	s_waitcnt lgkmcnt(0)
	s_ashr_i32 s37, s36, 31
	s_mov_b32 s3, exec_lo
	s_lshl_b64 s[0:1], s[36:37], 3
	s_delay_alu instid0(SALU_CYCLE_1) | instskip(SKIP_3) | instid1(VALU_DEP_1)
	s_add_u32 s0, s10, s0
	s_addc_u32 s1, s11, s1
	s_load_b128 s[4:7], s[0:1], 0x0
	v_sub_co_u32 v1, s0, v0, s27
	v_sub_co_ci_u32_e64 v2, null, 0, 0, s0
	s_waitcnt lgkmcnt(0)
	s_delay_alu instid0(VALU_DEP_2) | instskip(NEXT) | instid1(VALU_DEP_2)
	v_add_co_u32 v1, vcc_lo, s4, v1
	v_add_co_ci_u32_e32 v2, vcc_lo, s5, v2, vcc_lo
	s_sub_u32 s0, s6, s27
	s_subb_u32 s1, s7, 0
	s_mov_b32 s4, 0
	s_delay_alu instid0(VALU_DEP_1)
	v_cmpx_gt_i64_e64 s[0:1], v[1:2]
	s_cbranch_execnz .LBB215_73
.LBB215_35:
	s_or_b32 exec_lo, exec_lo, s3
.LBB215_36:
	v_mbcnt_lo_u32_b32 v1, -1, 0
	s_add_i32 s29, 0, 0x3003c
	v_lshlrev_b32_e32 v2, 2, v10
	v_add3_u32 v5, v9, 0, 0x10000
	v_mov_b32_e32 v9, s29
	v_xor_b32_e32 v1, 63, v1
	v_cmp_eq_u32_e32 vcc_lo, 0x3ff, v0
	v_add3_u32 v4, 0, 0x30000, v2
	v_cmp_lt_u32_e64 s0, 63, v0
	v_cmp_lt_u32_e64 s1, 0x7f, v0
	v_lshrrev_b64 v[1:2], v1, -1
	v_cmp_lt_u32_e64 s2, 0xbf, v0
	v_cmp_lt_u32_e64 s3, 0xff, v0
	;; [unrolled: 1-line block ×13, first 2 shown]
	v_mov_b32_e32 v6, 0
	s_mov_b32 s16, 0
	s_add_i32 s17, 0, 0x30000
	s_add_i32 s18, 0, 0x30004
	;; [unrolled: 1-line block ×15, first 2 shown]
	s_waitcnt lgkmcnt(0)
	s_barrier
	buffer_gl0_inv
	s_branch .LBB215_38
.LBB215_37:                             ;   in Loop: Header=BB215_38 Depth=1
	s_or_b32 exec_lo, exec_lo, s15
	s_waitcnt lgkmcnt(0)
	s_barrier
	buffer_gl0_inv
	ds_load_b32 v2, v9
	v_add_nc_u32_e32 v8, 0x400, v8
	v_add_nc_u32_e32 v5, 0x2000, v5
	v_add_nc_u32_e32 v7, 0x1000, v7
	s_delay_alu instid0(VALU_DEP_3) | instskip(NEXT) | instid1(VALU_DEP_1)
	v_cmp_lt_u32_e64 s15, 0x3bff, v8
	s_or_b32 s16, s15, s16
	s_waitcnt lgkmcnt(0)
	v_add_nc_u32_e32 v6, v2, v6
	s_and_not1_b32 exec_lo, exec_lo, s16
	s_cbranch_execz .LBB215_85
.LBB215_38:                             ; =>This Inner Loop Header: Depth=1
	ds_load_b32 v10, v7
	ds_load_2addr_b32 v[2:3], v5 offset1:1
	s_waitcnt lgkmcnt(0)
	s_barrier
	buffer_gl0_inv
	v_cmp_gt_i32_e64 s15, s33, v10
	s_delay_alu instid0(VALU_DEP_1) | instskip(NEXT) | instid1(SALU_CYCLE_1)
	s_bcnt1_i32_b32 s39, s15
	v_dual_mov_b32 v12, s39 :: v_dual_and_b32 v11, s15, v1
	s_delay_alu instid0(VALU_DEP_1)
	v_bcnt_u32_b32 v11, v11, 0
	ds_store_b32 v4, v12
	s_waitcnt lgkmcnt(0)
	s_barrier
	buffer_gl0_inv
	s_and_saveexec_b32 s39, s0
	s_cbranch_execnz .LBB215_55
; %bb.39:                               ;   in Loop: Header=BB215_38 Depth=1
	s_or_b32 exec_lo, exec_lo, s39
	s_and_saveexec_b32 s39, s1
	s_cbranch_execnz .LBB215_56
.LBB215_40:                             ;   in Loop: Header=BB215_38 Depth=1
	s_or_b32 exec_lo, exec_lo, s39
	s_and_saveexec_b32 s39, s2
	s_cbranch_execnz .LBB215_57
.LBB215_41:                             ;   in Loop: Header=BB215_38 Depth=1
	s_or_b32 exec_lo, exec_lo, s39
	s_and_saveexec_b32 s39, s3
	s_cbranch_execnz .LBB215_58
.LBB215_42:                             ;   in Loop: Header=BB215_38 Depth=1
	s_or_b32 exec_lo, exec_lo, s39
	s_and_saveexec_b32 s39, s4
	s_cbranch_execnz .LBB215_59
.LBB215_43:                             ;   in Loop: Header=BB215_38 Depth=1
	s_or_b32 exec_lo, exec_lo, s39
	s_and_saveexec_b32 s39, s5
	s_cbranch_execnz .LBB215_60
.LBB215_44:                             ;   in Loop: Header=BB215_38 Depth=1
	s_or_b32 exec_lo, exec_lo, s39
	s_and_saveexec_b32 s39, s6
	s_cbranch_execnz .LBB215_61
.LBB215_45:                             ;   in Loop: Header=BB215_38 Depth=1
	s_or_b32 exec_lo, exec_lo, s39
	s_and_saveexec_b32 s39, s7
	s_cbranch_execnz .LBB215_62
.LBB215_46:                             ;   in Loop: Header=BB215_38 Depth=1
	s_or_b32 exec_lo, exec_lo, s39
	s_and_saveexec_b32 s39, s8
	s_cbranch_execnz .LBB215_63
.LBB215_47:                             ;   in Loop: Header=BB215_38 Depth=1
	s_or_b32 exec_lo, exec_lo, s39
	s_and_saveexec_b32 s39, s9
	s_cbranch_execnz .LBB215_64
.LBB215_48:                             ;   in Loop: Header=BB215_38 Depth=1
	s_or_b32 exec_lo, exec_lo, s39
	s_and_saveexec_b32 s39, s10
	s_cbranch_execnz .LBB215_65
.LBB215_49:                             ;   in Loop: Header=BB215_38 Depth=1
	s_or_b32 exec_lo, exec_lo, s39
	s_and_saveexec_b32 s39, s11
	s_cbranch_execnz .LBB215_66
.LBB215_50:                             ;   in Loop: Header=BB215_38 Depth=1
	s_or_b32 exec_lo, exec_lo, s39
	s_and_saveexec_b32 s39, s12
	s_cbranch_execnz .LBB215_67
.LBB215_51:                             ;   in Loop: Header=BB215_38 Depth=1
	s_or_b32 exec_lo, exec_lo, s39
	s_and_saveexec_b32 s39, s13
	s_cbranch_execnz .LBB215_68
.LBB215_52:                             ;   in Loop: Header=BB215_38 Depth=1
	s_or_b32 exec_lo, exec_lo, s39
	s_and_saveexec_b32 s39, s14
	s_cbranch_execnz .LBB215_69
.LBB215_53:                             ;   in Loop: Header=BB215_38 Depth=1
	s_or_b32 exec_lo, exec_lo, s39
	s_and_saveexec_b32 s39, s15
	s_cbranch_execnz .LBB215_70
.LBB215_54:                             ;   in Loop: Header=BB215_38 Depth=1
	s_or_b32 exec_lo, exec_lo, s39
	s_and_saveexec_b32 s15, vcc_lo
	s_cbranch_execz .LBB215_37
	s_branch .LBB215_71
.LBB215_55:                             ;   in Loop: Header=BB215_38 Depth=1
	v_mov_b32_e32 v12, s17
	ds_load_b32 v12, v12
	s_waitcnt lgkmcnt(0)
	v_add_nc_u32_e32 v11, v12, v11
	s_or_b32 exec_lo, exec_lo, s39
	s_and_saveexec_b32 s39, s1
	s_cbranch_execz .LBB215_40
.LBB215_56:                             ;   in Loop: Header=BB215_38 Depth=1
	v_mov_b32_e32 v12, s18
	ds_load_b32 v12, v12
	s_waitcnt lgkmcnt(0)
	v_add_nc_u32_e32 v11, v12, v11
	s_or_b32 exec_lo, exec_lo, s39
	s_and_saveexec_b32 s39, s2
	s_cbranch_execz .LBB215_41
.LBB215_57:                             ;   in Loop: Header=BB215_38 Depth=1
	v_mov_b32_e32 v12, s19
	ds_load_b32 v12, v12
	s_waitcnt lgkmcnt(0)
	v_add_nc_u32_e32 v11, v12, v11
	s_or_b32 exec_lo, exec_lo, s39
	s_and_saveexec_b32 s39, s3
	s_cbranch_execz .LBB215_42
.LBB215_58:                             ;   in Loop: Header=BB215_38 Depth=1
	v_mov_b32_e32 v12, s20
	ds_load_b32 v12, v12
	s_waitcnt lgkmcnt(0)
	v_add_nc_u32_e32 v11, v12, v11
	s_or_b32 exec_lo, exec_lo, s39
	s_and_saveexec_b32 s39, s4
	s_cbranch_execz .LBB215_43
.LBB215_59:                             ;   in Loop: Header=BB215_38 Depth=1
	v_mov_b32_e32 v12, s21
	ds_load_b32 v12, v12
	s_waitcnt lgkmcnt(0)
	v_add_nc_u32_e32 v11, v12, v11
	s_or_b32 exec_lo, exec_lo, s39
	s_and_saveexec_b32 s39, s5
	s_cbranch_execz .LBB215_44
.LBB215_60:                             ;   in Loop: Header=BB215_38 Depth=1
	v_mov_b32_e32 v12, s22
	ds_load_b32 v12, v12
	s_waitcnt lgkmcnt(0)
	v_add_nc_u32_e32 v11, v12, v11
	s_or_b32 exec_lo, exec_lo, s39
	s_and_saveexec_b32 s39, s6
	s_cbranch_execz .LBB215_45
.LBB215_61:                             ;   in Loop: Header=BB215_38 Depth=1
	v_mov_b32_e32 v12, s23
	ds_load_b32 v12, v12
	s_waitcnt lgkmcnt(0)
	v_add_nc_u32_e32 v11, v12, v11
	s_or_b32 exec_lo, exec_lo, s39
	s_and_saveexec_b32 s39, s7
	s_cbranch_execz .LBB215_46
.LBB215_62:                             ;   in Loop: Header=BB215_38 Depth=1
	v_mov_b32_e32 v12, s24
	ds_load_b32 v12, v12
	s_waitcnt lgkmcnt(0)
	v_add_nc_u32_e32 v11, v12, v11
	s_or_b32 exec_lo, exec_lo, s39
	s_and_saveexec_b32 s39, s8
	s_cbranch_execz .LBB215_47
.LBB215_63:                             ;   in Loop: Header=BB215_38 Depth=1
	v_mov_b32_e32 v12, s25
	ds_load_b32 v12, v12
	s_waitcnt lgkmcnt(0)
	v_add_nc_u32_e32 v11, v12, v11
	s_or_b32 exec_lo, exec_lo, s39
	s_and_saveexec_b32 s39, s9
	s_cbranch_execz .LBB215_48
.LBB215_64:                             ;   in Loop: Header=BB215_38 Depth=1
	v_mov_b32_e32 v12, s27
	ds_load_b32 v12, v12
	s_waitcnt lgkmcnt(0)
	v_add_nc_u32_e32 v11, v12, v11
	s_or_b32 exec_lo, exec_lo, s39
	s_and_saveexec_b32 s39, s10
	s_cbranch_execz .LBB215_49
.LBB215_65:                             ;   in Loop: Header=BB215_38 Depth=1
	v_mov_b32_e32 v12, s28
	ds_load_b32 v12, v12
	s_waitcnt lgkmcnt(0)
	v_add_nc_u32_e32 v11, v12, v11
	s_or_b32 exec_lo, exec_lo, s39
	s_and_saveexec_b32 s39, s11
	s_cbranch_execz .LBB215_50
.LBB215_66:                             ;   in Loop: Header=BB215_38 Depth=1
	v_mov_b32_e32 v12, s30
	ds_load_b32 v12, v12
	s_waitcnt lgkmcnt(0)
	v_add_nc_u32_e32 v11, v12, v11
	s_or_b32 exec_lo, exec_lo, s39
	s_and_saveexec_b32 s39, s12
	s_cbranch_execz .LBB215_51
.LBB215_67:                             ;   in Loop: Header=BB215_38 Depth=1
	v_mov_b32_e32 v12, s31
	ds_load_b32 v12, v12
	s_waitcnt lgkmcnt(0)
	v_add_nc_u32_e32 v11, v12, v11
	s_or_b32 exec_lo, exec_lo, s39
	s_and_saveexec_b32 s39, s13
	s_cbranch_execz .LBB215_52
.LBB215_68:                             ;   in Loop: Header=BB215_38 Depth=1
	v_mov_b32_e32 v12, s37
	ds_load_b32 v12, v12
	s_waitcnt lgkmcnt(0)
	v_add_nc_u32_e32 v11, v12, v11
	s_or_b32 exec_lo, exec_lo, s39
	s_and_saveexec_b32 s39, s14
	s_cbranch_execz .LBB215_53
.LBB215_69:                             ;   in Loop: Header=BB215_38 Depth=1
	v_mov_b32_e32 v12, s38
	ds_load_b32 v12, v12
	s_waitcnt lgkmcnt(0)
	v_add_nc_u32_e32 v11, v12, v11
	s_or_b32 exec_lo, exec_lo, s39
	s_and_saveexec_b32 s39, s15
	s_cbranch_execz .LBB215_54
.LBB215_70:                             ;   in Loop: Header=BB215_38 Depth=1
	s_delay_alu instid0(VALU_DEP_1) | instskip(NEXT) | instid1(VALU_DEP_1)
	v_add3_u32 v12, v6, -1, v11
	v_lshlrev_b32_e32 v13, 3, v12
	v_lshl_add_u32 v12, v12, 2, 0
	s_delay_alu instid0(VALU_DEP_2)
	v_add3_u32 v13, 0, v13, 0x10000
	ds_store_b32 v12, v10
	ds_store_2addr_b32 v13, v2, v3 offset1:1
	s_or_b32 exec_lo, exec_lo, s39
	s_and_saveexec_b32 s15, vcc_lo
	s_cbranch_execz .LBB215_37
.LBB215_71:                             ;   in Loop: Header=BB215_38 Depth=1
	v_mov_b32_e32 v2, s29
	ds_store_b32 v2, v11
	s_branch .LBB215_37
.LBB215_72:                             ;   in Loop: Header=BB215_73 Depth=1
	s_or_b32 exec_lo, exec_lo, s5
	v_add_co_u32 v1, vcc_lo, 0x400, v1
	v_add_co_ci_u32_e32 v2, vcc_lo, 0, v2, vcc_lo
	s_delay_alu instid0(VALU_DEP_1) | instskip(SKIP_1) | instid1(SALU_CYCLE_1)
	v_cmp_le_i64_e32 vcc_lo, s[0:1], v[1:2]
	s_or_b32 s4, vcc_lo, s4
	s_and_not1_b32 exec_lo, exec_lo, s4
	s_cbranch_execz .LBB215_35
.LBB215_73:                             ; =>This Loop Header: Depth=1
                                        ;     Child Loop BB215_75 Depth 2
	v_lshlrev_b64 v[3:4], 2, v[1:2]
	v_lshlrev_b64 v[5:6], 3, v[1:2]
	s_mov_b32 s5, 0
	s_delay_alu instid0(VALU_DEP_2) | instskip(NEXT) | instid1(VALU_DEP_3)
	v_add_co_u32 v3, vcc_lo, s28, v3
	v_add_co_ci_u32_e32 v4, vcc_lo, s29, v4, vcc_lo
	global_load_b32 v13, v[3:4], off
	v_add_co_u32 v3, vcc_lo, s30, v5
	v_add_co_ci_u32_e32 v4, vcc_lo, s31, v6, vcc_lo
	global_load_b64 v[11:12], v[3:4], off
	s_waitcnt vmcnt(1)
	v_subrev_nc_u32_e32 v3, s27, v13
	s_delay_alu instid0(VALU_DEP_1) | instskip(SKIP_2) | instid1(VALU_DEP_1)
	v_mul_lo_u32 v6, 0x89, v3
	s_waitcnt vmcnt(0)
	v_mul_f32_e64 v4, v12, -s12
	v_dual_mul_f32 v5, s2, v12 :: v_dual_fmac_f32 v4, s2, v11
	s_delay_alu instid0(VALU_DEP_1)
	v_dual_fmac_f32 v5, s12, v11 :: v_dual_and_b32 v6, 0x3fff, v6
	s_branch .LBB215_75
.LBB215_74:                             ;   in Loop: Header=BB215_75 Depth=2
	s_or_b32 exec_lo, exec_lo, s6
	s_xor_b32 s6, s7, -1
	s_delay_alu instid0(SALU_CYCLE_1) | instskip(NEXT) | instid1(SALU_CYCLE_1)
	s_and_b32 s6, exec_lo, s6
	s_or_b32 s5, s6, s5
	s_delay_alu instid0(SALU_CYCLE_1)
	s_and_not1_b32 exec_lo, exec_lo, s5
	s_cbranch_execz .LBB215_72
.LBB215_75:                             ;   Parent Loop BB215_73 Depth=1
                                        ; =>  This Inner Loop Header: Depth=2
	s_delay_alu instid0(VALU_DEP_1)
	v_lshl_add_u32 v11, v6, 2, 0
	s_mov_b32 s6, exec_lo
                                        ; implicit-def: $sgpr7
	ds_load_b32 v12, v11
	s_waitcnt lgkmcnt(0)
	v_cmpx_ne_u32_e64 v12, v3
	s_xor_b32 s6, exec_lo, s6
	s_cbranch_execz .LBB215_83
; %bb.76:                               ;   in Loop: Header=BB215_75 Depth=2
	s_mov_b32 s8, exec_lo
                                        ; implicit-def: $sgpr7
	v_cmpx_ne_u32_e64 s33, v12
	s_xor_b32 s8, exec_lo, s8
; %bb.77:                               ;   in Loop: Header=BB215_75 Depth=2
	v_add_nc_u32_e32 v6, 1, v6
	s_mov_b32 s7, -1
                                        ; implicit-def: $vgpr11
	s_delay_alu instid0(VALU_DEP_1)
	v_and_b32_e32 v6, 0x3fff, v6
; %bb.78:                               ;   in Loop: Header=BB215_75 Depth=2
	s_and_not1_saveexec_b32 s8, s8
	s_cbranch_execz .LBB215_82
; %bb.79:                               ;   in Loop: Header=BB215_75 Depth=2
	v_mov_b32_e32 v12, s33
	s_mov_b32 s10, -1
	s_mov_b32 s9, exec_lo
	ds_cmpstore_rtn_b32 v11, v11, v3, v12
	s_waitcnt lgkmcnt(0)
	v_cmpx_eq_u32_e64 s33, v11
	s_cbranch_execz .LBB215_81
; %bb.80:                               ;   in Loop: Header=BB215_75 Depth=2
	v_lshlrev_b32_e32 v11, 3, v6
	s_xor_b32 s10, exec_lo, -1
	s_delay_alu instid0(VALU_DEP_1)
	v_add3_u32 v11, 0, v11, 0x10000
	ds_add_f32 v11, v4
	ds_add_f32 v11, v5 offset:4
.LBB215_81:                             ;   in Loop: Header=BB215_75 Depth=2
	s_or_b32 exec_lo, exec_lo, s9
	s_delay_alu instid0(SALU_CYCLE_1) | instskip(SKIP_1) | instid1(SALU_CYCLE_1)
	s_and_not1_b32 s7, s7, exec_lo
	s_and_b32 s9, s10, exec_lo
	s_or_b32 s7, s7, s9
.LBB215_82:                             ;   in Loop: Header=BB215_75 Depth=2
	s_or_b32 exec_lo, exec_lo, s8
	s_delay_alu instid0(SALU_CYCLE_1)
	s_and_b32 s7, s7, exec_lo
.LBB215_83:                             ;   in Loop: Header=BB215_75 Depth=2
	s_and_not1_saveexec_b32 s6, s6
	s_cbranch_execz .LBB215_74
; %bb.84:                               ;   in Loop: Header=BB215_75 Depth=2
	v_lshlrev_b32_e32 v11, 3, v6
	s_and_not1_b32 s7, s7, exec_lo
	s_delay_alu instid0(VALU_DEP_1)
	v_add3_u32 v11, 0, v11, 0x10000
	ds_add_f32 v11, v4
	ds_add_f32 v11, v5 offset:4
	s_branch .LBB215_74
.LBB215_85:
	s_or_b32 exec_lo, exec_lo, s16
	s_ashr_i32 s37, s36, 31
	s_mov_b32 s4, exec_lo
	s_lshl_b64 s[0:1], s[36:37], 3
	s_delay_alu instid0(SALU_CYCLE_1) | instskip(SKIP_4) | instid1(SALU_CYCLE_1)
	s_add_u32 s0, s40, s0
	s_addc_u32 s1, s41, s1
	s_load_b128 s[0:3], s[0:1], 0x0
	s_waitcnt lgkmcnt(0)
	s_sub_i32 s3, s2, s0
	v_cmpx_gt_i32_e64 s3, v0
	s_cbranch_execz .LBB215_95
; %bb.86:
	s_sub_u32 s4, s0, s26
	s_subb_u32 s5, s1, 0
	s_sub_i32 s0, s0, s2
	s_and_b32 s1, s3, 7
	s_cmp_lt_u32 s0, -7
	s_mov_b32 s8, 0
	s_cselect_b32 s2, -1, 0
	s_and_b32 s6, s3, -8
	s_cmp_lg_u32 s1, 0
	s_cselect_b32 s7, -1, 0
	s_branch .LBB215_88
.LBB215_87:                             ;   in Loop: Header=BB215_88 Depth=1
	s_delay_alu instid0(VALU_DEP_1) | instskip(SKIP_1) | instid1(VALU_DEP_1)
	v_lshlrev_b64 v[3:4], 3, v[3:4]
	v_add_nc_u32_e32 v0, 0x400, v0
	v_cmp_le_i32_e32 vcc_lo, s3, v0
	s_delay_alu instid0(VALU_DEP_3) | instskip(NEXT) | instid1(VALU_DEP_1)
	v_add_co_u32 v3, s0, s34, v3
	v_add_co_ci_u32_e64 v4, s0, s35, v4, s0
	s_or_b32 s8, vcc_lo, s8
	s_waitcnt lgkmcnt(0)
	global_store_b64 v[3:4], v[1:2], off
	s_and_not1_b32 exec_lo, exec_lo, s8
	s_cbranch_execz .LBB215_95
.LBB215_88:                             ; =>This Loop Header: Depth=1
                                        ;     Child Loop BB215_90 Depth 2
                                        ;     Child Loop BB215_94 Depth 2
	v_lshlrev_b32_e32 v1, 3, v0
	v_lshl_add_u32 v2, v0, 2, 0
	v_dual_mov_b32 v3, s4 :: v_dual_mov_b32 v4, s5
	s_and_not1_b32 vcc_lo, exec_lo, s2
	s_delay_alu instid0(VALU_DEP_3)
	v_add3_u32 v1, 0, v1, 0x10000
	s_mov_b32 s0, 0
	ds_load_b32 v5, v2
	ds_load_2addr_b32 v[1:2], v1 offset1:1
	s_cbranch_vccnz .LBB215_92
; %bb.89:                               ;   in Loop: Header=BB215_88 Depth=1
	v_dual_mov_b32 v3, s4 :: v_dual_mov_b32 v4, s5
	s_mov_b32 s9, 0
	s_mov_b32 s10, 0
.LBB215_90:                             ;   Parent Loop BB215_88 Depth=1
                                        ; =>  This Inner Loop Header: Depth=2
	s_delay_alu instid0(SALU_CYCLE_1)
	v_mov_b32_e32 v12, s10
	s_add_i32 s9, s9, 8
	s_add_i32 s10, s10, 32
	s_cmp_eq_u32 s6, s9
	ds_load_2addr_b32 v[6:7], v12 offset1:1
	ds_load_2addr_b32 v[8:9], v12 offset0:2 offset1:3
	ds_load_2addr_b32 v[10:11], v12 offset0:4 offset1:5
	;; [unrolled: 1-line block ×3, first 2 shown]
	s_waitcnt lgkmcnt(3)
	v_cmp_gt_i32_e32 vcc_lo, v5, v6
	v_cndmask_b32_e64 v6, 0, 1, vcc_lo
	v_cmp_gt_i32_e32 vcc_lo, v5, v7
	v_cndmask_b32_e64 v7, 0, 1, vcc_lo
	s_waitcnt lgkmcnt(2)
	v_cmp_gt_i32_e32 vcc_lo, v5, v8
	v_cndmask_b32_e64 v8, 0, 1, vcc_lo
	v_cmp_gt_i32_e32 vcc_lo, v5, v9
	v_cndmask_b32_e64 v9, 0, 1, vcc_lo
	s_waitcnt lgkmcnt(1)
	v_cmp_gt_i32_e32 vcc_lo, v5, v10
	v_cndmask_b32_e64 v10, 0, 1, vcc_lo
	v_add_co_u32 v3, vcc_lo, v3, v6
	v_add_co_ci_u32_e32 v4, vcc_lo, 0, v4, vcc_lo
	v_cmp_gt_i32_e32 vcc_lo, v5, v11
	s_delay_alu instid0(VALU_DEP_3) | instskip(NEXT) | instid1(VALU_DEP_1)
	v_add_co_u32 v3, s0, v3, v7
	v_add_co_ci_u32_e64 v4, s0, 0, v4, s0
	v_cndmask_b32_e64 v6, 0, 1, vcc_lo
	s_delay_alu instid0(VALU_DEP_3) | instskip(NEXT) | instid1(VALU_DEP_3)
	v_add_co_u32 v3, vcc_lo, v3, v8
	v_add_co_ci_u32_e32 v4, vcc_lo, 0, v4, vcc_lo
	s_waitcnt lgkmcnt(0)
	v_cmp_gt_i32_e32 vcc_lo, v5, v12
	s_delay_alu instid0(VALU_DEP_3) | instskip(NEXT) | instid1(VALU_DEP_1)
	v_add_co_u32 v3, s0, v3, v9
	v_add_co_ci_u32_e64 v4, s0, 0, v4, s0
	v_cndmask_b32_e64 v7, 0, 1, vcc_lo
	s_delay_alu instid0(VALU_DEP_3) | instskip(NEXT) | instid1(VALU_DEP_3)
	v_add_co_u32 v3, vcc_lo, v3, v10
	v_add_co_ci_u32_e32 v4, vcc_lo, 0, v4, vcc_lo
	v_cmp_gt_i32_e32 vcc_lo, v5, v13
	s_delay_alu instid0(VALU_DEP_3) | instskip(NEXT) | instid1(VALU_DEP_1)
	v_add_co_u32 v3, s0, v3, v6
	v_add_co_ci_u32_e64 v4, s0, 0, v4, s0
	v_cndmask_b32_e64 v6, 0, 1, vcc_lo
	s_delay_alu instid0(VALU_DEP_3) | instskip(NEXT) | instid1(VALU_DEP_3)
	v_add_co_u32 v3, vcc_lo, v3, v7
	v_add_co_ci_u32_e32 v4, vcc_lo, 0, v4, vcc_lo
	s_delay_alu instid0(VALU_DEP_2) | instskip(NEXT) | instid1(VALU_DEP_2)
	v_add_co_u32 v3, vcc_lo, v3, v6
	v_add_co_ci_u32_e32 v4, vcc_lo, 0, v4, vcc_lo
	s_cbranch_scc0 .LBB215_90
; %bb.91:                               ;   in Loop: Header=BB215_88 Depth=1
	s_mov_b32 s0, s6
.LBB215_92:                             ;   in Loop: Header=BB215_88 Depth=1
	s_and_not1_b32 vcc_lo, exec_lo, s7
	s_cbranch_vccnz .LBB215_87
; %bb.93:                               ;   in Loop: Header=BB215_88 Depth=1
	s_lshl_b32 s0, s0, 2
	s_mov_b32 s9, s1
	s_add_i32 s0, s0, 0
.LBB215_94:                             ;   Parent Loop BB215_88 Depth=1
                                        ; =>  This Inner Loop Header: Depth=2
	s_delay_alu instid0(SALU_CYCLE_1)
	v_mov_b32_e32 v6, s0
	s_add_i32 s9, s9, -1
	s_add_i32 s0, s0, 4
	s_cmp_lg_u32 s9, 0
	ds_load_b32 v6, v6
	s_waitcnt lgkmcnt(0)
	v_cmp_gt_i32_e32 vcc_lo, v5, v6
	v_cndmask_b32_e64 v6, 0, 1, vcc_lo
	s_delay_alu instid0(VALU_DEP_1)
	v_add_co_u32 v3, vcc_lo, v3, v6
	v_add_co_ci_u32_e32 v4, vcc_lo, 0, v4, vcc_lo
	s_cbranch_scc1 .LBB215_94
	s_branch .LBB215_87
.LBB215_95:
	s_nop 0
	s_sendmsg sendmsg(MSG_DEALLOC_VGPRS)
	s_endpgm
	.section	.rodata,"a",@progbits
	.p2align	6, 0x0
	.amdhsa_kernel _ZN9rocsparseL41csrgemm_numeric_fill_block_per_row_kernelILj1024ELj64ELj16384ELj137ELj64Eli21rocsparse_complex_numIfEEEvT5_PKS3_S5_NS_24const_host_device_scalarIT6_EEPKT4_S5_PKS7_SB_S5_SD_S8_SB_S5_SD_SB_S5_PS7_21rocsparse_index_base_SF_SF_SF_bbb
		.amdhsa_group_segment_fixed_size 0
		.amdhsa_private_segment_fixed_size 0
		.amdhsa_kernarg_size 156
		.amdhsa_user_sgpr_count 15
		.amdhsa_user_sgpr_dispatch_ptr 0
		.amdhsa_user_sgpr_queue_ptr 0
		.amdhsa_user_sgpr_kernarg_segment_ptr 1
		.amdhsa_user_sgpr_dispatch_id 0
		.amdhsa_user_sgpr_private_segment_size 0
		.amdhsa_wavefront_size32 1
		.amdhsa_uses_dynamic_stack 0
		.amdhsa_enable_private_segment 0
		.amdhsa_system_sgpr_workgroup_id_x 1
		.amdhsa_system_sgpr_workgroup_id_y 0
		.amdhsa_system_sgpr_workgroup_id_z 0
		.amdhsa_system_sgpr_workgroup_info 0
		.amdhsa_system_vgpr_workitem_id 0
		.amdhsa_next_free_vgpr 21
		.amdhsa_next_free_sgpr 48
		.amdhsa_reserve_vcc 1
		.amdhsa_float_round_mode_32 0
		.amdhsa_float_round_mode_16_64 0
		.amdhsa_float_denorm_mode_32 3
		.amdhsa_float_denorm_mode_16_64 3
		.amdhsa_dx10_clamp 1
		.amdhsa_ieee_mode 1
		.amdhsa_fp16_overflow 0
		.amdhsa_workgroup_processor_mode 1
		.amdhsa_memory_ordered 1
		.amdhsa_forward_progress 0
		.amdhsa_shared_vgpr_count 0
		.amdhsa_exception_fp_ieee_invalid_op 0
		.amdhsa_exception_fp_denorm_src 0
		.amdhsa_exception_fp_ieee_div_zero 0
		.amdhsa_exception_fp_ieee_overflow 0
		.amdhsa_exception_fp_ieee_underflow 0
		.amdhsa_exception_fp_ieee_inexact 0
		.amdhsa_exception_int_div_zero 0
	.end_amdhsa_kernel
	.section	.text._ZN9rocsparseL41csrgemm_numeric_fill_block_per_row_kernelILj1024ELj64ELj16384ELj137ELj64Eli21rocsparse_complex_numIfEEEvT5_PKS3_S5_NS_24const_host_device_scalarIT6_EEPKT4_S5_PKS7_SB_S5_SD_S8_SB_S5_SD_SB_S5_PS7_21rocsparse_index_base_SF_SF_SF_bbb,"axG",@progbits,_ZN9rocsparseL41csrgemm_numeric_fill_block_per_row_kernelILj1024ELj64ELj16384ELj137ELj64Eli21rocsparse_complex_numIfEEEvT5_PKS3_S5_NS_24const_host_device_scalarIT6_EEPKT4_S5_PKS7_SB_S5_SD_S8_SB_S5_SD_SB_S5_PS7_21rocsparse_index_base_SF_SF_SF_bbb,comdat
.Lfunc_end215:
	.size	_ZN9rocsparseL41csrgemm_numeric_fill_block_per_row_kernelILj1024ELj64ELj16384ELj137ELj64Eli21rocsparse_complex_numIfEEEvT5_PKS3_S5_NS_24const_host_device_scalarIT6_EEPKT4_S5_PKS7_SB_S5_SD_S8_SB_S5_SD_SB_S5_PS7_21rocsparse_index_base_SF_SF_SF_bbb, .Lfunc_end215-_ZN9rocsparseL41csrgemm_numeric_fill_block_per_row_kernelILj1024ELj64ELj16384ELj137ELj64Eli21rocsparse_complex_numIfEEEvT5_PKS3_S5_NS_24const_host_device_scalarIT6_EEPKT4_S5_PKS7_SB_S5_SD_S8_SB_S5_SD_SB_S5_PS7_21rocsparse_index_base_SF_SF_SF_bbb
                                        ; -- End function
	.section	.AMDGPU.csdata,"",@progbits
; Kernel info:
; codeLenInByte = 3836
; NumSgprs: 50
; NumVgprs: 21
; ScratchSize: 0
; MemoryBound: 0
; FloatMode: 240
; IeeeMode: 1
; LDSByteSize: 0 bytes/workgroup (compile time only)
; SGPRBlocks: 6
; VGPRBlocks: 2
; NumSGPRsForWavesPerEU: 50
; NumVGPRsForWavesPerEU: 21
; Occupancy: 16
; WaveLimiterHint : 1
; COMPUTE_PGM_RSRC2:SCRATCH_EN: 0
; COMPUTE_PGM_RSRC2:USER_SGPR: 15
; COMPUTE_PGM_RSRC2:TRAP_HANDLER: 0
; COMPUTE_PGM_RSRC2:TGID_X_EN: 1
; COMPUTE_PGM_RSRC2:TGID_Y_EN: 0
; COMPUTE_PGM_RSRC2:TGID_Z_EN: 0
; COMPUTE_PGM_RSRC2:TIDIG_COMP_CNT: 0
	.section	.text._ZN9rocsparseL41csrgemm_numeric_fill_block_per_row_kernelILj1024ELj64ELj32768ELj137ELj32Eli21rocsparse_complex_numIfEEEvT5_PKS3_S5_NS_24const_host_device_scalarIT6_EEPKT4_S5_PKS7_SB_S5_SD_S8_SB_S5_SD_SB_S5_PS7_21rocsparse_index_base_SF_SF_SF_bbb,"axG",@progbits,_ZN9rocsparseL41csrgemm_numeric_fill_block_per_row_kernelILj1024ELj64ELj32768ELj137ELj32Eli21rocsparse_complex_numIfEEEvT5_PKS3_S5_NS_24const_host_device_scalarIT6_EEPKT4_S5_PKS7_SB_S5_SD_S8_SB_S5_SD_SB_S5_PS7_21rocsparse_index_base_SF_SF_SF_bbb,comdat
	.globl	_ZN9rocsparseL41csrgemm_numeric_fill_block_per_row_kernelILj1024ELj64ELj32768ELj137ELj32Eli21rocsparse_complex_numIfEEEvT5_PKS3_S5_NS_24const_host_device_scalarIT6_EEPKT4_S5_PKS7_SB_S5_SD_S8_SB_S5_SD_SB_S5_PS7_21rocsparse_index_base_SF_SF_SF_bbb ; -- Begin function _ZN9rocsparseL41csrgemm_numeric_fill_block_per_row_kernelILj1024ELj64ELj32768ELj137ELj32Eli21rocsparse_complex_numIfEEEvT5_PKS3_S5_NS_24const_host_device_scalarIT6_EEPKT4_S5_PKS7_SB_S5_SD_S8_SB_S5_SD_SB_S5_PS7_21rocsparse_index_base_SF_SF_SF_bbb
	.p2align	8
	.type	_ZN9rocsparseL41csrgemm_numeric_fill_block_per_row_kernelILj1024ELj64ELj32768ELj137ELj32Eli21rocsparse_complex_numIfEEEvT5_PKS3_S5_NS_24const_host_device_scalarIT6_EEPKT4_S5_PKS7_SB_S5_SD_S8_SB_S5_SD_SB_S5_PS7_21rocsparse_index_base_SF_SF_SF_bbb,@function
_ZN9rocsparseL41csrgemm_numeric_fill_block_per_row_kernelILj1024ELj64ELj32768ELj137ELj32Eli21rocsparse_complex_numIfEEEvT5_PKS3_S5_NS_24const_host_device_scalarIT6_EEPKT4_S5_PKS7_SB_S5_SD_S8_SB_S5_SD_SB_S5_PS7_21rocsparse_index_base_SF_SF_SF_bbb: ; @_ZN9rocsparseL41csrgemm_numeric_fill_block_per_row_kernelILj1024ELj64ELj32768ELj137ELj32Eli21rocsparse_complex_numIfEEEvT5_PKS3_S5_NS_24const_host_device_scalarIT6_EEPKT4_S5_PKS7_SB_S5_SD_S8_SB_S5_SD_SB_S5_PS7_21rocsparse_index_base_SF_SF_SF_bbb
; %bb.0:
	s_clause 0x7
	s_load_b32 s12, s[0:1], 0x98
	s_load_b64 s[40:41], s[0:1], 0x70
	s_load_b128 s[24:27], s[0:1], 0x60
	s_load_b256 s[4:11], s[0:1], 0x40
	s_load_b128 s[28:31], s[0:1], 0x8
	s_load_b256 s[16:23], s[0:1], 0x20
	s_load_b64 s[34:35], s[0:1], 0x80
	s_load_b128 s[36:39], s[0:1], 0x88
	s_mov_b32 s3, 0
	s_mov_b32 s13, 0
	s_waitcnt lgkmcnt(0)
	s_bitcmp1_b32 s12, 0
	s_cselect_b32 s43, -1, 0
	s_bitcmp1_b32 s12, 16
	s_cselect_b32 s2, -1, 0
	s_delay_alu instid0(SALU_CYCLE_1) | instskip(SKIP_2) | instid1(VALU_DEP_1)
	s_xor_b32 s14, s2, -1
	s_bitcmp0_b32 s12, 0
	v_cndmask_b32_e64 v1, 0, 1, s14
	v_cmp_ne_u32_e32 vcc_lo, 1, v1
	s_cbranch_scc1 .LBB216_5
; %bb.1:
	s_load_b64 s[2:3], s[0:1], 0x18
	s_and_b32 vcc_lo, exec_lo, vcc_lo
	s_waitcnt lgkmcnt(0)
	s_mov_b32 s13, s2
	s_cbranch_vccnz .LBB216_3
; %bb.2:
	s_load_b32 s13, s[2:3], 0x0
.LBB216_3:
	s_and_not1_b32 vcc_lo, exec_lo, s14
	s_cbranch_vccnz .LBB216_5
; %bb.4:
	s_load_b32 s3, s[2:3], 0x4
.LBB216_5:
	s_bitcmp1_b32 s12, 8
	s_cselect_b32 s14, -1, 0
	s_bfe_u32 s2, s12, 0x10008
	s_mov_b32 s12, 0
	s_cmp_eq_u32 s2, 0
	s_mov_b32 s2, 0
	s_cbranch_scc1 .LBB216_11
; %bb.6:
	v_cmp_ne_u32_e32 vcc_lo, 1, v1
	s_mov_b32 s2, s8
	s_cbranch_vccnz .LBB216_8
; %bb.7:
	s_load_b32 s2, s[8:9], 0x0
.LBB216_8:
	v_cmp_ne_u32_e32 vcc_lo, 1, v1
	s_cbranch_vccnz .LBB216_10
; %bb.9:
	s_load_b32 s9, s[8:9], 0x4
.LBB216_10:
	s_waitcnt lgkmcnt(0)
	s_mov_b32 s12, s9
.LBB216_11:
	s_load_b32 s33, s[0:1], 0x0
	v_lshlrev_b32_e32 v9, 3, v0
	v_lshl_add_u32 v7, v0, 2, 0
	v_or_b32_e32 v8, 0xfffffc00, v0
	v_mov_b32_e32 v1, 0
	s_mov_b32 s0, 0
	s_delay_alu instid0(VALU_DEP_3)
	v_mov_b32_e32 v3, v7
	s_waitcnt lgkmcnt(0)
	v_dual_mov_b32 v5, v8 :: v_dual_mov_b32 v4, s33
	v_add3_u32 v2, v9, 0, 0x20004
.LBB216_12:                             ; =>This Inner Loop Header: Depth=1
	s_delay_alu instid0(VALU_DEP_2)
	v_add_nc_u32_e32 v5, 0x400, v5
	ds_store_b32 v3, v4
	v_add_nc_u32_e32 v6, -4, v2
	v_add_nc_u32_e32 v2, 0x2000, v2
	v_add_nc_u32_e32 v3, 0x1000, v3
	v_cmp_lt_u32_e32 vcc_lo, 0x7bff, v5
	ds_store_2addr_b32 v6, v1, v1 offset1:1
	s_or_b32 s0, vcc_lo, s0
	s_delay_alu instid0(SALU_CYCLE_1)
	s_and_not1_b32 exec_lo, exec_lo, s0
	s_cbranch_execnz .LBB216_12
; %bb.13:
	s_or_b32 exec_lo, exec_lo, s0
	s_waitcnt lgkmcnt(0)
	s_barrier
	buffer_gl0_inv
	s_load_b32 s0, s[28:29], 0x0
	s_mov_b32 s1, 0
	s_waitcnt lgkmcnt(0)
	s_add_i32 s0, s0, s15
	s_delay_alu instid0(SALU_CYCLE_1) | instskip(NEXT) | instid1(SALU_CYCLE_1)
	s_lshl_b64 s[0:1], s[0:1], 2
	s_add_u32 s0, s30, s0
	s_addc_u32 s1, s31, s1
	s_and_b32 vcc_lo, exec_lo, s43
	s_load_b32 s42, s[0:1], 0x0
	s_cbranch_vccz .LBB216_33
; %bb.14:
	s_waitcnt lgkmcnt(0)
	s_ashr_i32 s43, s42, 31
	v_lshrrev_b32_e32 v1, 6, v0
	s_lshl_b64 s[0:1], s[42:43], 3
	s_mov_b32 s8, exec_lo
	s_add_u32 s0, s16, s0
	s_addc_u32 s1, s17, s1
	s_load_b128 s[28:31], s[0:1], 0x0
	v_sub_co_u32 v1, s0, v1, s36
	s_delay_alu instid0(VALU_DEP_1) | instskip(SKIP_1) | instid1(VALU_DEP_2)
	v_sub_co_ci_u32_e64 v2, null, 0, 0, s0
	s_waitcnt lgkmcnt(0)
	v_add_co_u32 v1, vcc_lo, s28, v1
	s_delay_alu instid0(VALU_DEP_2)
	v_add_co_ci_u32_e32 v2, vcc_lo, s29, v2, vcc_lo
	s_sub_u32 s0, s30, s36
	s_subb_u32 s1, s31, 0
	s_delay_alu instid0(VALU_DEP_1) | instid1(SALU_CYCLE_1)
	v_cmpx_gt_i64_e64 s[0:1], v[1:2]
	s_cbranch_execz .LBB216_32
; %bb.15:
	v_and_b32_e32 v3, 63, v0
	s_mov_b32 s15, s37
	s_delay_alu instid0(VALU_DEP_1) | instskip(NEXT) | instid1(VALU_DEP_1)
	v_sub_co_u32 v10, s9, v3, s37
	v_sub_co_ci_u32_e64 v11, null, 0, 0, s9
	s_mov_b32 s9, 0
	s_branch .LBB216_17
.LBB216_16:                             ;   in Loop: Header=BB216_17 Depth=1
	s_or_b32 exec_lo, exec_lo, s16
	v_add_co_u32 v1, vcc_lo, v1, 16
	v_add_co_ci_u32_e32 v2, vcc_lo, 0, v2, vcc_lo
	s_delay_alu instid0(VALU_DEP_1) | instskip(SKIP_1) | instid1(SALU_CYCLE_1)
	v_cmp_le_i64_e32 vcc_lo, s[0:1], v[1:2]
	s_or_b32 s9, vcc_lo, s9
	s_and_not1_b32 exec_lo, exec_lo, s9
	s_cbranch_execz .LBB216_32
.LBB216_17:                             ; =>This Loop Header: Depth=1
                                        ;     Child Loop BB216_20 Depth 2
                                        ;       Child Loop BB216_22 Depth 3
	v_lshlrev_b64 v[3:4], 2, v[1:2]
	s_mov_b32 s16, exec_lo
	s_delay_alu instid0(VALU_DEP_1) | instskip(NEXT) | instid1(VALU_DEP_2)
	v_add_co_u32 v3, vcc_lo, s18, v3
	v_add_co_ci_u32_e32 v4, vcc_lo, s19, v4, vcc_lo
	global_load_b32 v3, v[3:4], off
	s_waitcnt vmcnt(0)
	v_subrev_nc_u32_e32 v3, s36, v3
	s_delay_alu instid0(VALU_DEP_1) | instskip(NEXT) | instid1(VALU_DEP_1)
	v_ashrrev_i32_e32 v4, 31, v3
	v_lshlrev_b64 v[3:4], 3, v[3:4]
	s_delay_alu instid0(VALU_DEP_1) | instskip(NEXT) | instid1(VALU_DEP_2)
	v_add_co_u32 v3, vcc_lo, s22, v3
	v_add_co_ci_u32_e32 v4, vcc_lo, s23, v4, vcc_lo
	global_load_b128 v[12:15], v[3:4], off
	s_waitcnt vmcnt(0)
	v_sub_co_u32 v3, vcc_lo, v14, s15
	v_subrev_co_ci_u32_e32 v4, vcc_lo, 0, v15, vcc_lo
	v_add_co_u32 v5, vcc_lo, v12, v10
	v_add_co_ci_u32_e32 v6, vcc_lo, v13, v11, vcc_lo
	s_delay_alu instid0(VALU_DEP_1)
	v_cmpx_lt_i64_e64 v[5:6], v[3:4]
	s_cbranch_execz .LBB216_16
; %bb.18:                               ;   in Loop: Header=BB216_17 Depth=1
	v_lshlrev_b64 v[12:13], 3, v[1:2]
	s_mov_b32 s17, 0
	s_delay_alu instid0(VALU_DEP_1) | instskip(NEXT) | instid1(VALU_DEP_2)
	v_add_co_u32 v12, vcc_lo, s20, v12
	v_add_co_ci_u32_e32 v13, vcc_lo, s21, v13, vcc_lo
	global_load_b64 v[14:15], v[12:13], off
	s_waitcnt vmcnt(0)
	v_mul_f32_e64 v12, v15, -s3
	s_delay_alu instid0(VALU_DEP_1) | instskip(NEXT) | instid1(VALU_DEP_1)
	v_dual_mul_f32 v13, s13, v15 :: v_dual_fmac_f32 v12, s13, v14
	v_fmac_f32_e32 v13, s3, v14
	s_branch .LBB216_20
.LBB216_19:                             ;   in Loop: Header=BB216_20 Depth=2
	s_or_b32 exec_lo, exec_lo, s28
	v_add_co_u32 v5, vcc_lo, v5, 64
	v_add_co_ci_u32_e32 v6, vcc_lo, 0, v6, vcc_lo
	s_delay_alu instid0(VALU_DEP_1) | instskip(SKIP_1) | instid1(SALU_CYCLE_1)
	v_cmp_ge_i64_e32 vcc_lo, v[5:6], v[3:4]
	s_or_b32 s17, vcc_lo, s17
	s_and_not1_b32 exec_lo, exec_lo, s17
	s_cbranch_execz .LBB216_16
.LBB216_20:                             ;   Parent Loop BB216_17 Depth=1
                                        ; =>  This Loop Header: Depth=2
                                        ;       Child Loop BB216_22 Depth 3
	v_lshlrev_b64 v[14:15], 2, v[5:6]
	v_lshlrev_b64 v[16:17], 3, v[5:6]
	s_mov_b32 s28, 0
	s_delay_alu instid0(VALU_DEP_2) | instskip(NEXT) | instid1(VALU_DEP_3)
	v_add_co_u32 v14, vcc_lo, s4, v14
	v_add_co_ci_u32_e32 v15, vcc_lo, s5, v15, vcc_lo
	global_load_b32 v19, v[14:15], off
	v_add_co_u32 v14, vcc_lo, s6, v16
	v_add_co_ci_u32_e32 v15, vcc_lo, s7, v17, vcc_lo
	global_load_b64 v[17:18], v[14:15], off
	s_waitcnt vmcnt(1)
	v_subrev_nc_u32_e32 v14, s37, v19
	s_delay_alu instid0(VALU_DEP_1) | instskip(SKIP_3) | instid1(VALU_DEP_2)
	v_mul_lo_u32 v19, 0x89, v14
	s_waitcnt vmcnt(0)
	v_mul_f32_e64 v15, v18, -v13
	v_mul_f32_e32 v16, v12, v18
	v_fmac_f32_e32 v15, v12, v17
	s_delay_alu instid0(VALU_DEP_2)
	v_dual_fmac_f32 v16, v13, v17 :: v_dual_and_b32 v17, 0x7fff, v19
	s_branch .LBB216_22
.LBB216_21:                             ;   in Loop: Header=BB216_22 Depth=3
	s_or_b32 exec_lo, exec_lo, s29
	s_xor_b32 s29, s30, -1
	s_delay_alu instid0(SALU_CYCLE_1) | instskip(NEXT) | instid1(SALU_CYCLE_1)
	s_and_b32 s29, exec_lo, s29
	s_or_b32 s28, s29, s28
	s_delay_alu instid0(SALU_CYCLE_1)
	s_and_not1_b32 exec_lo, exec_lo, s28
	s_cbranch_execz .LBB216_19
.LBB216_22:                             ;   Parent Loop BB216_17 Depth=1
                                        ;     Parent Loop BB216_20 Depth=2
                                        ; =>    This Inner Loop Header: Depth=3
	s_delay_alu instid0(VALU_DEP_1)
	v_lshl_add_u32 v18, v17, 2, 0
	s_mov_b32 s29, exec_lo
                                        ; implicit-def: $sgpr30
	ds_load_b32 v19, v18
	s_waitcnt lgkmcnt(0)
	v_cmpx_ne_u32_e64 v19, v14
	s_xor_b32 s29, exec_lo, s29
	s_cbranch_execz .LBB216_30
; %bb.23:                               ;   in Loop: Header=BB216_22 Depth=3
	s_mov_b32 s31, exec_lo
                                        ; implicit-def: $sgpr30
	v_cmpx_ne_u32_e64 s33, v19
	s_xor_b32 s31, exec_lo, s31
; %bb.24:                               ;   in Loop: Header=BB216_22 Depth=3
	v_add_nc_u32_e32 v17, 1, v17
	s_mov_b32 s30, -1
                                        ; implicit-def: $vgpr18
	s_delay_alu instid0(VALU_DEP_1)
	v_and_b32_e32 v17, 0x7fff, v17
; %bb.25:                               ;   in Loop: Header=BB216_22 Depth=3
	s_and_not1_saveexec_b32 s31, s31
	s_cbranch_execz .LBB216_29
; %bb.26:                               ;   in Loop: Header=BB216_22 Depth=3
	v_mov_b32_e32 v19, s33
	s_mov_b32 s44, -1
	s_mov_b32 s43, exec_lo
	ds_cmpstore_rtn_b32 v18, v18, v14, v19
	s_waitcnt lgkmcnt(0)
	v_cmpx_eq_u32_e64 s33, v18
	s_cbranch_execz .LBB216_28
; %bb.27:                               ;   in Loop: Header=BB216_22 Depth=3
	v_lshlrev_b32_e32 v18, 3, v17
	s_xor_b32 s44, exec_lo, -1
	s_delay_alu instid0(VALU_DEP_1)
	v_add3_u32 v18, 0, v18, 0x20000
	ds_add_f32 v18, v15
	ds_add_f32 v18, v16 offset:4
.LBB216_28:                             ;   in Loop: Header=BB216_22 Depth=3
	s_or_b32 exec_lo, exec_lo, s43
	s_delay_alu instid0(SALU_CYCLE_1) | instskip(SKIP_1) | instid1(SALU_CYCLE_1)
	s_and_not1_b32 s30, s30, exec_lo
	s_and_b32 s43, s44, exec_lo
	s_or_b32 s30, s30, s43
.LBB216_29:                             ;   in Loop: Header=BB216_22 Depth=3
	s_or_b32 exec_lo, exec_lo, s31
	s_delay_alu instid0(SALU_CYCLE_1)
	s_and_b32 s30, s30, exec_lo
.LBB216_30:                             ;   in Loop: Header=BB216_22 Depth=3
	s_and_not1_saveexec_b32 s29, s29
	s_cbranch_execz .LBB216_21
; %bb.31:                               ;   in Loop: Header=BB216_22 Depth=3
	v_lshlrev_b32_e32 v18, 3, v17
	s_and_not1_b32 s30, s30, exec_lo
	s_delay_alu instid0(VALU_DEP_1)
	v_add3_u32 v18, 0, v18, 0x20000
	ds_add_f32 v18, v15
	ds_add_f32 v18, v16 offset:4
	s_branch .LBB216_21
.LBB216_32:
	s_or_b32 exec_lo, exec_lo, s8
.LBB216_33:
	s_delay_alu instid0(SALU_CYCLE_1)
	s_and_not1_b32 vcc_lo, exec_lo, s14
	s_cbranch_vccnz .LBB216_36
; %bb.34:
	s_waitcnt lgkmcnt(0)
	s_ashr_i32 s43, s42, 31
	s_mov_b32 s3, exec_lo
	s_lshl_b64 s[0:1], s[42:43], 3
	s_delay_alu instid0(SALU_CYCLE_1) | instskip(SKIP_3) | instid1(VALU_DEP_1)
	s_add_u32 s0, s10, s0
	s_addc_u32 s1, s11, s1
	s_load_b128 s[4:7], s[0:1], 0x0
	v_sub_co_u32 v1, s0, v0, s39
	v_sub_co_ci_u32_e64 v2, null, 0, 0, s0
	s_waitcnt lgkmcnt(0)
	s_delay_alu instid0(VALU_DEP_2) | instskip(NEXT) | instid1(VALU_DEP_2)
	v_add_co_u32 v1, vcc_lo, s4, v1
	v_add_co_ci_u32_e32 v2, vcc_lo, s5, v2, vcc_lo
	s_sub_u32 s0, s6, s39
	s_subb_u32 s1, s7, 0
	s_mov_b32 s4, 0
	s_delay_alu instid0(VALU_DEP_1)
	v_cmpx_gt_i64_e64 s[0:1], v[1:2]
	s_cbranch_execnz .LBB216_105
.LBB216_35:
	s_or_b32 exec_lo, exec_lo, s3
.LBB216_36:
	v_mbcnt_lo_u32_b32 v1, -1, 0
	v_lshrrev_b32_e32 v2, 3, v0
	s_add_i32 s68, 0, 0x6007c
	v_cmp_eq_u32_e32 vcc_lo, 0x3ff, v0
	v_cmp_lt_u32_e64 s0, 31, v0
	v_xor_b32_e32 v1, 63, v1
	v_dual_mov_b32 v6, 0 :: v_dual_and_b32 v3, 0x7c, v2
	v_cmp_lt_u32_e64 s1, 63, v0
	v_cmp_lt_u32_e64 s2, 0x5f, v0
	s_delay_alu instid0(VALU_DEP_4) | instskip(NEXT) | instid1(VALU_DEP_4)
	v_lshrrev_b64 v[1:2], v1, -1
	v_add3_u32 v4, 0, 0x60000, v3
	v_cmp_lt_u32_e64 s3, 0x7f, v0
	v_cmp_lt_u32_e64 s4, 0x9f, v0
	;; [unrolled: 1-line block ×28, first 2 shown]
	v_add3_u32 v5, v9, 0, 0x20000
	v_mov_b32_e32 v9, s68
	s_mov_b32 s36, 0
	s_add_i32 s37, 0, 0x60000
	s_add_i32 s39, 0, 0x60004
	;; [unrolled: 1-line block ×31, first 2 shown]
	s_waitcnt lgkmcnt(0)
	s_barrier
	buffer_gl0_inv
	s_branch .LBB216_38
.LBB216_37:                             ;   in Loop: Header=BB216_38 Depth=1
	s_or_b32 exec_lo, exec_lo, s31
	s_waitcnt lgkmcnt(0)
	s_barrier
	buffer_gl0_inv
	ds_load_b32 v2, v9
	v_add_nc_u32_e32 v8, 0x400, v8
	v_add_nc_u32_e32 v5, 0x2000, v5
	;; [unrolled: 1-line block ×3, first 2 shown]
	s_delay_alu instid0(VALU_DEP_3) | instskip(NEXT) | instid1(VALU_DEP_1)
	v_cmp_lt_u32_e64 s31, 0x7bff, v8
	s_or_b32 s36, s31, s36
	s_waitcnt lgkmcnt(0)
	v_add_nc_u32_e32 v6, v2, v6
	s_and_not1_b32 exec_lo, exec_lo, s36
	s_cbranch_execz .LBB216_117
.LBB216_38:                             ; =>This Inner Loop Header: Depth=1
	ds_load_b32 v10, v7
	ds_load_2addr_b32 v[2:3], v5 offset1:1
	s_waitcnt lgkmcnt(0)
	s_barrier
	buffer_gl0_inv
	v_cmp_gt_i32_e64 s31, s33, v10
	s_delay_alu instid0(VALU_DEP_1) | instskip(NEXT) | instid1(SALU_CYCLE_1)
	s_bcnt1_i32_b32 s73, s31
	v_dual_mov_b32 v12, s73 :: v_dual_and_b32 v11, s31, v1
	s_delay_alu instid0(VALU_DEP_1)
	v_bcnt_u32_b32 v11, v11, 0
	ds_store_b32 v4, v12
	s_waitcnt lgkmcnt(0)
	s_barrier
	buffer_gl0_inv
	s_and_saveexec_b32 s73, s0
	s_cbranch_execnz .LBB216_71
; %bb.39:                               ;   in Loop: Header=BB216_38 Depth=1
	s_or_b32 exec_lo, exec_lo, s73
	s_and_saveexec_b32 s73, s1
	s_cbranch_execnz .LBB216_72
.LBB216_40:                             ;   in Loop: Header=BB216_38 Depth=1
	s_or_b32 exec_lo, exec_lo, s73
	s_and_saveexec_b32 s73, s2
	s_cbranch_execnz .LBB216_73
.LBB216_41:                             ;   in Loop: Header=BB216_38 Depth=1
	s_or_b32 exec_lo, exec_lo, s73
	s_and_saveexec_b32 s73, s3
	s_cbranch_execnz .LBB216_74
.LBB216_42:                             ;   in Loop: Header=BB216_38 Depth=1
	s_or_b32 exec_lo, exec_lo, s73
	s_and_saveexec_b32 s73, s4
	s_cbranch_execnz .LBB216_75
.LBB216_43:                             ;   in Loop: Header=BB216_38 Depth=1
	s_or_b32 exec_lo, exec_lo, s73
	s_and_saveexec_b32 s73, s5
	s_cbranch_execnz .LBB216_76
.LBB216_44:                             ;   in Loop: Header=BB216_38 Depth=1
	s_or_b32 exec_lo, exec_lo, s73
	s_and_saveexec_b32 s73, s6
	s_cbranch_execnz .LBB216_77
.LBB216_45:                             ;   in Loop: Header=BB216_38 Depth=1
	s_or_b32 exec_lo, exec_lo, s73
	s_and_saveexec_b32 s73, s7
	s_cbranch_execnz .LBB216_78
.LBB216_46:                             ;   in Loop: Header=BB216_38 Depth=1
	s_or_b32 exec_lo, exec_lo, s73
	s_and_saveexec_b32 s73, s8
	s_cbranch_execnz .LBB216_79
.LBB216_47:                             ;   in Loop: Header=BB216_38 Depth=1
	s_or_b32 exec_lo, exec_lo, s73
	s_and_saveexec_b32 s73, s9
	s_cbranch_execnz .LBB216_80
.LBB216_48:                             ;   in Loop: Header=BB216_38 Depth=1
	s_or_b32 exec_lo, exec_lo, s73
	s_and_saveexec_b32 s73, s10
	s_cbranch_execnz .LBB216_81
.LBB216_49:                             ;   in Loop: Header=BB216_38 Depth=1
	s_or_b32 exec_lo, exec_lo, s73
	s_and_saveexec_b32 s73, s11
	s_cbranch_execnz .LBB216_82
.LBB216_50:                             ;   in Loop: Header=BB216_38 Depth=1
	s_or_b32 exec_lo, exec_lo, s73
	s_and_saveexec_b32 s73, s12
	s_cbranch_execnz .LBB216_83
.LBB216_51:                             ;   in Loop: Header=BB216_38 Depth=1
	s_or_b32 exec_lo, exec_lo, s73
	s_and_saveexec_b32 s73, s13
	s_cbranch_execnz .LBB216_84
.LBB216_52:                             ;   in Loop: Header=BB216_38 Depth=1
	s_or_b32 exec_lo, exec_lo, s73
	s_and_saveexec_b32 s73, s14
	s_cbranch_execnz .LBB216_85
.LBB216_53:                             ;   in Loop: Header=BB216_38 Depth=1
	s_or_b32 exec_lo, exec_lo, s73
	s_and_saveexec_b32 s73, s15
	s_cbranch_execnz .LBB216_86
.LBB216_54:                             ;   in Loop: Header=BB216_38 Depth=1
	s_or_b32 exec_lo, exec_lo, s73
	s_and_saveexec_b32 s73, s16
	s_cbranch_execnz .LBB216_87
.LBB216_55:                             ;   in Loop: Header=BB216_38 Depth=1
	s_or_b32 exec_lo, exec_lo, s73
	s_and_saveexec_b32 s73, s17
	s_cbranch_execnz .LBB216_88
.LBB216_56:                             ;   in Loop: Header=BB216_38 Depth=1
	s_or_b32 exec_lo, exec_lo, s73
	s_and_saveexec_b32 s73, s18
	s_cbranch_execnz .LBB216_89
.LBB216_57:                             ;   in Loop: Header=BB216_38 Depth=1
	s_or_b32 exec_lo, exec_lo, s73
	s_and_saveexec_b32 s73, s19
	s_cbranch_execnz .LBB216_90
.LBB216_58:                             ;   in Loop: Header=BB216_38 Depth=1
	s_or_b32 exec_lo, exec_lo, s73
	s_and_saveexec_b32 s73, s20
	s_cbranch_execnz .LBB216_91
.LBB216_59:                             ;   in Loop: Header=BB216_38 Depth=1
	s_or_b32 exec_lo, exec_lo, s73
	s_and_saveexec_b32 s73, s21
	s_cbranch_execnz .LBB216_92
.LBB216_60:                             ;   in Loop: Header=BB216_38 Depth=1
	s_or_b32 exec_lo, exec_lo, s73
	s_and_saveexec_b32 s73, s22
	s_cbranch_execnz .LBB216_93
.LBB216_61:                             ;   in Loop: Header=BB216_38 Depth=1
	s_or_b32 exec_lo, exec_lo, s73
	s_and_saveexec_b32 s73, s23
	s_cbranch_execnz .LBB216_94
.LBB216_62:                             ;   in Loop: Header=BB216_38 Depth=1
	s_or_b32 exec_lo, exec_lo, s73
	s_and_saveexec_b32 s73, s24
	s_cbranch_execnz .LBB216_95
.LBB216_63:                             ;   in Loop: Header=BB216_38 Depth=1
	s_or_b32 exec_lo, exec_lo, s73
	s_and_saveexec_b32 s73, s25
	s_cbranch_execnz .LBB216_96
.LBB216_64:                             ;   in Loop: Header=BB216_38 Depth=1
	s_or_b32 exec_lo, exec_lo, s73
	s_and_saveexec_b32 s73, s26
	s_cbranch_execnz .LBB216_97
.LBB216_65:                             ;   in Loop: Header=BB216_38 Depth=1
	s_or_b32 exec_lo, exec_lo, s73
	s_and_saveexec_b32 s73, s27
	s_cbranch_execnz .LBB216_98
.LBB216_66:                             ;   in Loop: Header=BB216_38 Depth=1
	s_or_b32 exec_lo, exec_lo, s73
	s_and_saveexec_b32 s73, s28
	s_cbranch_execnz .LBB216_99
.LBB216_67:                             ;   in Loop: Header=BB216_38 Depth=1
	s_or_b32 exec_lo, exec_lo, s73
	s_and_saveexec_b32 s73, s29
	s_cbranch_execnz .LBB216_100
.LBB216_68:                             ;   in Loop: Header=BB216_38 Depth=1
	s_or_b32 exec_lo, exec_lo, s73
	s_and_saveexec_b32 s73, s30
	s_cbranch_execnz .LBB216_101
.LBB216_69:                             ;   in Loop: Header=BB216_38 Depth=1
	s_or_b32 exec_lo, exec_lo, s73
	s_and_saveexec_b32 s73, s31
	s_cbranch_execnz .LBB216_102
.LBB216_70:                             ;   in Loop: Header=BB216_38 Depth=1
	s_or_b32 exec_lo, exec_lo, s73
	s_and_saveexec_b32 s31, vcc_lo
	s_cbranch_execz .LBB216_37
	s_branch .LBB216_103
.LBB216_71:                             ;   in Loop: Header=BB216_38 Depth=1
	v_mov_b32_e32 v12, s37
	ds_load_b32 v12, v12
	s_waitcnt lgkmcnt(0)
	v_add_nc_u32_e32 v11, v12, v11
	s_or_b32 exec_lo, exec_lo, s73
	s_and_saveexec_b32 s73, s1
	s_cbranch_execz .LBB216_40
.LBB216_72:                             ;   in Loop: Header=BB216_38 Depth=1
	v_mov_b32_e32 v12, s39
	ds_load_b32 v12, v12
	s_waitcnt lgkmcnt(0)
	v_add_nc_u32_e32 v11, v12, v11
	s_or_b32 exec_lo, exec_lo, s73
	s_and_saveexec_b32 s73, s2
	s_cbranch_execz .LBB216_41
.LBB216_73:                             ;   in Loop: Header=BB216_38 Depth=1
	v_mov_b32_e32 v12, s43
	ds_load_b32 v12, v12
	s_waitcnt lgkmcnt(0)
	v_add_nc_u32_e32 v11, v12, v11
	s_or_b32 exec_lo, exec_lo, s73
	s_and_saveexec_b32 s73, s3
	s_cbranch_execz .LBB216_42
.LBB216_74:                             ;   in Loop: Header=BB216_38 Depth=1
	v_mov_b32_e32 v12, s44
	ds_load_b32 v12, v12
	s_waitcnt lgkmcnt(0)
	v_add_nc_u32_e32 v11, v12, v11
	s_or_b32 exec_lo, exec_lo, s73
	s_and_saveexec_b32 s73, s4
	s_cbranch_execz .LBB216_43
.LBB216_75:                             ;   in Loop: Header=BB216_38 Depth=1
	v_mov_b32_e32 v12, s45
	ds_load_b32 v12, v12
	s_waitcnt lgkmcnt(0)
	v_add_nc_u32_e32 v11, v12, v11
	s_or_b32 exec_lo, exec_lo, s73
	s_and_saveexec_b32 s73, s5
	s_cbranch_execz .LBB216_44
.LBB216_76:                             ;   in Loop: Header=BB216_38 Depth=1
	v_mov_b32_e32 v12, s46
	ds_load_b32 v12, v12
	s_waitcnt lgkmcnt(0)
	v_add_nc_u32_e32 v11, v12, v11
	s_or_b32 exec_lo, exec_lo, s73
	s_and_saveexec_b32 s73, s6
	s_cbranch_execz .LBB216_45
.LBB216_77:                             ;   in Loop: Header=BB216_38 Depth=1
	v_mov_b32_e32 v12, s47
	ds_load_b32 v12, v12
	s_waitcnt lgkmcnt(0)
	v_add_nc_u32_e32 v11, v12, v11
	s_or_b32 exec_lo, exec_lo, s73
	s_and_saveexec_b32 s73, s7
	s_cbranch_execz .LBB216_46
.LBB216_78:                             ;   in Loop: Header=BB216_38 Depth=1
	v_mov_b32_e32 v12, s48
	ds_load_b32 v12, v12
	s_waitcnt lgkmcnt(0)
	v_add_nc_u32_e32 v11, v12, v11
	s_or_b32 exec_lo, exec_lo, s73
	s_and_saveexec_b32 s73, s8
	s_cbranch_execz .LBB216_47
.LBB216_79:                             ;   in Loop: Header=BB216_38 Depth=1
	v_mov_b32_e32 v12, s49
	ds_load_b32 v12, v12
	s_waitcnt lgkmcnt(0)
	v_add_nc_u32_e32 v11, v12, v11
	s_or_b32 exec_lo, exec_lo, s73
	s_and_saveexec_b32 s73, s9
	s_cbranch_execz .LBB216_48
.LBB216_80:                             ;   in Loop: Header=BB216_38 Depth=1
	v_mov_b32_e32 v12, s50
	ds_load_b32 v12, v12
	s_waitcnt lgkmcnt(0)
	v_add_nc_u32_e32 v11, v12, v11
	s_or_b32 exec_lo, exec_lo, s73
	s_and_saveexec_b32 s73, s10
	s_cbranch_execz .LBB216_49
.LBB216_81:                             ;   in Loop: Header=BB216_38 Depth=1
	v_mov_b32_e32 v12, s51
	ds_load_b32 v12, v12
	s_waitcnt lgkmcnt(0)
	v_add_nc_u32_e32 v11, v12, v11
	s_or_b32 exec_lo, exec_lo, s73
	s_and_saveexec_b32 s73, s11
	s_cbranch_execz .LBB216_50
.LBB216_82:                             ;   in Loop: Header=BB216_38 Depth=1
	v_mov_b32_e32 v12, s52
	ds_load_b32 v12, v12
	s_waitcnt lgkmcnt(0)
	v_add_nc_u32_e32 v11, v12, v11
	s_or_b32 exec_lo, exec_lo, s73
	s_and_saveexec_b32 s73, s12
	s_cbranch_execz .LBB216_51
.LBB216_83:                             ;   in Loop: Header=BB216_38 Depth=1
	v_mov_b32_e32 v12, s53
	ds_load_b32 v12, v12
	s_waitcnt lgkmcnt(0)
	v_add_nc_u32_e32 v11, v12, v11
	s_or_b32 exec_lo, exec_lo, s73
	s_and_saveexec_b32 s73, s13
	s_cbranch_execz .LBB216_52
.LBB216_84:                             ;   in Loop: Header=BB216_38 Depth=1
	v_mov_b32_e32 v12, s54
	ds_load_b32 v12, v12
	s_waitcnt lgkmcnt(0)
	v_add_nc_u32_e32 v11, v12, v11
	s_or_b32 exec_lo, exec_lo, s73
	s_and_saveexec_b32 s73, s14
	s_cbranch_execz .LBB216_53
.LBB216_85:                             ;   in Loop: Header=BB216_38 Depth=1
	v_mov_b32_e32 v12, s55
	ds_load_b32 v12, v12
	s_waitcnt lgkmcnt(0)
	v_add_nc_u32_e32 v11, v12, v11
	s_or_b32 exec_lo, exec_lo, s73
	s_and_saveexec_b32 s73, s15
	s_cbranch_execz .LBB216_54
.LBB216_86:                             ;   in Loop: Header=BB216_38 Depth=1
	v_mov_b32_e32 v12, s56
	ds_load_b32 v12, v12
	s_waitcnt lgkmcnt(0)
	v_add_nc_u32_e32 v11, v12, v11
	s_or_b32 exec_lo, exec_lo, s73
	s_and_saveexec_b32 s73, s16
	s_cbranch_execz .LBB216_55
.LBB216_87:                             ;   in Loop: Header=BB216_38 Depth=1
	v_mov_b32_e32 v12, s57
	ds_load_b32 v12, v12
	s_waitcnt lgkmcnt(0)
	v_add_nc_u32_e32 v11, v12, v11
	s_or_b32 exec_lo, exec_lo, s73
	s_and_saveexec_b32 s73, s17
	s_cbranch_execz .LBB216_56
.LBB216_88:                             ;   in Loop: Header=BB216_38 Depth=1
	v_mov_b32_e32 v12, s58
	ds_load_b32 v12, v12
	s_waitcnt lgkmcnt(0)
	v_add_nc_u32_e32 v11, v12, v11
	s_or_b32 exec_lo, exec_lo, s73
	s_and_saveexec_b32 s73, s18
	s_cbranch_execz .LBB216_57
.LBB216_89:                             ;   in Loop: Header=BB216_38 Depth=1
	v_mov_b32_e32 v12, s59
	ds_load_b32 v12, v12
	s_waitcnt lgkmcnt(0)
	v_add_nc_u32_e32 v11, v12, v11
	s_or_b32 exec_lo, exec_lo, s73
	s_and_saveexec_b32 s73, s19
	s_cbranch_execz .LBB216_58
.LBB216_90:                             ;   in Loop: Header=BB216_38 Depth=1
	v_mov_b32_e32 v12, s60
	ds_load_b32 v12, v12
	s_waitcnt lgkmcnt(0)
	v_add_nc_u32_e32 v11, v12, v11
	s_or_b32 exec_lo, exec_lo, s73
	s_and_saveexec_b32 s73, s20
	s_cbranch_execz .LBB216_59
.LBB216_91:                             ;   in Loop: Header=BB216_38 Depth=1
	v_mov_b32_e32 v12, s61
	ds_load_b32 v12, v12
	s_waitcnt lgkmcnt(0)
	v_add_nc_u32_e32 v11, v12, v11
	s_or_b32 exec_lo, exec_lo, s73
	s_and_saveexec_b32 s73, s21
	s_cbranch_execz .LBB216_60
.LBB216_92:                             ;   in Loop: Header=BB216_38 Depth=1
	v_mov_b32_e32 v12, s62
	ds_load_b32 v12, v12
	s_waitcnt lgkmcnt(0)
	v_add_nc_u32_e32 v11, v12, v11
	s_or_b32 exec_lo, exec_lo, s73
	s_and_saveexec_b32 s73, s22
	s_cbranch_execz .LBB216_61
.LBB216_93:                             ;   in Loop: Header=BB216_38 Depth=1
	v_mov_b32_e32 v12, s63
	ds_load_b32 v12, v12
	s_waitcnt lgkmcnt(0)
	v_add_nc_u32_e32 v11, v12, v11
	s_or_b32 exec_lo, exec_lo, s73
	s_and_saveexec_b32 s73, s23
	s_cbranch_execz .LBB216_62
.LBB216_94:                             ;   in Loop: Header=BB216_38 Depth=1
	v_mov_b32_e32 v12, s64
	ds_load_b32 v12, v12
	s_waitcnt lgkmcnt(0)
	v_add_nc_u32_e32 v11, v12, v11
	s_or_b32 exec_lo, exec_lo, s73
	s_and_saveexec_b32 s73, s24
	s_cbranch_execz .LBB216_63
.LBB216_95:                             ;   in Loop: Header=BB216_38 Depth=1
	v_mov_b32_e32 v12, s65
	ds_load_b32 v12, v12
	s_waitcnt lgkmcnt(0)
	v_add_nc_u32_e32 v11, v12, v11
	s_or_b32 exec_lo, exec_lo, s73
	s_and_saveexec_b32 s73, s25
	s_cbranch_execz .LBB216_64
.LBB216_96:                             ;   in Loop: Header=BB216_38 Depth=1
	v_mov_b32_e32 v12, s66
	ds_load_b32 v12, v12
	s_waitcnt lgkmcnt(0)
	v_add_nc_u32_e32 v11, v12, v11
	s_or_b32 exec_lo, exec_lo, s73
	s_and_saveexec_b32 s73, s26
	s_cbranch_execz .LBB216_65
.LBB216_97:                             ;   in Loop: Header=BB216_38 Depth=1
	v_mov_b32_e32 v12, s67
	ds_load_b32 v12, v12
	s_waitcnt lgkmcnt(0)
	v_add_nc_u32_e32 v11, v12, v11
	s_or_b32 exec_lo, exec_lo, s73
	s_and_saveexec_b32 s73, s27
	s_cbranch_execz .LBB216_66
.LBB216_98:                             ;   in Loop: Header=BB216_38 Depth=1
	v_mov_b32_e32 v12, s69
	ds_load_b32 v12, v12
	s_waitcnt lgkmcnt(0)
	v_add_nc_u32_e32 v11, v12, v11
	s_or_b32 exec_lo, exec_lo, s73
	s_and_saveexec_b32 s73, s28
	s_cbranch_execz .LBB216_67
.LBB216_99:                             ;   in Loop: Header=BB216_38 Depth=1
	v_mov_b32_e32 v12, s70
	ds_load_b32 v12, v12
	s_waitcnt lgkmcnt(0)
	v_add_nc_u32_e32 v11, v12, v11
	s_or_b32 exec_lo, exec_lo, s73
	s_and_saveexec_b32 s73, s29
	s_cbranch_execz .LBB216_68
.LBB216_100:                            ;   in Loop: Header=BB216_38 Depth=1
	v_mov_b32_e32 v12, s71
	ds_load_b32 v12, v12
	s_waitcnt lgkmcnt(0)
	v_add_nc_u32_e32 v11, v12, v11
	s_or_b32 exec_lo, exec_lo, s73
	s_and_saveexec_b32 s73, s30
	s_cbranch_execz .LBB216_69
.LBB216_101:                            ;   in Loop: Header=BB216_38 Depth=1
	v_mov_b32_e32 v12, s72
	ds_load_b32 v12, v12
	s_waitcnt lgkmcnt(0)
	v_add_nc_u32_e32 v11, v12, v11
	s_or_b32 exec_lo, exec_lo, s73
	s_and_saveexec_b32 s73, s31
	s_cbranch_execz .LBB216_70
.LBB216_102:                            ;   in Loop: Header=BB216_38 Depth=1
	s_delay_alu instid0(VALU_DEP_1) | instskip(NEXT) | instid1(VALU_DEP_1)
	v_add3_u32 v12, v6, -1, v11
	v_lshlrev_b32_e32 v13, 3, v12
	v_lshl_add_u32 v12, v12, 2, 0
	s_delay_alu instid0(VALU_DEP_2)
	v_add3_u32 v13, 0, v13, 0x20000
	ds_store_b32 v12, v10
	ds_store_2addr_b32 v13, v2, v3 offset1:1
	s_or_b32 exec_lo, exec_lo, s73
	s_and_saveexec_b32 s31, vcc_lo
	s_cbranch_execz .LBB216_37
.LBB216_103:                            ;   in Loop: Header=BB216_38 Depth=1
	v_mov_b32_e32 v2, s68
	ds_store_b32 v2, v11
	s_branch .LBB216_37
.LBB216_104:                            ;   in Loop: Header=BB216_105 Depth=1
	s_or_b32 exec_lo, exec_lo, s5
	v_add_co_u32 v1, vcc_lo, 0x400, v1
	v_add_co_ci_u32_e32 v2, vcc_lo, 0, v2, vcc_lo
	s_delay_alu instid0(VALU_DEP_1) | instskip(SKIP_1) | instid1(SALU_CYCLE_1)
	v_cmp_le_i64_e32 vcc_lo, s[0:1], v[1:2]
	s_or_b32 s4, vcc_lo, s4
	s_and_not1_b32 exec_lo, exec_lo, s4
	s_cbranch_execz .LBB216_35
.LBB216_105:                            ; =>This Loop Header: Depth=1
                                        ;     Child Loop BB216_107 Depth 2
	v_lshlrev_b64 v[3:4], 2, v[1:2]
	v_lshlrev_b64 v[5:6], 3, v[1:2]
	s_mov_b32 s5, 0
	s_delay_alu instid0(VALU_DEP_2) | instskip(NEXT) | instid1(VALU_DEP_3)
	v_add_co_u32 v3, vcc_lo, s24, v3
	v_add_co_ci_u32_e32 v4, vcc_lo, s25, v4, vcc_lo
	global_load_b32 v12, v[3:4], off
	v_add_co_u32 v3, vcc_lo, s26, v5
	v_add_co_ci_u32_e32 v4, vcc_lo, s27, v6, vcc_lo
	global_load_b64 v[10:11], v[3:4], off
	s_waitcnt vmcnt(1)
	v_subrev_nc_u32_e32 v3, s39, v12
	s_delay_alu instid0(VALU_DEP_1) | instskip(SKIP_2) | instid1(VALU_DEP_1)
	v_mul_lo_u32 v6, 0x89, v3
	s_waitcnt vmcnt(0)
	v_mul_f32_e64 v4, v11, -s12
	v_dual_mul_f32 v5, s2, v11 :: v_dual_fmac_f32 v4, s2, v10
	s_delay_alu instid0(VALU_DEP_1) | instskip(NEXT) | instid1(VALU_DEP_4)
	v_fmac_f32_e32 v5, s12, v10
	v_and_b32_e32 v6, 0x7fff, v6
	s_branch .LBB216_107
.LBB216_106:                            ;   in Loop: Header=BB216_107 Depth=2
	s_or_b32 exec_lo, exec_lo, s6
	s_xor_b32 s6, s7, -1
	s_delay_alu instid0(SALU_CYCLE_1) | instskip(NEXT) | instid1(SALU_CYCLE_1)
	s_and_b32 s6, exec_lo, s6
	s_or_b32 s5, s6, s5
	s_delay_alu instid0(SALU_CYCLE_1)
	s_and_not1_b32 exec_lo, exec_lo, s5
	s_cbranch_execz .LBB216_104
.LBB216_107:                            ;   Parent Loop BB216_105 Depth=1
                                        ; =>  This Inner Loop Header: Depth=2
	s_delay_alu instid0(VALU_DEP_1)
	v_lshl_add_u32 v10, v6, 2, 0
	s_mov_b32 s6, exec_lo
                                        ; implicit-def: $sgpr7
	ds_load_b32 v11, v10
	s_waitcnt lgkmcnt(0)
	v_cmpx_ne_u32_e64 v11, v3
	s_xor_b32 s6, exec_lo, s6
	s_cbranch_execz .LBB216_115
; %bb.108:                              ;   in Loop: Header=BB216_107 Depth=2
	s_mov_b32 s8, exec_lo
                                        ; implicit-def: $sgpr7
	v_cmpx_ne_u32_e64 s33, v11
	s_xor_b32 s8, exec_lo, s8
; %bb.109:                              ;   in Loop: Header=BB216_107 Depth=2
	v_add_nc_u32_e32 v6, 1, v6
	s_mov_b32 s7, -1
                                        ; implicit-def: $vgpr10
	s_delay_alu instid0(VALU_DEP_1)
	v_and_b32_e32 v6, 0x7fff, v6
; %bb.110:                              ;   in Loop: Header=BB216_107 Depth=2
	s_and_not1_saveexec_b32 s8, s8
	s_cbranch_execz .LBB216_114
; %bb.111:                              ;   in Loop: Header=BB216_107 Depth=2
	v_mov_b32_e32 v11, s33
	s_mov_b32 s10, -1
	s_mov_b32 s9, exec_lo
	ds_cmpstore_rtn_b32 v10, v10, v3, v11
	s_waitcnt lgkmcnt(0)
	v_cmpx_eq_u32_e64 s33, v10
	s_cbranch_execz .LBB216_113
; %bb.112:                              ;   in Loop: Header=BB216_107 Depth=2
	v_lshlrev_b32_e32 v10, 3, v6
	s_xor_b32 s10, exec_lo, -1
	s_delay_alu instid0(VALU_DEP_1)
	v_add3_u32 v10, 0, v10, 0x20000
	ds_add_f32 v10, v4
	ds_add_f32 v10, v5 offset:4
.LBB216_113:                            ;   in Loop: Header=BB216_107 Depth=2
	s_or_b32 exec_lo, exec_lo, s9
	s_delay_alu instid0(SALU_CYCLE_1) | instskip(SKIP_1) | instid1(SALU_CYCLE_1)
	s_and_not1_b32 s7, s7, exec_lo
	s_and_b32 s9, s10, exec_lo
	s_or_b32 s7, s7, s9
.LBB216_114:                            ;   in Loop: Header=BB216_107 Depth=2
	s_or_b32 exec_lo, exec_lo, s8
	s_delay_alu instid0(SALU_CYCLE_1)
	s_and_b32 s7, s7, exec_lo
.LBB216_115:                            ;   in Loop: Header=BB216_107 Depth=2
	s_and_not1_saveexec_b32 s6, s6
	s_cbranch_execz .LBB216_106
; %bb.116:                              ;   in Loop: Header=BB216_107 Depth=2
	v_lshlrev_b32_e32 v10, 3, v6
	s_and_not1_b32 s7, s7, exec_lo
	s_delay_alu instid0(VALU_DEP_1)
	v_add3_u32 v10, 0, v10, 0x20000
	ds_add_f32 v10, v4
	ds_add_f32 v10, v5 offset:4
	s_branch .LBB216_106
.LBB216_117:
	s_or_b32 exec_lo, exec_lo, s36
	s_ashr_i32 s43, s42, 31
	s_mov_b32 s4, exec_lo
	s_lshl_b64 s[0:1], s[42:43], 3
	s_delay_alu instid0(SALU_CYCLE_1) | instskip(SKIP_4) | instid1(SALU_CYCLE_1)
	s_add_u32 s0, s40, s0
	s_addc_u32 s1, s41, s1
	s_load_b128 s[0:3], s[0:1], 0x0
	s_waitcnt lgkmcnt(0)
	s_sub_i32 s3, s2, s0
	v_cmpx_gt_i32_e64 s3, v0
	s_cbranch_execz .LBB216_127
; %bb.118:
	s_sub_u32 s4, s0, s38
	s_subb_u32 s5, s1, 0
	s_sub_i32 s0, s0, s2
	s_and_b32 s1, s3, 7
	s_cmp_lt_u32 s0, -7
	s_mov_b32 s8, 0
	s_cselect_b32 s2, -1, 0
	s_and_b32 s6, s3, -8
	s_cmp_lg_u32 s1, 0
	s_cselect_b32 s7, -1, 0
	s_branch .LBB216_120
.LBB216_119:                            ;   in Loop: Header=BB216_120 Depth=1
	s_delay_alu instid0(VALU_DEP_1) | instskip(SKIP_1) | instid1(VALU_DEP_1)
	v_lshlrev_b64 v[3:4], 3, v[3:4]
	v_add_nc_u32_e32 v0, 0x400, v0
	v_cmp_le_i32_e32 vcc_lo, s3, v0
	s_delay_alu instid0(VALU_DEP_3) | instskip(NEXT) | instid1(VALU_DEP_1)
	v_add_co_u32 v3, s0, s34, v3
	v_add_co_ci_u32_e64 v4, s0, s35, v4, s0
	s_or_b32 s8, vcc_lo, s8
	s_waitcnt lgkmcnt(0)
	global_store_b64 v[3:4], v[1:2], off
	s_and_not1_b32 exec_lo, exec_lo, s8
	s_cbranch_execz .LBB216_127
.LBB216_120:                            ; =>This Loop Header: Depth=1
                                        ;     Child Loop BB216_122 Depth 2
                                        ;     Child Loop BB216_126 Depth 2
	v_lshlrev_b32_e32 v1, 3, v0
	v_lshl_add_u32 v2, v0, 2, 0
	v_dual_mov_b32 v3, s4 :: v_dual_mov_b32 v4, s5
	s_and_not1_b32 vcc_lo, exec_lo, s2
	s_delay_alu instid0(VALU_DEP_3)
	v_add3_u32 v1, 0, v1, 0x20000
	s_mov_b32 s0, 0
	ds_load_b32 v5, v2
	ds_load_2addr_b32 v[1:2], v1 offset1:1
	s_cbranch_vccnz .LBB216_124
; %bb.121:                              ;   in Loop: Header=BB216_120 Depth=1
	v_dual_mov_b32 v3, s4 :: v_dual_mov_b32 v4, s5
	s_mov_b32 s9, 0
	s_mov_b32 s10, 0
.LBB216_122:                            ;   Parent Loop BB216_120 Depth=1
                                        ; =>  This Inner Loop Header: Depth=2
	s_delay_alu instid0(SALU_CYCLE_1)
	v_mov_b32_e32 v12, s10
	s_add_i32 s9, s9, 8
	s_add_i32 s10, s10, 32
	s_cmp_eq_u32 s6, s9
	ds_load_2addr_b32 v[6:7], v12 offset1:1
	ds_load_2addr_b32 v[8:9], v12 offset0:2 offset1:3
	ds_load_2addr_b32 v[10:11], v12 offset0:4 offset1:5
	;; [unrolled: 1-line block ×3, first 2 shown]
	s_waitcnt lgkmcnt(3)
	v_cmp_gt_i32_e32 vcc_lo, v5, v6
	v_cndmask_b32_e64 v6, 0, 1, vcc_lo
	v_cmp_gt_i32_e32 vcc_lo, v5, v7
	v_cndmask_b32_e64 v7, 0, 1, vcc_lo
	s_waitcnt lgkmcnt(2)
	v_cmp_gt_i32_e32 vcc_lo, v5, v8
	v_cndmask_b32_e64 v8, 0, 1, vcc_lo
	v_cmp_gt_i32_e32 vcc_lo, v5, v9
	v_cndmask_b32_e64 v9, 0, 1, vcc_lo
	s_waitcnt lgkmcnt(1)
	v_cmp_gt_i32_e32 vcc_lo, v5, v10
	v_cndmask_b32_e64 v10, 0, 1, vcc_lo
	v_add_co_u32 v3, vcc_lo, v3, v6
	v_add_co_ci_u32_e32 v4, vcc_lo, 0, v4, vcc_lo
	v_cmp_gt_i32_e32 vcc_lo, v5, v11
	s_delay_alu instid0(VALU_DEP_3) | instskip(NEXT) | instid1(VALU_DEP_1)
	v_add_co_u32 v3, s0, v3, v7
	v_add_co_ci_u32_e64 v4, s0, 0, v4, s0
	v_cndmask_b32_e64 v6, 0, 1, vcc_lo
	s_delay_alu instid0(VALU_DEP_3) | instskip(NEXT) | instid1(VALU_DEP_3)
	v_add_co_u32 v3, vcc_lo, v3, v8
	v_add_co_ci_u32_e32 v4, vcc_lo, 0, v4, vcc_lo
	s_waitcnt lgkmcnt(0)
	v_cmp_gt_i32_e32 vcc_lo, v5, v12
	s_delay_alu instid0(VALU_DEP_3) | instskip(NEXT) | instid1(VALU_DEP_1)
	v_add_co_u32 v3, s0, v3, v9
	v_add_co_ci_u32_e64 v4, s0, 0, v4, s0
	v_cndmask_b32_e64 v7, 0, 1, vcc_lo
	s_delay_alu instid0(VALU_DEP_3) | instskip(NEXT) | instid1(VALU_DEP_3)
	v_add_co_u32 v3, vcc_lo, v3, v10
	v_add_co_ci_u32_e32 v4, vcc_lo, 0, v4, vcc_lo
	v_cmp_gt_i32_e32 vcc_lo, v5, v13
	s_delay_alu instid0(VALU_DEP_3) | instskip(NEXT) | instid1(VALU_DEP_1)
	v_add_co_u32 v3, s0, v3, v6
	v_add_co_ci_u32_e64 v4, s0, 0, v4, s0
	v_cndmask_b32_e64 v6, 0, 1, vcc_lo
	s_delay_alu instid0(VALU_DEP_3) | instskip(NEXT) | instid1(VALU_DEP_3)
	v_add_co_u32 v3, vcc_lo, v3, v7
	v_add_co_ci_u32_e32 v4, vcc_lo, 0, v4, vcc_lo
	s_delay_alu instid0(VALU_DEP_2) | instskip(NEXT) | instid1(VALU_DEP_2)
	v_add_co_u32 v3, vcc_lo, v3, v6
	v_add_co_ci_u32_e32 v4, vcc_lo, 0, v4, vcc_lo
	s_cbranch_scc0 .LBB216_122
; %bb.123:                              ;   in Loop: Header=BB216_120 Depth=1
	s_mov_b32 s0, s6
.LBB216_124:                            ;   in Loop: Header=BB216_120 Depth=1
	s_and_not1_b32 vcc_lo, exec_lo, s7
	s_cbranch_vccnz .LBB216_119
; %bb.125:                              ;   in Loop: Header=BB216_120 Depth=1
	s_lshl_b32 s0, s0, 2
	s_mov_b32 s9, s1
	s_add_i32 s0, s0, 0
.LBB216_126:                            ;   Parent Loop BB216_120 Depth=1
                                        ; =>  This Inner Loop Header: Depth=2
	s_delay_alu instid0(SALU_CYCLE_1)
	v_mov_b32_e32 v6, s0
	s_add_i32 s9, s9, -1
	s_add_i32 s0, s0, 4
	s_cmp_lg_u32 s9, 0
	ds_load_b32 v6, v6
	s_waitcnt lgkmcnt(0)
	v_cmp_gt_i32_e32 vcc_lo, v5, v6
	v_cndmask_b32_e64 v6, 0, 1, vcc_lo
	s_delay_alu instid0(VALU_DEP_1)
	v_add_co_u32 v3, vcc_lo, v3, v6
	v_add_co_ci_u32_e32 v4, vcc_lo, 0, v4, vcc_lo
	s_cbranch_scc1 .LBB216_126
	s_branch .LBB216_119
.LBB216_127:
	s_nop 0
	s_sendmsg sendmsg(MSG_DEALLOC_VGPRS)
	s_endpgm
	.section	.rodata,"a",@progbits
	.p2align	6, 0x0
	.amdhsa_kernel _ZN9rocsparseL41csrgemm_numeric_fill_block_per_row_kernelILj1024ELj64ELj32768ELj137ELj32Eli21rocsparse_complex_numIfEEEvT5_PKS3_S5_NS_24const_host_device_scalarIT6_EEPKT4_S5_PKS7_SB_S5_SD_S8_SB_S5_SD_SB_S5_PS7_21rocsparse_index_base_SF_SF_SF_bbb
		.amdhsa_group_segment_fixed_size 0
		.amdhsa_private_segment_fixed_size 0
		.amdhsa_kernarg_size 156
		.amdhsa_user_sgpr_count 15
		.amdhsa_user_sgpr_dispatch_ptr 0
		.amdhsa_user_sgpr_queue_ptr 0
		.amdhsa_user_sgpr_kernarg_segment_ptr 1
		.amdhsa_user_sgpr_dispatch_id 0
		.amdhsa_user_sgpr_private_segment_size 0
		.amdhsa_wavefront_size32 1
		.amdhsa_uses_dynamic_stack 0
		.amdhsa_enable_private_segment 0
		.amdhsa_system_sgpr_workgroup_id_x 1
		.amdhsa_system_sgpr_workgroup_id_y 0
		.amdhsa_system_sgpr_workgroup_id_z 0
		.amdhsa_system_sgpr_workgroup_info 0
		.amdhsa_system_vgpr_workitem_id 0
		.amdhsa_next_free_vgpr 20
		.amdhsa_next_free_sgpr 74
		.amdhsa_reserve_vcc 1
		.amdhsa_float_round_mode_32 0
		.amdhsa_float_round_mode_16_64 0
		.amdhsa_float_denorm_mode_32 3
		.amdhsa_float_denorm_mode_16_64 3
		.amdhsa_dx10_clamp 1
		.amdhsa_ieee_mode 1
		.amdhsa_fp16_overflow 0
		.amdhsa_workgroup_processor_mode 1
		.amdhsa_memory_ordered 1
		.amdhsa_forward_progress 0
		.amdhsa_shared_vgpr_count 0
		.amdhsa_exception_fp_ieee_invalid_op 0
		.amdhsa_exception_fp_denorm_src 0
		.amdhsa_exception_fp_ieee_div_zero 0
		.amdhsa_exception_fp_ieee_overflow 0
		.amdhsa_exception_fp_ieee_underflow 0
		.amdhsa_exception_fp_ieee_inexact 0
		.amdhsa_exception_int_div_zero 0
	.end_amdhsa_kernel
	.section	.text._ZN9rocsparseL41csrgemm_numeric_fill_block_per_row_kernelILj1024ELj64ELj32768ELj137ELj32Eli21rocsparse_complex_numIfEEEvT5_PKS3_S5_NS_24const_host_device_scalarIT6_EEPKT4_S5_PKS7_SB_S5_SD_S8_SB_S5_SD_SB_S5_PS7_21rocsparse_index_base_SF_SF_SF_bbb,"axG",@progbits,_ZN9rocsparseL41csrgemm_numeric_fill_block_per_row_kernelILj1024ELj64ELj32768ELj137ELj32Eli21rocsparse_complex_numIfEEEvT5_PKS3_S5_NS_24const_host_device_scalarIT6_EEPKT4_S5_PKS7_SB_S5_SD_S8_SB_S5_SD_SB_S5_PS7_21rocsparse_index_base_SF_SF_SF_bbb,comdat
.Lfunc_end216:
	.size	_ZN9rocsparseL41csrgemm_numeric_fill_block_per_row_kernelILj1024ELj64ELj32768ELj137ELj32Eli21rocsparse_complex_numIfEEEvT5_PKS3_S5_NS_24const_host_device_scalarIT6_EEPKT4_S5_PKS7_SB_S5_SD_S8_SB_S5_SD_SB_S5_PS7_21rocsparse_index_base_SF_SF_SF_bbb, .Lfunc_end216-_ZN9rocsparseL41csrgemm_numeric_fill_block_per_row_kernelILj1024ELj64ELj32768ELj137ELj32Eli21rocsparse_complex_numIfEEEvT5_PKS3_S5_NS_24const_host_device_scalarIT6_EEPKT4_S5_PKS7_SB_S5_SD_S8_SB_S5_SD_SB_S5_PS7_21rocsparse_index_base_SF_SF_SF_bbb
                                        ; -- End function
	.section	.AMDGPU.csdata,"",@progbits
; Kernel info:
; codeLenInByte = 4868
; NumSgprs: 76
; NumVgprs: 20
; ScratchSize: 0
; MemoryBound: 0
; FloatMode: 240
; IeeeMode: 1
; LDSByteSize: 0 bytes/workgroup (compile time only)
; SGPRBlocks: 9
; VGPRBlocks: 2
; NumSGPRsForWavesPerEU: 76
; NumVGPRsForWavesPerEU: 20
; Occupancy: 16
; WaveLimiterHint : 1
; COMPUTE_PGM_RSRC2:SCRATCH_EN: 0
; COMPUTE_PGM_RSRC2:USER_SGPR: 15
; COMPUTE_PGM_RSRC2:TRAP_HANDLER: 0
; COMPUTE_PGM_RSRC2:TGID_X_EN: 1
; COMPUTE_PGM_RSRC2:TGID_Y_EN: 0
; COMPUTE_PGM_RSRC2:TGID_Z_EN: 0
; COMPUTE_PGM_RSRC2:TIDIG_COMP_CNT: 0
	.section	.text._ZN9rocsparseL41csrgemm_numeric_fill_block_per_row_kernelILj1024ELj64ELj32768ELj137ELj64Eli21rocsparse_complex_numIfEEEvT5_PKS3_S5_NS_24const_host_device_scalarIT6_EEPKT4_S5_PKS7_SB_S5_SD_S8_SB_S5_SD_SB_S5_PS7_21rocsparse_index_base_SF_SF_SF_bbb,"axG",@progbits,_ZN9rocsparseL41csrgemm_numeric_fill_block_per_row_kernelILj1024ELj64ELj32768ELj137ELj64Eli21rocsparse_complex_numIfEEEvT5_PKS3_S5_NS_24const_host_device_scalarIT6_EEPKT4_S5_PKS7_SB_S5_SD_S8_SB_S5_SD_SB_S5_PS7_21rocsparse_index_base_SF_SF_SF_bbb,comdat
	.globl	_ZN9rocsparseL41csrgemm_numeric_fill_block_per_row_kernelILj1024ELj64ELj32768ELj137ELj64Eli21rocsparse_complex_numIfEEEvT5_PKS3_S5_NS_24const_host_device_scalarIT6_EEPKT4_S5_PKS7_SB_S5_SD_S8_SB_S5_SD_SB_S5_PS7_21rocsparse_index_base_SF_SF_SF_bbb ; -- Begin function _ZN9rocsparseL41csrgemm_numeric_fill_block_per_row_kernelILj1024ELj64ELj32768ELj137ELj64Eli21rocsparse_complex_numIfEEEvT5_PKS3_S5_NS_24const_host_device_scalarIT6_EEPKT4_S5_PKS7_SB_S5_SD_S8_SB_S5_SD_SB_S5_PS7_21rocsparse_index_base_SF_SF_SF_bbb
	.p2align	8
	.type	_ZN9rocsparseL41csrgemm_numeric_fill_block_per_row_kernelILj1024ELj64ELj32768ELj137ELj64Eli21rocsparse_complex_numIfEEEvT5_PKS3_S5_NS_24const_host_device_scalarIT6_EEPKT4_S5_PKS7_SB_S5_SD_S8_SB_S5_SD_SB_S5_PS7_21rocsparse_index_base_SF_SF_SF_bbb,@function
_ZN9rocsparseL41csrgemm_numeric_fill_block_per_row_kernelILj1024ELj64ELj32768ELj137ELj64Eli21rocsparse_complex_numIfEEEvT5_PKS3_S5_NS_24const_host_device_scalarIT6_EEPKT4_S5_PKS7_SB_S5_SD_S8_SB_S5_SD_SB_S5_PS7_21rocsparse_index_base_SF_SF_SF_bbb: ; @_ZN9rocsparseL41csrgemm_numeric_fill_block_per_row_kernelILj1024ELj64ELj32768ELj137ELj64Eli21rocsparse_complex_numIfEEEvT5_PKS3_S5_NS_24const_host_device_scalarIT6_EEPKT4_S5_PKS7_SB_S5_SD_S8_SB_S5_SD_SB_S5_PS7_21rocsparse_index_base_SF_SF_SF_bbb
; %bb.0:
	s_clause 0x7
	s_load_b32 s12, s[0:1], 0x98
	s_load_b64 s[40:41], s[0:1], 0x70
	s_load_b128 s[28:31], s[0:1], 0x60
	s_load_b256 s[4:11], s[0:1], 0x40
	s_load_b128 s[36:39], s[0:1], 0x8
	s_load_b256 s[16:23], s[0:1], 0x20
	s_load_b64 s[34:35], s[0:1], 0x80
	s_load_b128 s[24:27], s[0:1], 0x88
	s_mov_b32 s3, 0
	s_mov_b32 s13, 0
	s_waitcnt lgkmcnt(0)
	s_bitcmp1_b32 s12, 0
	s_cselect_b32 s42, -1, 0
	s_bitcmp1_b32 s12, 16
	s_cselect_b32 s2, -1, 0
	s_delay_alu instid0(SALU_CYCLE_1) | instskip(SKIP_2) | instid1(VALU_DEP_1)
	s_xor_b32 s14, s2, -1
	s_bitcmp0_b32 s12, 0
	v_cndmask_b32_e64 v1, 0, 1, s14
	v_cmp_ne_u32_e32 vcc_lo, 1, v1
	s_cbranch_scc1 .LBB217_5
; %bb.1:
	s_load_b64 s[2:3], s[0:1], 0x18
	s_and_b32 vcc_lo, exec_lo, vcc_lo
	s_waitcnt lgkmcnt(0)
	s_mov_b32 s13, s2
	s_cbranch_vccnz .LBB217_3
; %bb.2:
	s_load_b32 s13, s[2:3], 0x0
.LBB217_3:
	s_and_not1_b32 vcc_lo, exec_lo, s14
	s_cbranch_vccnz .LBB217_5
; %bb.4:
	s_load_b32 s3, s[2:3], 0x4
.LBB217_5:
	s_bitcmp1_b32 s12, 8
	s_cselect_b32 s14, -1, 0
	s_bfe_u32 s2, s12, 0x10008
	s_mov_b32 s12, 0
	s_cmp_eq_u32 s2, 0
	s_mov_b32 s2, 0
	s_cbranch_scc1 .LBB217_11
; %bb.6:
	v_cmp_ne_u32_e32 vcc_lo, 1, v1
	s_mov_b32 s2, s8
	s_cbranch_vccnz .LBB217_8
; %bb.7:
	s_load_b32 s2, s[8:9], 0x0
.LBB217_8:
	v_cmp_ne_u32_e32 vcc_lo, 1, v1
	s_cbranch_vccnz .LBB217_10
; %bb.9:
	s_load_b32 s9, s[8:9], 0x4
.LBB217_10:
	s_waitcnt lgkmcnt(0)
	s_mov_b32 s12, s9
.LBB217_11:
	s_load_b32 s33, s[0:1], 0x0
	v_lshlrev_b32_e32 v9, 3, v0
	v_lshl_add_u32 v7, v0, 2, 0
	v_or_b32_e32 v8, 0xfffffc00, v0
	v_mov_b32_e32 v1, 0
	s_mov_b32 s0, 0
	s_delay_alu instid0(VALU_DEP_3)
	v_mov_b32_e32 v3, v7
	s_waitcnt lgkmcnt(0)
	v_dual_mov_b32 v5, v8 :: v_dual_mov_b32 v4, s33
	v_add3_u32 v2, v9, 0, 0x20004
.LBB217_12:                             ; =>This Inner Loop Header: Depth=1
	s_delay_alu instid0(VALU_DEP_2)
	v_add_nc_u32_e32 v5, 0x400, v5
	ds_store_b32 v3, v4
	v_add_nc_u32_e32 v6, -4, v2
	v_add_nc_u32_e32 v2, 0x2000, v2
	v_add_nc_u32_e32 v3, 0x1000, v3
	v_cmp_lt_u32_e32 vcc_lo, 0x7bff, v5
	ds_store_2addr_b32 v6, v1, v1 offset1:1
	s_or_b32 s0, vcc_lo, s0
	s_delay_alu instid0(SALU_CYCLE_1)
	s_and_not1_b32 exec_lo, exec_lo, s0
	s_cbranch_execnz .LBB217_12
; %bb.13:
	s_or_b32 exec_lo, exec_lo, s0
	s_waitcnt lgkmcnt(0)
	s_barrier
	buffer_gl0_inv
	s_load_b32 s0, s[36:37], 0x0
	s_mov_b32 s1, 0
	v_lshrrev_b32_e32 v10, 6, v0
	s_waitcnt lgkmcnt(0)
	s_add_i32 s0, s0, s15
	s_delay_alu instid0(SALU_CYCLE_1) | instskip(NEXT) | instid1(SALU_CYCLE_1)
	s_lshl_b64 s[0:1], s[0:1], 2
	s_add_u32 s0, s38, s0
	s_addc_u32 s1, s39, s1
	s_and_b32 vcc_lo, exec_lo, s42
	s_load_b32 s36, s[0:1], 0x0
	s_cbranch_vccz .LBB217_33
; %bb.14:
	s_waitcnt lgkmcnt(0)
	s_ashr_i32 s37, s36, 31
	s_mov_b32 s8, exec_lo
	s_lshl_b64 s[0:1], s[36:37], 3
	s_delay_alu instid0(SALU_CYCLE_1) | instskip(SKIP_3) | instid1(VALU_DEP_1)
	s_add_u32 s0, s16, s0
	s_addc_u32 s1, s17, s1
	s_load_b128 s[44:47], s[0:1], 0x0
	v_sub_co_u32 v1, s0, v10, s24
	v_sub_co_ci_u32_e64 v2, null, 0, 0, s0
	s_waitcnt lgkmcnt(0)
	s_delay_alu instid0(VALU_DEP_2) | instskip(NEXT) | instid1(VALU_DEP_2)
	v_add_co_u32 v1, vcc_lo, s44, v1
	v_add_co_ci_u32_e32 v2, vcc_lo, s45, v2, vcc_lo
	s_sub_u32 s0, s46, s24
	s_subb_u32 s1, s47, 0
	s_delay_alu instid0(VALU_DEP_1) | instid1(SALU_CYCLE_1)
	v_cmpx_gt_i64_e64 s[0:1], v[1:2]
	s_cbranch_execz .LBB217_32
; %bb.15:
	v_and_b32_e32 v3, 63, v0
	s_mov_b32 s15, s25
	s_delay_alu instid0(VALU_DEP_1) | instskip(NEXT) | instid1(VALU_DEP_1)
	v_sub_co_u32 v11, s9, v3, s25
	v_sub_co_ci_u32_e64 v12, null, 0, 0, s9
	s_mov_b32 s9, 0
	s_branch .LBB217_17
.LBB217_16:                             ;   in Loop: Header=BB217_17 Depth=1
	s_or_b32 exec_lo, exec_lo, s16
	v_add_co_u32 v1, vcc_lo, v1, 16
	v_add_co_ci_u32_e32 v2, vcc_lo, 0, v2, vcc_lo
	s_delay_alu instid0(VALU_DEP_1) | instskip(SKIP_1) | instid1(SALU_CYCLE_1)
	v_cmp_le_i64_e32 vcc_lo, s[0:1], v[1:2]
	s_or_b32 s9, vcc_lo, s9
	s_and_not1_b32 exec_lo, exec_lo, s9
	s_cbranch_execz .LBB217_32
.LBB217_17:                             ; =>This Loop Header: Depth=1
                                        ;     Child Loop BB217_20 Depth 2
                                        ;       Child Loop BB217_22 Depth 3
	v_lshlrev_b64 v[3:4], 2, v[1:2]
	s_mov_b32 s16, exec_lo
	s_delay_alu instid0(VALU_DEP_1) | instskip(NEXT) | instid1(VALU_DEP_2)
	v_add_co_u32 v3, vcc_lo, s18, v3
	v_add_co_ci_u32_e32 v4, vcc_lo, s19, v4, vcc_lo
	global_load_b32 v3, v[3:4], off
	s_waitcnt vmcnt(0)
	v_subrev_nc_u32_e32 v3, s24, v3
	s_delay_alu instid0(VALU_DEP_1) | instskip(NEXT) | instid1(VALU_DEP_1)
	v_ashrrev_i32_e32 v4, 31, v3
	v_lshlrev_b64 v[3:4], 3, v[3:4]
	s_delay_alu instid0(VALU_DEP_1) | instskip(NEXT) | instid1(VALU_DEP_2)
	v_add_co_u32 v3, vcc_lo, s22, v3
	v_add_co_ci_u32_e32 v4, vcc_lo, s23, v4, vcc_lo
	global_load_b128 v[13:16], v[3:4], off
	s_waitcnt vmcnt(0)
	v_sub_co_u32 v3, vcc_lo, v15, s15
	v_subrev_co_ci_u32_e32 v4, vcc_lo, 0, v16, vcc_lo
	v_add_co_u32 v5, vcc_lo, v13, v11
	v_add_co_ci_u32_e32 v6, vcc_lo, v14, v12, vcc_lo
	s_delay_alu instid0(VALU_DEP_1)
	v_cmpx_lt_i64_e64 v[5:6], v[3:4]
	s_cbranch_execz .LBB217_16
; %bb.18:                               ;   in Loop: Header=BB217_17 Depth=1
	v_lshlrev_b64 v[13:14], 3, v[1:2]
	s_mov_b32 s17, 0
	s_delay_alu instid0(VALU_DEP_1) | instskip(NEXT) | instid1(VALU_DEP_2)
	v_add_co_u32 v13, vcc_lo, s20, v13
	v_add_co_ci_u32_e32 v14, vcc_lo, s21, v14, vcc_lo
	global_load_b64 v[15:16], v[13:14], off
	s_waitcnt vmcnt(0)
	v_mul_f32_e64 v13, v16, -s3
	s_delay_alu instid0(VALU_DEP_1) | instskip(NEXT) | instid1(VALU_DEP_1)
	v_dual_mul_f32 v14, s13, v16 :: v_dual_fmac_f32 v13, s13, v15
	v_fmac_f32_e32 v14, s3, v15
	s_branch .LBB217_20
.LBB217_19:                             ;   in Loop: Header=BB217_20 Depth=2
	s_or_b32 exec_lo, exec_lo, s37
	v_add_co_u32 v5, vcc_lo, v5, 64
	v_add_co_ci_u32_e32 v6, vcc_lo, 0, v6, vcc_lo
	s_delay_alu instid0(VALU_DEP_1) | instskip(SKIP_1) | instid1(SALU_CYCLE_1)
	v_cmp_ge_i64_e32 vcc_lo, v[5:6], v[3:4]
	s_or_b32 s17, vcc_lo, s17
	s_and_not1_b32 exec_lo, exec_lo, s17
	s_cbranch_execz .LBB217_16
.LBB217_20:                             ;   Parent Loop BB217_17 Depth=1
                                        ; =>  This Loop Header: Depth=2
                                        ;       Child Loop BB217_22 Depth 3
	v_lshlrev_b64 v[15:16], 2, v[5:6]
	v_lshlrev_b64 v[17:18], 3, v[5:6]
	s_mov_b32 s37, 0
	s_delay_alu instid0(VALU_DEP_2) | instskip(NEXT) | instid1(VALU_DEP_3)
	v_add_co_u32 v15, vcc_lo, s4, v15
	v_add_co_ci_u32_e32 v16, vcc_lo, s5, v16, vcc_lo
	global_load_b32 v20, v[15:16], off
	v_add_co_u32 v15, vcc_lo, s6, v17
	v_add_co_ci_u32_e32 v16, vcc_lo, s7, v18, vcc_lo
	global_load_b64 v[18:19], v[15:16], off
	s_waitcnt vmcnt(1)
	v_subrev_nc_u32_e32 v15, s25, v20
	s_delay_alu instid0(VALU_DEP_1) | instskip(SKIP_3) | instid1(VALU_DEP_2)
	v_mul_lo_u32 v20, 0x89, v15
	s_waitcnt vmcnt(0)
	v_mul_f32_e64 v16, v19, -v14
	v_mul_f32_e32 v17, v13, v19
	v_fmac_f32_e32 v16, v13, v18
	s_delay_alu instid0(VALU_DEP_2)
	v_dual_fmac_f32 v17, v14, v18 :: v_dual_and_b32 v18, 0x7fff, v20
	s_branch .LBB217_22
.LBB217_21:                             ;   in Loop: Header=BB217_22 Depth=3
	s_or_b32 exec_lo, exec_lo, s38
	s_xor_b32 s38, s39, -1
	s_delay_alu instid0(SALU_CYCLE_1) | instskip(NEXT) | instid1(SALU_CYCLE_1)
	s_and_b32 s38, exec_lo, s38
	s_or_b32 s37, s38, s37
	s_delay_alu instid0(SALU_CYCLE_1)
	s_and_not1_b32 exec_lo, exec_lo, s37
	s_cbranch_execz .LBB217_19
.LBB217_22:                             ;   Parent Loop BB217_17 Depth=1
                                        ;     Parent Loop BB217_20 Depth=2
                                        ; =>    This Inner Loop Header: Depth=3
	s_delay_alu instid0(VALU_DEP_1)
	v_lshl_add_u32 v19, v18, 2, 0
	s_mov_b32 s38, exec_lo
                                        ; implicit-def: $sgpr39
	ds_load_b32 v20, v19
	s_waitcnt lgkmcnt(0)
	v_cmpx_ne_u32_e64 v20, v15
	s_xor_b32 s38, exec_lo, s38
	s_cbranch_execz .LBB217_30
; %bb.23:                               ;   in Loop: Header=BB217_22 Depth=3
	s_mov_b32 s42, exec_lo
                                        ; implicit-def: $sgpr39
	v_cmpx_ne_u32_e64 s33, v20
	s_xor_b32 s42, exec_lo, s42
; %bb.24:                               ;   in Loop: Header=BB217_22 Depth=3
	v_add_nc_u32_e32 v18, 1, v18
	s_mov_b32 s39, -1
                                        ; implicit-def: $vgpr19
	s_delay_alu instid0(VALU_DEP_1)
	v_and_b32_e32 v18, 0x7fff, v18
; %bb.25:                               ;   in Loop: Header=BB217_22 Depth=3
	s_and_not1_saveexec_b32 s42, s42
	s_cbranch_execz .LBB217_29
; %bb.26:                               ;   in Loop: Header=BB217_22 Depth=3
	v_mov_b32_e32 v20, s33
	s_mov_b32 s44, -1
	s_mov_b32 s43, exec_lo
	ds_cmpstore_rtn_b32 v19, v19, v15, v20
	s_waitcnt lgkmcnt(0)
	v_cmpx_eq_u32_e64 s33, v19
	s_cbranch_execz .LBB217_28
; %bb.27:                               ;   in Loop: Header=BB217_22 Depth=3
	v_lshlrev_b32_e32 v19, 3, v18
	s_xor_b32 s44, exec_lo, -1
	s_delay_alu instid0(VALU_DEP_1)
	v_add3_u32 v19, 0, v19, 0x20000
	ds_add_f32 v19, v16
	ds_add_f32 v19, v17 offset:4
.LBB217_28:                             ;   in Loop: Header=BB217_22 Depth=3
	s_or_b32 exec_lo, exec_lo, s43
	s_delay_alu instid0(SALU_CYCLE_1) | instskip(SKIP_1) | instid1(SALU_CYCLE_1)
	s_and_not1_b32 s39, s39, exec_lo
	s_and_b32 s43, s44, exec_lo
	s_or_b32 s39, s39, s43
.LBB217_29:                             ;   in Loop: Header=BB217_22 Depth=3
	s_or_b32 exec_lo, exec_lo, s42
	s_delay_alu instid0(SALU_CYCLE_1)
	s_and_b32 s39, s39, exec_lo
.LBB217_30:                             ;   in Loop: Header=BB217_22 Depth=3
	s_and_not1_saveexec_b32 s38, s38
	s_cbranch_execz .LBB217_21
; %bb.31:                               ;   in Loop: Header=BB217_22 Depth=3
	v_lshlrev_b32_e32 v19, 3, v18
	s_and_not1_b32 s39, s39, exec_lo
	s_delay_alu instid0(VALU_DEP_1)
	v_add3_u32 v19, 0, v19, 0x20000
	ds_add_f32 v19, v16
	ds_add_f32 v19, v17 offset:4
	s_branch .LBB217_21
.LBB217_32:
	s_or_b32 exec_lo, exec_lo, s8
.LBB217_33:
	s_delay_alu instid0(SALU_CYCLE_1)
	s_and_not1_b32 vcc_lo, exec_lo, s14
	s_cbranch_vccnz .LBB217_36
; %bb.34:
	s_waitcnt lgkmcnt(0)
	s_ashr_i32 s37, s36, 31
	s_mov_b32 s3, exec_lo
	s_lshl_b64 s[0:1], s[36:37], 3
	s_delay_alu instid0(SALU_CYCLE_1) | instskip(SKIP_3) | instid1(VALU_DEP_1)
	s_add_u32 s0, s10, s0
	s_addc_u32 s1, s11, s1
	s_load_b128 s[4:7], s[0:1], 0x0
	v_sub_co_u32 v1, s0, v0, s27
	v_sub_co_ci_u32_e64 v2, null, 0, 0, s0
	s_waitcnt lgkmcnt(0)
	s_delay_alu instid0(VALU_DEP_2) | instskip(NEXT) | instid1(VALU_DEP_2)
	v_add_co_u32 v1, vcc_lo, s4, v1
	v_add_co_ci_u32_e32 v2, vcc_lo, s5, v2, vcc_lo
	s_sub_u32 s0, s6, s27
	s_subb_u32 s1, s7, 0
	s_mov_b32 s4, 0
	s_delay_alu instid0(VALU_DEP_1)
	v_cmpx_gt_i64_e64 s[0:1], v[1:2]
	s_cbranch_execnz .LBB217_73
.LBB217_35:
	s_or_b32 exec_lo, exec_lo, s3
.LBB217_36:
	v_mbcnt_lo_u32_b32 v1, -1, 0
	s_add_i32 s29, 0, 0x6003c
	v_lshlrev_b32_e32 v2, 2, v10
	v_add3_u32 v5, v9, 0, 0x20000
	v_mov_b32_e32 v9, s29
	v_xor_b32_e32 v1, 63, v1
	v_cmp_eq_u32_e32 vcc_lo, 0x3ff, v0
	v_add3_u32 v4, 0, 0x60000, v2
	v_cmp_lt_u32_e64 s0, 63, v0
	v_cmp_lt_u32_e64 s1, 0x7f, v0
	v_lshrrev_b64 v[1:2], v1, -1
	v_cmp_lt_u32_e64 s2, 0xbf, v0
	v_cmp_lt_u32_e64 s3, 0xff, v0
	;; [unrolled: 1-line block ×13, first 2 shown]
	v_mov_b32_e32 v6, 0
	s_mov_b32 s16, 0
	s_add_i32 s17, 0, 0x60000
	s_add_i32 s18, 0, 0x60004
	;; [unrolled: 1-line block ×15, first 2 shown]
	s_waitcnt lgkmcnt(0)
	s_barrier
	buffer_gl0_inv
	s_branch .LBB217_38
.LBB217_37:                             ;   in Loop: Header=BB217_38 Depth=1
	s_or_b32 exec_lo, exec_lo, s15
	s_waitcnt lgkmcnt(0)
	s_barrier
	buffer_gl0_inv
	ds_load_b32 v2, v9
	v_add_nc_u32_e32 v8, 0x400, v8
	v_add_nc_u32_e32 v5, 0x2000, v5
	;; [unrolled: 1-line block ×3, first 2 shown]
	s_delay_alu instid0(VALU_DEP_3) | instskip(NEXT) | instid1(VALU_DEP_1)
	v_cmp_lt_u32_e64 s15, 0x7bff, v8
	s_or_b32 s16, s15, s16
	s_waitcnt lgkmcnt(0)
	v_add_nc_u32_e32 v6, v2, v6
	s_and_not1_b32 exec_lo, exec_lo, s16
	s_cbranch_execz .LBB217_85
.LBB217_38:                             ; =>This Inner Loop Header: Depth=1
	ds_load_b32 v10, v7
	ds_load_2addr_b32 v[2:3], v5 offset1:1
	s_waitcnt lgkmcnt(0)
	s_barrier
	buffer_gl0_inv
	v_cmp_gt_i32_e64 s15, s33, v10
	s_delay_alu instid0(VALU_DEP_1) | instskip(NEXT) | instid1(SALU_CYCLE_1)
	s_bcnt1_i32_b32 s39, s15
	v_dual_mov_b32 v12, s39 :: v_dual_and_b32 v11, s15, v1
	s_delay_alu instid0(VALU_DEP_1)
	v_bcnt_u32_b32 v11, v11, 0
	ds_store_b32 v4, v12
	s_waitcnt lgkmcnt(0)
	s_barrier
	buffer_gl0_inv
	s_and_saveexec_b32 s39, s0
	s_cbranch_execnz .LBB217_55
; %bb.39:                               ;   in Loop: Header=BB217_38 Depth=1
	s_or_b32 exec_lo, exec_lo, s39
	s_and_saveexec_b32 s39, s1
	s_cbranch_execnz .LBB217_56
.LBB217_40:                             ;   in Loop: Header=BB217_38 Depth=1
	s_or_b32 exec_lo, exec_lo, s39
	s_and_saveexec_b32 s39, s2
	s_cbranch_execnz .LBB217_57
.LBB217_41:                             ;   in Loop: Header=BB217_38 Depth=1
	s_or_b32 exec_lo, exec_lo, s39
	s_and_saveexec_b32 s39, s3
	s_cbranch_execnz .LBB217_58
.LBB217_42:                             ;   in Loop: Header=BB217_38 Depth=1
	s_or_b32 exec_lo, exec_lo, s39
	s_and_saveexec_b32 s39, s4
	s_cbranch_execnz .LBB217_59
.LBB217_43:                             ;   in Loop: Header=BB217_38 Depth=1
	s_or_b32 exec_lo, exec_lo, s39
	s_and_saveexec_b32 s39, s5
	s_cbranch_execnz .LBB217_60
.LBB217_44:                             ;   in Loop: Header=BB217_38 Depth=1
	s_or_b32 exec_lo, exec_lo, s39
	s_and_saveexec_b32 s39, s6
	s_cbranch_execnz .LBB217_61
.LBB217_45:                             ;   in Loop: Header=BB217_38 Depth=1
	s_or_b32 exec_lo, exec_lo, s39
	s_and_saveexec_b32 s39, s7
	s_cbranch_execnz .LBB217_62
.LBB217_46:                             ;   in Loop: Header=BB217_38 Depth=1
	s_or_b32 exec_lo, exec_lo, s39
	s_and_saveexec_b32 s39, s8
	s_cbranch_execnz .LBB217_63
.LBB217_47:                             ;   in Loop: Header=BB217_38 Depth=1
	s_or_b32 exec_lo, exec_lo, s39
	s_and_saveexec_b32 s39, s9
	s_cbranch_execnz .LBB217_64
.LBB217_48:                             ;   in Loop: Header=BB217_38 Depth=1
	s_or_b32 exec_lo, exec_lo, s39
	s_and_saveexec_b32 s39, s10
	s_cbranch_execnz .LBB217_65
.LBB217_49:                             ;   in Loop: Header=BB217_38 Depth=1
	s_or_b32 exec_lo, exec_lo, s39
	s_and_saveexec_b32 s39, s11
	s_cbranch_execnz .LBB217_66
.LBB217_50:                             ;   in Loop: Header=BB217_38 Depth=1
	s_or_b32 exec_lo, exec_lo, s39
	s_and_saveexec_b32 s39, s12
	s_cbranch_execnz .LBB217_67
.LBB217_51:                             ;   in Loop: Header=BB217_38 Depth=1
	s_or_b32 exec_lo, exec_lo, s39
	s_and_saveexec_b32 s39, s13
	s_cbranch_execnz .LBB217_68
.LBB217_52:                             ;   in Loop: Header=BB217_38 Depth=1
	s_or_b32 exec_lo, exec_lo, s39
	s_and_saveexec_b32 s39, s14
	s_cbranch_execnz .LBB217_69
.LBB217_53:                             ;   in Loop: Header=BB217_38 Depth=1
	s_or_b32 exec_lo, exec_lo, s39
	s_and_saveexec_b32 s39, s15
	s_cbranch_execnz .LBB217_70
.LBB217_54:                             ;   in Loop: Header=BB217_38 Depth=1
	s_or_b32 exec_lo, exec_lo, s39
	s_and_saveexec_b32 s15, vcc_lo
	s_cbranch_execz .LBB217_37
	s_branch .LBB217_71
.LBB217_55:                             ;   in Loop: Header=BB217_38 Depth=1
	v_mov_b32_e32 v12, s17
	ds_load_b32 v12, v12
	s_waitcnt lgkmcnt(0)
	v_add_nc_u32_e32 v11, v12, v11
	s_or_b32 exec_lo, exec_lo, s39
	s_and_saveexec_b32 s39, s1
	s_cbranch_execz .LBB217_40
.LBB217_56:                             ;   in Loop: Header=BB217_38 Depth=1
	v_mov_b32_e32 v12, s18
	ds_load_b32 v12, v12
	s_waitcnt lgkmcnt(0)
	v_add_nc_u32_e32 v11, v12, v11
	s_or_b32 exec_lo, exec_lo, s39
	s_and_saveexec_b32 s39, s2
	s_cbranch_execz .LBB217_41
.LBB217_57:                             ;   in Loop: Header=BB217_38 Depth=1
	v_mov_b32_e32 v12, s19
	ds_load_b32 v12, v12
	s_waitcnt lgkmcnt(0)
	v_add_nc_u32_e32 v11, v12, v11
	s_or_b32 exec_lo, exec_lo, s39
	s_and_saveexec_b32 s39, s3
	s_cbranch_execz .LBB217_42
.LBB217_58:                             ;   in Loop: Header=BB217_38 Depth=1
	v_mov_b32_e32 v12, s20
	ds_load_b32 v12, v12
	s_waitcnt lgkmcnt(0)
	v_add_nc_u32_e32 v11, v12, v11
	s_or_b32 exec_lo, exec_lo, s39
	s_and_saveexec_b32 s39, s4
	s_cbranch_execz .LBB217_43
.LBB217_59:                             ;   in Loop: Header=BB217_38 Depth=1
	v_mov_b32_e32 v12, s21
	ds_load_b32 v12, v12
	s_waitcnt lgkmcnt(0)
	v_add_nc_u32_e32 v11, v12, v11
	s_or_b32 exec_lo, exec_lo, s39
	s_and_saveexec_b32 s39, s5
	s_cbranch_execz .LBB217_44
.LBB217_60:                             ;   in Loop: Header=BB217_38 Depth=1
	v_mov_b32_e32 v12, s22
	ds_load_b32 v12, v12
	s_waitcnt lgkmcnt(0)
	v_add_nc_u32_e32 v11, v12, v11
	s_or_b32 exec_lo, exec_lo, s39
	s_and_saveexec_b32 s39, s6
	s_cbranch_execz .LBB217_45
.LBB217_61:                             ;   in Loop: Header=BB217_38 Depth=1
	v_mov_b32_e32 v12, s23
	ds_load_b32 v12, v12
	s_waitcnt lgkmcnt(0)
	v_add_nc_u32_e32 v11, v12, v11
	s_or_b32 exec_lo, exec_lo, s39
	s_and_saveexec_b32 s39, s7
	s_cbranch_execz .LBB217_46
.LBB217_62:                             ;   in Loop: Header=BB217_38 Depth=1
	v_mov_b32_e32 v12, s24
	ds_load_b32 v12, v12
	s_waitcnt lgkmcnt(0)
	v_add_nc_u32_e32 v11, v12, v11
	s_or_b32 exec_lo, exec_lo, s39
	s_and_saveexec_b32 s39, s8
	s_cbranch_execz .LBB217_47
.LBB217_63:                             ;   in Loop: Header=BB217_38 Depth=1
	v_mov_b32_e32 v12, s25
	ds_load_b32 v12, v12
	s_waitcnt lgkmcnt(0)
	v_add_nc_u32_e32 v11, v12, v11
	s_or_b32 exec_lo, exec_lo, s39
	s_and_saveexec_b32 s39, s9
	s_cbranch_execz .LBB217_48
.LBB217_64:                             ;   in Loop: Header=BB217_38 Depth=1
	v_mov_b32_e32 v12, s27
	ds_load_b32 v12, v12
	s_waitcnt lgkmcnt(0)
	v_add_nc_u32_e32 v11, v12, v11
	s_or_b32 exec_lo, exec_lo, s39
	s_and_saveexec_b32 s39, s10
	s_cbranch_execz .LBB217_49
.LBB217_65:                             ;   in Loop: Header=BB217_38 Depth=1
	v_mov_b32_e32 v12, s28
	ds_load_b32 v12, v12
	s_waitcnt lgkmcnt(0)
	v_add_nc_u32_e32 v11, v12, v11
	s_or_b32 exec_lo, exec_lo, s39
	s_and_saveexec_b32 s39, s11
	s_cbranch_execz .LBB217_50
.LBB217_66:                             ;   in Loop: Header=BB217_38 Depth=1
	v_mov_b32_e32 v12, s30
	ds_load_b32 v12, v12
	s_waitcnt lgkmcnt(0)
	v_add_nc_u32_e32 v11, v12, v11
	s_or_b32 exec_lo, exec_lo, s39
	s_and_saveexec_b32 s39, s12
	s_cbranch_execz .LBB217_51
.LBB217_67:                             ;   in Loop: Header=BB217_38 Depth=1
	v_mov_b32_e32 v12, s31
	ds_load_b32 v12, v12
	s_waitcnt lgkmcnt(0)
	v_add_nc_u32_e32 v11, v12, v11
	s_or_b32 exec_lo, exec_lo, s39
	s_and_saveexec_b32 s39, s13
	s_cbranch_execz .LBB217_52
.LBB217_68:                             ;   in Loop: Header=BB217_38 Depth=1
	v_mov_b32_e32 v12, s37
	ds_load_b32 v12, v12
	s_waitcnt lgkmcnt(0)
	v_add_nc_u32_e32 v11, v12, v11
	s_or_b32 exec_lo, exec_lo, s39
	s_and_saveexec_b32 s39, s14
	s_cbranch_execz .LBB217_53
.LBB217_69:                             ;   in Loop: Header=BB217_38 Depth=1
	v_mov_b32_e32 v12, s38
	ds_load_b32 v12, v12
	s_waitcnt lgkmcnt(0)
	v_add_nc_u32_e32 v11, v12, v11
	s_or_b32 exec_lo, exec_lo, s39
	s_and_saveexec_b32 s39, s15
	s_cbranch_execz .LBB217_54
.LBB217_70:                             ;   in Loop: Header=BB217_38 Depth=1
	s_delay_alu instid0(VALU_DEP_1) | instskip(NEXT) | instid1(VALU_DEP_1)
	v_add3_u32 v12, v6, -1, v11
	v_lshlrev_b32_e32 v13, 3, v12
	v_lshl_add_u32 v12, v12, 2, 0
	s_delay_alu instid0(VALU_DEP_2)
	v_add3_u32 v13, 0, v13, 0x20000
	ds_store_b32 v12, v10
	ds_store_2addr_b32 v13, v2, v3 offset1:1
	s_or_b32 exec_lo, exec_lo, s39
	s_and_saveexec_b32 s15, vcc_lo
	s_cbranch_execz .LBB217_37
.LBB217_71:                             ;   in Loop: Header=BB217_38 Depth=1
	v_mov_b32_e32 v2, s29
	ds_store_b32 v2, v11
	s_branch .LBB217_37
.LBB217_72:                             ;   in Loop: Header=BB217_73 Depth=1
	s_or_b32 exec_lo, exec_lo, s5
	v_add_co_u32 v1, vcc_lo, 0x400, v1
	v_add_co_ci_u32_e32 v2, vcc_lo, 0, v2, vcc_lo
	s_delay_alu instid0(VALU_DEP_1) | instskip(SKIP_1) | instid1(SALU_CYCLE_1)
	v_cmp_le_i64_e32 vcc_lo, s[0:1], v[1:2]
	s_or_b32 s4, vcc_lo, s4
	s_and_not1_b32 exec_lo, exec_lo, s4
	s_cbranch_execz .LBB217_35
.LBB217_73:                             ; =>This Loop Header: Depth=1
                                        ;     Child Loop BB217_75 Depth 2
	v_lshlrev_b64 v[3:4], 2, v[1:2]
	v_lshlrev_b64 v[5:6], 3, v[1:2]
	s_mov_b32 s5, 0
	s_delay_alu instid0(VALU_DEP_2) | instskip(NEXT) | instid1(VALU_DEP_3)
	v_add_co_u32 v3, vcc_lo, s28, v3
	v_add_co_ci_u32_e32 v4, vcc_lo, s29, v4, vcc_lo
	global_load_b32 v13, v[3:4], off
	v_add_co_u32 v3, vcc_lo, s30, v5
	v_add_co_ci_u32_e32 v4, vcc_lo, s31, v6, vcc_lo
	global_load_b64 v[11:12], v[3:4], off
	s_waitcnt vmcnt(1)
	v_subrev_nc_u32_e32 v3, s27, v13
	s_delay_alu instid0(VALU_DEP_1) | instskip(SKIP_2) | instid1(VALU_DEP_1)
	v_mul_lo_u32 v6, 0x89, v3
	s_waitcnt vmcnt(0)
	v_mul_f32_e64 v4, v12, -s12
	v_dual_mul_f32 v5, s2, v12 :: v_dual_fmac_f32 v4, s2, v11
	s_delay_alu instid0(VALU_DEP_1)
	v_dual_fmac_f32 v5, s12, v11 :: v_dual_and_b32 v6, 0x7fff, v6
	s_branch .LBB217_75
.LBB217_74:                             ;   in Loop: Header=BB217_75 Depth=2
	s_or_b32 exec_lo, exec_lo, s6
	s_xor_b32 s6, s7, -1
	s_delay_alu instid0(SALU_CYCLE_1) | instskip(NEXT) | instid1(SALU_CYCLE_1)
	s_and_b32 s6, exec_lo, s6
	s_or_b32 s5, s6, s5
	s_delay_alu instid0(SALU_CYCLE_1)
	s_and_not1_b32 exec_lo, exec_lo, s5
	s_cbranch_execz .LBB217_72
.LBB217_75:                             ;   Parent Loop BB217_73 Depth=1
                                        ; =>  This Inner Loop Header: Depth=2
	s_delay_alu instid0(VALU_DEP_1)
	v_lshl_add_u32 v11, v6, 2, 0
	s_mov_b32 s6, exec_lo
                                        ; implicit-def: $sgpr7
	ds_load_b32 v12, v11
	s_waitcnt lgkmcnt(0)
	v_cmpx_ne_u32_e64 v12, v3
	s_xor_b32 s6, exec_lo, s6
	s_cbranch_execz .LBB217_83
; %bb.76:                               ;   in Loop: Header=BB217_75 Depth=2
	s_mov_b32 s8, exec_lo
                                        ; implicit-def: $sgpr7
	v_cmpx_ne_u32_e64 s33, v12
	s_xor_b32 s8, exec_lo, s8
; %bb.77:                               ;   in Loop: Header=BB217_75 Depth=2
	v_add_nc_u32_e32 v6, 1, v6
	s_mov_b32 s7, -1
                                        ; implicit-def: $vgpr11
	s_delay_alu instid0(VALU_DEP_1)
	v_and_b32_e32 v6, 0x7fff, v6
; %bb.78:                               ;   in Loop: Header=BB217_75 Depth=2
	s_and_not1_saveexec_b32 s8, s8
	s_cbranch_execz .LBB217_82
; %bb.79:                               ;   in Loop: Header=BB217_75 Depth=2
	v_mov_b32_e32 v12, s33
	s_mov_b32 s10, -1
	s_mov_b32 s9, exec_lo
	ds_cmpstore_rtn_b32 v11, v11, v3, v12
	s_waitcnt lgkmcnt(0)
	v_cmpx_eq_u32_e64 s33, v11
	s_cbranch_execz .LBB217_81
; %bb.80:                               ;   in Loop: Header=BB217_75 Depth=2
	v_lshlrev_b32_e32 v11, 3, v6
	s_xor_b32 s10, exec_lo, -1
	s_delay_alu instid0(VALU_DEP_1)
	v_add3_u32 v11, 0, v11, 0x20000
	ds_add_f32 v11, v4
	ds_add_f32 v11, v5 offset:4
.LBB217_81:                             ;   in Loop: Header=BB217_75 Depth=2
	s_or_b32 exec_lo, exec_lo, s9
	s_delay_alu instid0(SALU_CYCLE_1) | instskip(SKIP_1) | instid1(SALU_CYCLE_1)
	s_and_not1_b32 s7, s7, exec_lo
	s_and_b32 s9, s10, exec_lo
	s_or_b32 s7, s7, s9
.LBB217_82:                             ;   in Loop: Header=BB217_75 Depth=2
	s_or_b32 exec_lo, exec_lo, s8
	s_delay_alu instid0(SALU_CYCLE_1)
	s_and_b32 s7, s7, exec_lo
.LBB217_83:                             ;   in Loop: Header=BB217_75 Depth=2
	s_and_not1_saveexec_b32 s6, s6
	s_cbranch_execz .LBB217_74
; %bb.84:                               ;   in Loop: Header=BB217_75 Depth=2
	v_lshlrev_b32_e32 v11, 3, v6
	s_and_not1_b32 s7, s7, exec_lo
	s_delay_alu instid0(VALU_DEP_1)
	v_add3_u32 v11, 0, v11, 0x20000
	ds_add_f32 v11, v4
	ds_add_f32 v11, v5 offset:4
	s_branch .LBB217_74
.LBB217_85:
	s_or_b32 exec_lo, exec_lo, s16
	s_ashr_i32 s37, s36, 31
	s_mov_b32 s4, exec_lo
	s_lshl_b64 s[0:1], s[36:37], 3
	s_delay_alu instid0(SALU_CYCLE_1) | instskip(SKIP_4) | instid1(SALU_CYCLE_1)
	s_add_u32 s0, s40, s0
	s_addc_u32 s1, s41, s1
	s_load_b128 s[0:3], s[0:1], 0x0
	s_waitcnt lgkmcnt(0)
	s_sub_i32 s3, s2, s0
	v_cmpx_gt_i32_e64 s3, v0
	s_cbranch_execz .LBB217_95
; %bb.86:
	s_sub_u32 s4, s0, s26
	s_subb_u32 s5, s1, 0
	s_sub_i32 s0, s0, s2
	s_and_b32 s1, s3, 7
	s_cmp_lt_u32 s0, -7
	s_mov_b32 s8, 0
	s_cselect_b32 s2, -1, 0
	s_and_b32 s6, s3, -8
	s_cmp_lg_u32 s1, 0
	s_cselect_b32 s7, -1, 0
	s_branch .LBB217_88
.LBB217_87:                             ;   in Loop: Header=BB217_88 Depth=1
	s_delay_alu instid0(VALU_DEP_1) | instskip(SKIP_1) | instid1(VALU_DEP_1)
	v_lshlrev_b64 v[3:4], 3, v[3:4]
	v_add_nc_u32_e32 v0, 0x400, v0
	v_cmp_le_i32_e32 vcc_lo, s3, v0
	s_delay_alu instid0(VALU_DEP_3) | instskip(NEXT) | instid1(VALU_DEP_1)
	v_add_co_u32 v3, s0, s34, v3
	v_add_co_ci_u32_e64 v4, s0, s35, v4, s0
	s_or_b32 s8, vcc_lo, s8
	s_waitcnt lgkmcnt(0)
	global_store_b64 v[3:4], v[1:2], off
	s_and_not1_b32 exec_lo, exec_lo, s8
	s_cbranch_execz .LBB217_95
.LBB217_88:                             ; =>This Loop Header: Depth=1
                                        ;     Child Loop BB217_90 Depth 2
                                        ;     Child Loop BB217_94 Depth 2
	v_lshlrev_b32_e32 v1, 3, v0
	v_lshl_add_u32 v2, v0, 2, 0
	v_dual_mov_b32 v3, s4 :: v_dual_mov_b32 v4, s5
	s_and_not1_b32 vcc_lo, exec_lo, s2
	s_delay_alu instid0(VALU_DEP_3)
	v_add3_u32 v1, 0, v1, 0x20000
	s_mov_b32 s0, 0
	ds_load_b32 v5, v2
	ds_load_2addr_b32 v[1:2], v1 offset1:1
	s_cbranch_vccnz .LBB217_92
; %bb.89:                               ;   in Loop: Header=BB217_88 Depth=1
	v_dual_mov_b32 v3, s4 :: v_dual_mov_b32 v4, s5
	s_mov_b32 s9, 0
	s_mov_b32 s10, 0
.LBB217_90:                             ;   Parent Loop BB217_88 Depth=1
                                        ; =>  This Inner Loop Header: Depth=2
	s_delay_alu instid0(SALU_CYCLE_1)
	v_mov_b32_e32 v12, s10
	s_add_i32 s9, s9, 8
	s_add_i32 s10, s10, 32
	s_cmp_eq_u32 s6, s9
	ds_load_2addr_b32 v[6:7], v12 offset1:1
	ds_load_2addr_b32 v[8:9], v12 offset0:2 offset1:3
	ds_load_2addr_b32 v[10:11], v12 offset0:4 offset1:5
	;; [unrolled: 1-line block ×3, first 2 shown]
	s_waitcnt lgkmcnt(3)
	v_cmp_gt_i32_e32 vcc_lo, v5, v6
	v_cndmask_b32_e64 v6, 0, 1, vcc_lo
	v_cmp_gt_i32_e32 vcc_lo, v5, v7
	v_cndmask_b32_e64 v7, 0, 1, vcc_lo
	s_waitcnt lgkmcnt(2)
	v_cmp_gt_i32_e32 vcc_lo, v5, v8
	v_cndmask_b32_e64 v8, 0, 1, vcc_lo
	v_cmp_gt_i32_e32 vcc_lo, v5, v9
	v_cndmask_b32_e64 v9, 0, 1, vcc_lo
	s_waitcnt lgkmcnt(1)
	v_cmp_gt_i32_e32 vcc_lo, v5, v10
	v_cndmask_b32_e64 v10, 0, 1, vcc_lo
	v_add_co_u32 v3, vcc_lo, v3, v6
	v_add_co_ci_u32_e32 v4, vcc_lo, 0, v4, vcc_lo
	v_cmp_gt_i32_e32 vcc_lo, v5, v11
	s_delay_alu instid0(VALU_DEP_3) | instskip(NEXT) | instid1(VALU_DEP_1)
	v_add_co_u32 v3, s0, v3, v7
	v_add_co_ci_u32_e64 v4, s0, 0, v4, s0
	v_cndmask_b32_e64 v6, 0, 1, vcc_lo
	s_delay_alu instid0(VALU_DEP_3) | instskip(NEXT) | instid1(VALU_DEP_3)
	v_add_co_u32 v3, vcc_lo, v3, v8
	v_add_co_ci_u32_e32 v4, vcc_lo, 0, v4, vcc_lo
	s_waitcnt lgkmcnt(0)
	v_cmp_gt_i32_e32 vcc_lo, v5, v12
	s_delay_alu instid0(VALU_DEP_3) | instskip(NEXT) | instid1(VALU_DEP_1)
	v_add_co_u32 v3, s0, v3, v9
	v_add_co_ci_u32_e64 v4, s0, 0, v4, s0
	v_cndmask_b32_e64 v7, 0, 1, vcc_lo
	s_delay_alu instid0(VALU_DEP_3) | instskip(NEXT) | instid1(VALU_DEP_3)
	v_add_co_u32 v3, vcc_lo, v3, v10
	v_add_co_ci_u32_e32 v4, vcc_lo, 0, v4, vcc_lo
	v_cmp_gt_i32_e32 vcc_lo, v5, v13
	s_delay_alu instid0(VALU_DEP_3) | instskip(NEXT) | instid1(VALU_DEP_1)
	v_add_co_u32 v3, s0, v3, v6
	v_add_co_ci_u32_e64 v4, s0, 0, v4, s0
	v_cndmask_b32_e64 v6, 0, 1, vcc_lo
	s_delay_alu instid0(VALU_DEP_3) | instskip(NEXT) | instid1(VALU_DEP_3)
	v_add_co_u32 v3, vcc_lo, v3, v7
	v_add_co_ci_u32_e32 v4, vcc_lo, 0, v4, vcc_lo
	s_delay_alu instid0(VALU_DEP_2) | instskip(NEXT) | instid1(VALU_DEP_2)
	v_add_co_u32 v3, vcc_lo, v3, v6
	v_add_co_ci_u32_e32 v4, vcc_lo, 0, v4, vcc_lo
	s_cbranch_scc0 .LBB217_90
; %bb.91:                               ;   in Loop: Header=BB217_88 Depth=1
	s_mov_b32 s0, s6
.LBB217_92:                             ;   in Loop: Header=BB217_88 Depth=1
	s_and_not1_b32 vcc_lo, exec_lo, s7
	s_cbranch_vccnz .LBB217_87
; %bb.93:                               ;   in Loop: Header=BB217_88 Depth=1
	s_lshl_b32 s0, s0, 2
	s_mov_b32 s9, s1
	s_add_i32 s0, s0, 0
.LBB217_94:                             ;   Parent Loop BB217_88 Depth=1
                                        ; =>  This Inner Loop Header: Depth=2
	s_delay_alu instid0(SALU_CYCLE_1)
	v_mov_b32_e32 v6, s0
	s_add_i32 s9, s9, -1
	s_add_i32 s0, s0, 4
	s_cmp_lg_u32 s9, 0
	ds_load_b32 v6, v6
	s_waitcnt lgkmcnt(0)
	v_cmp_gt_i32_e32 vcc_lo, v5, v6
	v_cndmask_b32_e64 v6, 0, 1, vcc_lo
	s_delay_alu instid0(VALU_DEP_1)
	v_add_co_u32 v3, vcc_lo, v3, v6
	v_add_co_ci_u32_e32 v4, vcc_lo, 0, v4, vcc_lo
	s_cbranch_scc1 .LBB217_94
	s_branch .LBB217_87
.LBB217_95:
	s_nop 0
	s_sendmsg sendmsg(MSG_DEALLOC_VGPRS)
	s_endpgm
	.section	.rodata,"a",@progbits
	.p2align	6, 0x0
	.amdhsa_kernel _ZN9rocsparseL41csrgemm_numeric_fill_block_per_row_kernelILj1024ELj64ELj32768ELj137ELj64Eli21rocsparse_complex_numIfEEEvT5_PKS3_S5_NS_24const_host_device_scalarIT6_EEPKT4_S5_PKS7_SB_S5_SD_S8_SB_S5_SD_SB_S5_PS7_21rocsparse_index_base_SF_SF_SF_bbb
		.amdhsa_group_segment_fixed_size 0
		.amdhsa_private_segment_fixed_size 0
		.amdhsa_kernarg_size 156
		.amdhsa_user_sgpr_count 15
		.amdhsa_user_sgpr_dispatch_ptr 0
		.amdhsa_user_sgpr_queue_ptr 0
		.amdhsa_user_sgpr_kernarg_segment_ptr 1
		.amdhsa_user_sgpr_dispatch_id 0
		.amdhsa_user_sgpr_private_segment_size 0
		.amdhsa_wavefront_size32 1
		.amdhsa_uses_dynamic_stack 0
		.amdhsa_enable_private_segment 0
		.amdhsa_system_sgpr_workgroup_id_x 1
		.amdhsa_system_sgpr_workgroup_id_y 0
		.amdhsa_system_sgpr_workgroup_id_z 0
		.amdhsa_system_sgpr_workgroup_info 0
		.amdhsa_system_vgpr_workitem_id 0
		.amdhsa_next_free_vgpr 21
		.amdhsa_next_free_sgpr 48
		.amdhsa_reserve_vcc 1
		.amdhsa_float_round_mode_32 0
		.amdhsa_float_round_mode_16_64 0
		.amdhsa_float_denorm_mode_32 3
		.amdhsa_float_denorm_mode_16_64 3
		.amdhsa_dx10_clamp 1
		.amdhsa_ieee_mode 1
		.amdhsa_fp16_overflow 0
		.amdhsa_workgroup_processor_mode 1
		.amdhsa_memory_ordered 1
		.amdhsa_forward_progress 0
		.amdhsa_shared_vgpr_count 0
		.amdhsa_exception_fp_ieee_invalid_op 0
		.amdhsa_exception_fp_denorm_src 0
		.amdhsa_exception_fp_ieee_div_zero 0
		.amdhsa_exception_fp_ieee_overflow 0
		.amdhsa_exception_fp_ieee_underflow 0
		.amdhsa_exception_fp_ieee_inexact 0
		.amdhsa_exception_int_div_zero 0
	.end_amdhsa_kernel
	.section	.text._ZN9rocsparseL41csrgemm_numeric_fill_block_per_row_kernelILj1024ELj64ELj32768ELj137ELj64Eli21rocsparse_complex_numIfEEEvT5_PKS3_S5_NS_24const_host_device_scalarIT6_EEPKT4_S5_PKS7_SB_S5_SD_S8_SB_S5_SD_SB_S5_PS7_21rocsparse_index_base_SF_SF_SF_bbb,"axG",@progbits,_ZN9rocsparseL41csrgemm_numeric_fill_block_per_row_kernelILj1024ELj64ELj32768ELj137ELj64Eli21rocsparse_complex_numIfEEEvT5_PKS3_S5_NS_24const_host_device_scalarIT6_EEPKT4_S5_PKS7_SB_S5_SD_S8_SB_S5_SD_SB_S5_PS7_21rocsparse_index_base_SF_SF_SF_bbb,comdat
.Lfunc_end217:
	.size	_ZN9rocsparseL41csrgemm_numeric_fill_block_per_row_kernelILj1024ELj64ELj32768ELj137ELj64Eli21rocsparse_complex_numIfEEEvT5_PKS3_S5_NS_24const_host_device_scalarIT6_EEPKT4_S5_PKS7_SB_S5_SD_S8_SB_S5_SD_SB_S5_PS7_21rocsparse_index_base_SF_SF_SF_bbb, .Lfunc_end217-_ZN9rocsparseL41csrgemm_numeric_fill_block_per_row_kernelILj1024ELj64ELj32768ELj137ELj64Eli21rocsparse_complex_numIfEEEvT5_PKS3_S5_NS_24const_host_device_scalarIT6_EEPKT4_S5_PKS7_SB_S5_SD_S8_SB_S5_SD_SB_S5_PS7_21rocsparse_index_base_SF_SF_SF_bbb
                                        ; -- End function
	.section	.AMDGPU.csdata,"",@progbits
; Kernel info:
; codeLenInByte = 3836
; NumSgprs: 50
; NumVgprs: 21
; ScratchSize: 0
; MemoryBound: 0
; FloatMode: 240
; IeeeMode: 1
; LDSByteSize: 0 bytes/workgroup (compile time only)
; SGPRBlocks: 6
; VGPRBlocks: 2
; NumSGPRsForWavesPerEU: 50
; NumVGPRsForWavesPerEU: 21
; Occupancy: 16
; WaveLimiterHint : 1
; COMPUTE_PGM_RSRC2:SCRATCH_EN: 0
; COMPUTE_PGM_RSRC2:USER_SGPR: 15
; COMPUTE_PGM_RSRC2:TRAP_HANDLER: 0
; COMPUTE_PGM_RSRC2:TGID_X_EN: 1
; COMPUTE_PGM_RSRC2:TGID_Y_EN: 0
; COMPUTE_PGM_RSRC2:TGID_Z_EN: 0
; COMPUTE_PGM_RSRC2:TIDIG_COMP_CNT: 0
	.section	.text._ZN9rocsparseL51csrgemm_numeric_fill_block_per_row_multipass_kernelILj512ELj16ELj2048ELj32Eli21rocsparse_complex_numIfEEEvT4_PKS3_S5_NS_24const_host_device_scalarIT5_EEPKT3_S5_PKS7_SB_S5_SD_S8_SB_S5_SD_SB_S5_PS7_PS9_21rocsparse_index_base_SG_SG_SG_bbb,"axG",@progbits,_ZN9rocsparseL51csrgemm_numeric_fill_block_per_row_multipass_kernelILj512ELj16ELj2048ELj32Eli21rocsparse_complex_numIfEEEvT4_PKS3_S5_NS_24const_host_device_scalarIT5_EEPKT3_S5_PKS7_SB_S5_SD_S8_SB_S5_SD_SB_S5_PS7_PS9_21rocsparse_index_base_SG_SG_SG_bbb,comdat
	.globl	_ZN9rocsparseL51csrgemm_numeric_fill_block_per_row_multipass_kernelILj512ELj16ELj2048ELj32Eli21rocsparse_complex_numIfEEEvT4_PKS3_S5_NS_24const_host_device_scalarIT5_EEPKT3_S5_PKS7_SB_S5_SD_S8_SB_S5_SD_SB_S5_PS7_PS9_21rocsparse_index_base_SG_SG_SG_bbb ; -- Begin function _ZN9rocsparseL51csrgemm_numeric_fill_block_per_row_multipass_kernelILj512ELj16ELj2048ELj32Eli21rocsparse_complex_numIfEEEvT4_PKS3_S5_NS_24const_host_device_scalarIT5_EEPKT3_S5_PKS7_SB_S5_SD_S8_SB_S5_SD_SB_S5_PS7_PS9_21rocsparse_index_base_SG_SG_SG_bbb
	.p2align	8
	.type	_ZN9rocsparseL51csrgemm_numeric_fill_block_per_row_multipass_kernelILj512ELj16ELj2048ELj32Eli21rocsparse_complex_numIfEEEvT4_PKS3_S5_NS_24const_host_device_scalarIT5_EEPKT3_S5_PKS7_SB_S5_SD_S8_SB_S5_SD_SB_S5_PS7_PS9_21rocsparse_index_base_SG_SG_SG_bbb,@function
_ZN9rocsparseL51csrgemm_numeric_fill_block_per_row_multipass_kernelILj512ELj16ELj2048ELj32Eli21rocsparse_complex_numIfEEEvT4_PKS3_S5_NS_24const_host_device_scalarIT5_EEPKT3_S5_PKS7_SB_S5_SD_S8_SB_S5_SD_SB_S5_PS7_PS9_21rocsparse_index_base_SG_SG_SG_bbb: ; @_ZN9rocsparseL51csrgemm_numeric_fill_block_per_row_multipass_kernelILj512ELj16ELj2048ELj32Eli21rocsparse_complex_numIfEEEvT4_PKS3_S5_NS_24const_host_device_scalarIT5_EEPKT3_S5_PKS7_SB_S5_SD_S8_SB_S5_SD_SB_S5_PS7_PS9_21rocsparse_index_base_SG_SG_SG_bbb
; %bb.0:
	s_clause 0x6
	s_load_b32 s10, s[0:1], 0xa0
	s_load_b256 s[24:31], s[0:1], 0x80
	s_load_b64 s[2:3], s[0:1], 0x70
	s_load_b128 s[52:55], s[0:1], 0x60
	s_load_b256 s[36:43], s[0:1], 0x40
	s_load_b128 s[4:7], s[0:1], 0x8
	s_load_b256 s[44:51], s[0:1], 0x20
	s_mov_b32 s21, 0
	s_mov_b32 s33, 0
	s_waitcnt lgkmcnt(0)
	s_bitcmp1_b32 s10, 0
	s_cselect_b32 s8, -1, 0
	s_bitcmp1_b32 s10, 16
	s_cselect_b32 s9, -1, 0
	s_delay_alu instid0(SALU_CYCLE_1)
	s_xor_b32 s9, s9, -1
	s_bitcmp0_b32 s10, 0
	s_cbranch_scc1 .LBB218_5
; %bb.1:
	s_load_b64 s[20:21], s[0:1], 0x18
	s_and_not1_b32 vcc_lo, exec_lo, s9
	s_waitcnt lgkmcnt(0)
	s_mov_b32 s33, s20
	s_cbranch_vccnz .LBB218_3
; %bb.2:
	s_load_b32 s33, s[20:21], 0x0
.LBB218_3:
	s_and_not1_b32 vcc_lo, exec_lo, s9
	s_cbranch_vccnz .LBB218_5
; %bb.4:
	s_load_b32 s21, s[20:21], 0x4
.LBB218_5:
	s_bitcmp1_b32 s10, 8
	s_mov_b32 s58, 0
	s_cselect_b32 s56, -1, 0
	s_bfe_u32 s10, s10, 0x10008
	s_mov_b32 s57, 0
	s_cmp_eq_u32 s10, 0
	s_cbranch_scc1 .LBB218_11
; %bb.6:
	v_cndmask_b32_e64 v1, 0, 1, s9
	s_and_not1_b32 vcc_lo, exec_lo, s9
	s_mov_b32 s57, s40
	s_cbranch_vccnz .LBB218_8
; %bb.7:
	s_load_b32 s57, s[40:41], 0x0
.LBB218_8:
	s_delay_alu instid0(VALU_DEP_1)
	v_cmp_ne_u32_e32 vcc_lo, 1, v1
	s_cbranch_vccnz .LBB218_10
; %bb.9:
	s_load_b32 s41, s[40:41], 0x4
.LBB218_10:
	s_waitcnt lgkmcnt(0)
	s_mov_b32 s58, s41
.LBB218_11:
	s_load_b32 s4, s[4:5], 0x0
	s_mov_b32 s5, 0
	s_mov_b64 s[22:23], 0
	s_waitcnt lgkmcnt(0)
	s_add_i32 s4, s4, s15
	s_delay_alu instid0(SALU_CYCLE_1) | instskip(NEXT) | instid1(SALU_CYCLE_1)
	s_lshl_b64 s[4:5], s[4:5], 2
	s_add_u32 s4, s6, s4
	s_addc_u32 s5, s7, s5
	s_and_not1_b32 vcc_lo, exec_lo, s8
	s_load_b32 s6, s[4:5], 0x0
	s_mov_b64 s[4:5], 0
	s_cbranch_vccz .LBB218_14
; %bb.12:
	s_and_not1_b32 vcc_lo, exec_lo, s8
	s_cbranch_vccz .LBB218_15
.LBB218_13:
	s_load_b32 s40, s[0:1], 0x0
	s_waitcnt lgkmcnt(0)
	s_cmp_lt_i32 s40, 1
	s_cbranch_scc0 .LBB218_16
	s_branch .LBB218_69
.LBB218_14:
	s_waitcnt lgkmcnt(0)
	s_ashr_i32 s7, s6, 31
	s_delay_alu instid0(SALU_CYCLE_1) | instskip(NEXT) | instid1(SALU_CYCLE_1)
	s_lshl_b64 s[4:5], s[6:7], 3
	s_add_u32 s4, s44, s4
	s_addc_u32 s5, s45, s5
	s_load_b64 s[4:5], s[4:5], 0x0
	s_waitcnt lgkmcnt(0)
	s_sub_u32 s4, s4, s28
	s_subb_u32 s5, s5, 0
	s_and_not1_b32 vcc_lo, exec_lo, s8
	s_cbranch_vccnz .LBB218_13
.LBB218_15:
	s_waitcnt lgkmcnt(0)
	s_ashr_i32 s7, s6, 31
	s_delay_alu instid0(SALU_CYCLE_1) | instskip(NEXT) | instid1(SALU_CYCLE_1)
	s_lshl_b64 s[10:11], s[6:7], 3
	s_add_u32 s10, s44, s10
	s_addc_u32 s11, s45, s11
	s_load_b64 s[10:11], s[10:11], 0x8
	s_waitcnt lgkmcnt(0)
	s_sub_u32 s22, s10, s28
	s_subb_u32 s23, s11, 0
	s_load_b32 s40, s[0:1], 0x0
	s_waitcnt lgkmcnt(0)
	s_cmp_lt_i32 s40, 1
	s_cbranch_scc1 .LBB218_69
.LBB218_16:
	s_ashr_i32 s7, s6, 31
	v_lshrrev_b32_e32 v2, 4, v0
	s_lshl_b64 s[6:7], s[6:7], 3
	v_mbcnt_lo_u32_b32 v5, -1, 0
	s_add_u32 s2, s2, s6
	s_addc_u32 s3, s3, s7
	v_sub_co_u32 v27, s1, v0, s31
	s_load_b64 s[10:11], s[2:3], 0x0
	v_sub_co_ci_u32_e64 v28, null, 0, 0, s1
	v_add_co_u32 v3, s1, s4, v2
	v_xor_b32_e32 v2, 8, v5
	v_xor_b32_e32 v6, 4, v5
	;; [unrolled: 1-line block ×3, first 2 shown]
	v_add_co_ci_u32_e64 v4, null, s5, 0, s1
	s_delay_alu instid0(VALU_DEP_4) | instskip(SKIP_1) | instid1(VALU_DEP_3)
	v_cmp_gt_i32_e64 s2, 32, v2
	v_dual_mov_b32 v1, 0 :: v_dual_and_b32 v26, 15, v0
	v_cmp_gt_i64_e32 vcc_lo, s[22:23], v[3:4]
	v_lshrrev_b32_e32 v8, 3, v0
	s_delay_alu instid0(VALU_DEP_4)
	v_cndmask_b32_e64 v2, v5, v2, s2
	v_cmp_gt_i32_e64 s2, 32, v6
	v_cmp_eq_u32_e64 s0, 0, v0
	v_cmp_eq_u32_e64 s1, 15, v26
	v_dual_mov_b32 v36, v1 :: v_dual_and_b32 v33, 60, v8
	s_waitcnt lgkmcnt(0)
	s_sub_u32 s18, s10, s30
	s_subb_u32 s19, s11, 0
	v_lshlrev_b32_e32 v29, 2, v2
	v_xor_b32_e32 v2, 1, v5
	v_cndmask_b32_e64 v6, v5, v6, s2
	v_cmp_gt_i32_e64 s2, 32, v7
	s_add_u32 s34, s42, s6
	s_addc_u32 s35, s43, s7
	s_and_b32 s30, s8, vcc_lo
	v_dual_mov_b32 v37, 0x800 :: v_dual_lshlrev_b32 v30, 2, v6
	v_cndmask_b32_e64 v7, v5, v7, s2
	v_cmp_gt_i32_e64 s2, 32, v2
	s_add_u32 s42, s50, 8
	s_addc_u32 s43, s51, 0
	v_cmp_gt_u32_e64 s3, 32, v0
	v_lshlrev_b32_e32 v31, 2, v7
	v_cndmask_b32_e64 v2, v5, v2, s2
	v_xor_b32_e32 v5, 63, v5
	v_cmp_eq_u32_e64 s2, 0x1ff, v0
	v_cmp_gt_u32_e64 s4, 64, v0
	v_cmp_gt_u32_e64 s5, 0x60, v0
	v_lshlrev_b32_e32 v32, 2, v2
	v_lshrrev_b64 v[5:6], v5, -1
	v_dual_mov_b32 v6, s18 :: v_dual_mov_b32 v7, s19
	v_cmp_gt_u32_e64 s6, 0x80, v0
	v_cmp_gt_u32_e64 s7, 0xa0, v0
	;; [unrolled: 1-line block ×12, first 2 shown]
	v_or_b32_e32 v34, 0xfffffe00, v0
	v_dual_mov_b32 v35, 1 :: v_dual_lshlrev_b32 v0, 3, v0
	s_add_u32 s45, s38, 4
	v_mov_b32_e32 v2, v1
	s_addc_u32 s59, s39, 0
	s_add_u32 s54, s54, 4
	s_mov_b32 s41, s29
	s_mov_b32 s44, s31
	s_addc_u32 s55, s55, 0
	s_branch .LBB218_18
.LBB218_17:                             ;   in Loop: Header=BB218_18 Depth=1
	s_or_b32 exec_lo, exec_lo, s19
	ds_load_b32 v36, v1 offset:18432
	s_waitcnt lgkmcnt(0)
	s_barrier
	buffer_gl0_inv
	v_cmp_le_i32_e32 vcc_lo, s40, v36
	v_add_nc_u32_e32 v37, 0x800, v36
	s_cbranch_vccnz .LBB218_69
.LBB218_18:                             ; =>This Loop Header: Depth=1
                                        ;     Child Loop BB218_19 Depth 2
                                        ;     Child Loop BB218_25 Depth 2
                                        ;       Child Loop BB218_31 Depth 3
                                        ;     Child Loop BB218_48 Depth 2
                                        ;     Child Loop BB218_60 Depth 2
	;; [unrolled: 1-line block ×3, first 2 shown]
	v_dual_mov_b32 v8, v0 :: v_dual_mov_b32 v9, v34
	s_mov_b32 s18, 0
.LBB218_19:                             ;   Parent Loop BB218_18 Depth=1
                                        ; =>  This Inner Loop Header: Depth=2
	ds_store_b8 v9, v1 offset:16896
	v_add_nc_u32_e32 v9, 0x200, v9
	ds_store_b64 v8, v[1:2]
	v_add_nc_u32_e32 v8, 0x1000, v8
	v_cmp_lt_u32_e32 vcc_lo, 0x5ff, v9
	s_or_b32 s18, vcc_lo, s18
	s_delay_alu instid0(SALU_CYCLE_1)
	s_and_not1_b32 exec_lo, exec_lo, s18
	s_cbranch_execnz .LBB218_19
; %bb.20:                               ;   in Loop: Header=BB218_18 Depth=1
	s_or_b32 exec_lo, exec_lo, s18
	s_and_saveexec_b32 s18, s0
	s_cbranch_execz .LBB218_22
; %bb.21:                               ;   in Loop: Header=BB218_18 Depth=1
	v_mov_b32_e32 v8, s40
	ds_store_b32 v1, v8 offset:18432
.LBB218_22:                             ;   in Loop: Header=BB218_18 Depth=1
	s_or_b32 exec_lo, exec_lo, s18
	v_mov_b32_e32 v38, s40
	s_waitcnt lgkmcnt(0)
	s_barrier
	buffer_gl0_inv
	s_and_saveexec_b32 s38, s30
	s_cbranch_execz .LBB218_44
; %bb.23:                               ;   in Loop: Header=BB218_18 Depth=1
	v_dual_mov_b32 v38, s40 :: v_dual_mov_b32 v9, v4
	v_cmp_ne_u32_e64 s18, 0, v36
	v_mov_b32_e32 v8, v3
	s_mov_b32 s39, 0
	s_branch .LBB218_25
.LBB218_24:                             ;   in Loop: Header=BB218_25 Depth=2
	s_or_b32 exec_lo, exec_lo, s20
	v_add_co_u32 v8, vcc_lo, v8, 32
	v_add_co_ci_u32_e32 v9, vcc_lo, 0, v9, vcc_lo
	s_delay_alu instid0(VALU_DEP_1) | instskip(SKIP_1) | instid1(SALU_CYCLE_1)
	v_cmp_le_i64_e32 vcc_lo, s[22:23], v[8:9]
	s_or_b32 s39, vcc_lo, s39
	s_and_not1_b32 exec_lo, exec_lo, s39
	s_cbranch_execz .LBB218_43
.LBB218_25:                             ;   Parent Loop BB218_18 Depth=1
                                        ; =>  This Loop Header: Depth=2
                                        ;       Child Loop BB218_31 Depth 3
	s_delay_alu instid0(VALU_DEP_1) | instskip(NEXT) | instid1(VALU_DEP_1)
	v_lshlrev_b64 v[10:11], 2, v[8:9]
	v_add_co_u32 v12, vcc_lo, s46, v10
	s_delay_alu instid0(VALU_DEP_2)
	v_add_co_ci_u32_e32 v13, vcc_lo, s47, v11, vcc_lo
	v_lshlrev_b64 v[10:11], 3, v[8:9]
	s_waitcnt lgkmcnt(0)
	global_load_b32 v14, v[12:13], off
	v_add_co_u32 v12, vcc_lo, s48, v10
	v_add_co_ci_u32_e32 v13, vcc_lo, s49, v11, vcc_lo
	s_and_b32 vcc_lo, exec_lo, s18
	global_load_b64 v[16:17], v[12:13], off
	s_waitcnt vmcnt(1)
	v_subrev_nc_u32_e32 v12, s28, v14
	s_delay_alu instid0(VALU_DEP_1)
	v_ashrrev_i32_e32 v13, 31, v12
	s_cbranch_vccz .LBB218_42
; %bb.26:                               ;   in Loop: Header=BB218_25 Depth=2
	v_add_co_u32 v14, vcc_lo, s26, v10
	v_add_co_ci_u32_e32 v15, vcc_lo, s27, v11, vcc_lo
	global_load_b64 v[18:19], v[14:15], off
	s_cbranch_execnz .LBB218_28
.LBB218_27:                             ;   in Loop: Header=BB218_25 Depth=2
	s_delay_alu instid0(VALU_DEP_1) | instskip(NEXT) | instid1(VALU_DEP_1)
	v_lshlrev_b64 v[14:15], 3, v[12:13]
	v_add_co_u32 v14, vcc_lo, s50, v14
	s_delay_alu instid0(VALU_DEP_2)
	v_add_co_ci_u32_e32 v15, vcc_lo, s51, v15, vcc_lo
	global_load_b64 v[14:15], v[14:15], off
	s_waitcnt vmcnt(0)
	v_sub_co_u32 v18, vcc_lo, v14, s41
	v_subrev_co_ci_u32_e32 v19, vcc_lo, 0, v15, vcc_lo
.LBB218_28:                             ;   in Loop: Header=BB218_25 Depth=2
	v_lshlrev_b64 v[12:13], 3, v[12:13]
	s_mov_b32 s60, exec_lo
	s_delay_alu instid0(VALU_DEP_1) | instskip(NEXT) | instid1(VALU_DEP_2)
	v_add_co_u32 v12, vcc_lo, s42, v12
	v_add_co_ci_u32_e32 v13, vcc_lo, s43, v13, vcc_lo
	global_load_b64 v[12:13], v[12:13], off
	s_waitcnt vmcnt(0)
	v_sub_co_u32 v14, vcc_lo, v12, s41
	v_subrev_co_ci_u32_e32 v15, vcc_lo, 0, v13, vcc_lo
	v_add_co_u32 v12, vcc_lo, v18, v26
	v_add_co_ci_u32_e32 v13, vcc_lo, 0, v19, vcc_lo
	s_delay_alu instid0(VALU_DEP_1)
	v_cmpx_lt_i64_e64 v[12:13], v[14:15]
	s_cbranch_execz .LBB218_40
; %bb.29:                               ;   in Loop: Header=BB218_25 Depth=2
	v_mul_f32_e64 v39, v17, -s21
	v_mul_f32_e32 v40, s33, v17
	v_lshlrev_b64 v[17:18], 2, v[12:13]
	v_lshlrev_b64 v[19:20], 3, v[12:13]
	s_mov_b32 s62, 0
	v_fmac_f32_e32 v39, s33, v16
	v_fmac_f32_e32 v40, s21, v16
                                        ; implicit-def: $sgpr61
                                        ; implicit-def: $sgpr63
	s_delay_alu instid0(VALU_DEP_4)
	v_add_co_u32 v16, vcc_lo, s36, v17
	v_add_co_ci_u32_e32 v17, vcc_lo, s37, v18, vcc_lo
	v_add_co_u32 v18, vcc_lo, s45, v19
	v_add_co_ci_u32_e32 v19, vcc_lo, s59, v20, vcc_lo
	v_dual_mov_b32 v21, v13 :: v_dual_mov_b32 v20, v12
	s_branch .LBB218_31
.LBB218_30:                             ;   in Loop: Header=BB218_31 Depth=3
	s_or_b32 exec_lo, exec_lo, s20
	s_delay_alu instid0(SALU_CYCLE_1) | instskip(SKIP_4) | instid1(SALU_CYCLE_1)
	s_and_b32 s19, exec_lo, s64
	v_dual_mov_b32 v20, v22 :: v_dual_mov_b32 v21, v23
	s_or_b32 s62, s19, s62
	s_and_not1_b32 s19, s61, exec_lo
	s_and_b32 s20, s63, exec_lo
	s_or_b32 s61, s19, s20
	s_and_not1_b32 exec_lo, exec_lo, s62
	s_cbranch_execz .LBB218_37
.LBB218_31:                             ;   Parent Loop BB218_18 Depth=1
                                        ;     Parent Loop BB218_25 Depth=2
                                        ; =>    This Inner Loop Header: Depth=3
	global_load_b32 v22, v[16:17], off
	s_waitcnt vmcnt(0)
	v_subrev_nc_u32_e32 v41, s29, v22
	s_delay_alu instid0(VALU_DEP_1) | instskip(SKIP_2) | instid1(VALU_DEP_2)
	v_cmp_lt_i32_e64 s19, v41, v36
	v_cmp_ge_i32_e64 s20, v41, v37
	v_cmp_lt_i32_e32 vcc_lo, v41, v37
	s_or_b32 s64, s19, s20
	s_mov_b32 s19, 0
                                        ; implicit-def: $sgpr20
	s_and_saveexec_b32 s65, s64
	s_delay_alu instid0(SALU_CYCLE_1)
	s_xor_b32 s64, exec_lo, s65
; %bb.32:                               ;   in Loop: Header=BB218_31 Depth=3
	s_mov_b32 s20, -1
	s_and_b32 s19, vcc_lo, exec_lo
; %bb.33:                               ;   in Loop: Header=BB218_31 Depth=3
	s_and_not1_saveexec_b32 s64, s64
	s_cbranch_execz .LBB218_35
; %bb.34:                               ;   in Loop: Header=BB218_31 Depth=3
	global_load_b64 v[22:23], v[18:19], off offset:-4
	v_sub_nc_u32_e32 v24, v41, v36
	s_or_b32 s19, s19, exec_lo
	ds_store_b8 v24, v35 offset:16384
	v_lshlrev_b32_e32 v42, 3, v24
	s_waitcnt vmcnt(0)
	v_mul_f32_e64 v25, v23, -v40
	v_mul_f32_e32 v23, v39, v23
	s_delay_alu instid0(VALU_DEP_2) | instskip(NEXT) | instid1(VALU_DEP_2)
	v_fmac_f32_e32 v25, v39, v22
	v_fmac_f32_e32 v23, v40, v22
	ds_add_f32 v42, v25
	ds_add_f32 v42, v23 offset:4
.LBB218_35:                             ;   in Loop: Header=BB218_31 Depth=3
	s_or_b32 exec_lo, exec_lo, s64
	v_dual_mov_b32 v25, v21 :: v_dual_mov_b32 v24, v20
	s_and_not1_b32 s63, s63, exec_lo
	s_and_b32 s20, s20, exec_lo
	s_mov_b32 s64, -1
	s_or_b32 s63, s63, s20
                                        ; implicit-def: $vgpr22_vgpr23
	s_and_saveexec_b32 s20, s19
	s_cbranch_execz .LBB218_30
; %bb.36:                               ;   in Loop: Header=BB218_31 Depth=3
	v_add_co_u32 v22, vcc_lo, v20, 16
	v_add_co_ci_u32_e32 v23, vcc_lo, 0, v21, vcc_lo
	v_add_co_u32 v16, vcc_lo, v16, 64
	v_add_co_ci_u32_e32 v17, vcc_lo, 0, v17, vcc_lo
	s_delay_alu instid0(VALU_DEP_3) | instskip(SKIP_1) | instid1(VALU_DEP_1)
	v_cmp_ge_i64_e32 vcc_lo, v[22:23], v[14:15]
	v_add_co_u32 v18, s19, 0x80, v18
	v_add_co_ci_u32_e64 v19, s19, 0, v19, s19
	v_dual_mov_b32 v25, v21 :: v_dual_mov_b32 v24, v20
	s_and_not1_b32 s63, s63, exec_lo
	s_or_not1_b32 s64, vcc_lo, exec_lo
	s_branch .LBB218_30
.LBB218_37:                             ;   in Loop: Header=BB218_25 Depth=2
	s_or_b32 exec_lo, exec_lo, s62
	s_and_saveexec_b32 s19, s61
	s_delay_alu instid0(SALU_CYCLE_1)
	s_xor_b32 s19, exec_lo, s19
; %bb.38:                               ;   in Loop: Header=BB218_25 Depth=2
	v_min_i32_e32 v38, v41, v38
	v_dual_mov_b32 v12, v24 :: v_dual_mov_b32 v13, v25
; %bb.39:                               ;   in Loop: Header=BB218_25 Depth=2
	s_or_b32 exec_lo, exec_lo, s19
.LBB218_40:                             ;   in Loop: Header=BB218_25 Depth=2
	s_delay_alu instid0(SALU_CYCLE_1)
	s_or_b32 exec_lo, exec_lo, s60
	ds_bpermute_b32 v14, v29, v12
	ds_bpermute_b32 v15, v29, v13
	s_waitcnt lgkmcnt(0)
	v_cmp_lt_i64_e32 vcc_lo, v[14:15], v[12:13]
	v_dual_cndmask_b32 v13, v13, v15 :: v_dual_cndmask_b32 v12, v12, v14
	ds_bpermute_b32 v15, v30, v13
	ds_bpermute_b32 v14, v30, v12
	s_waitcnt lgkmcnt(0)
	v_cmp_lt_i64_e32 vcc_lo, v[14:15], v[12:13]
	v_dual_cndmask_b32 v13, v13, v15 :: v_dual_cndmask_b32 v12, v12, v14
	ds_bpermute_b32 v15, v31, v13
	ds_bpermute_b32 v14, v31, v12
	s_waitcnt lgkmcnt(0)
	v_cmp_lt_i64_e32 vcc_lo, v[14:15], v[12:13]
	v_dual_cndmask_b32 v13, v13, v15 :: v_dual_cndmask_b32 v12, v12, v14
	ds_bpermute_b32 v15, v32, v13
	ds_bpermute_b32 v14, v32, v12
	s_and_saveexec_b32 s20, s1
	s_cbranch_execz .LBB218_24
; %bb.41:                               ;   in Loop: Header=BB218_25 Depth=2
	s_waitcnt lgkmcnt(0)
	v_cmp_lt_i64_e32 vcc_lo, v[14:15], v[12:13]
	v_add_co_u32 v10, s19, s26, v10
	s_delay_alu instid0(VALU_DEP_1)
	v_add_co_ci_u32_e64 v11, s19, s27, v11, s19
	v_dual_cndmask_b32 v13, v13, v15 :: v_dual_cndmask_b32 v12, v12, v14
	global_store_b64 v[10:11], v[12:13], off
	s_branch .LBB218_24
.LBB218_42:                             ;   in Loop: Header=BB218_25 Depth=2
                                        ; implicit-def: $vgpr18_vgpr19
	s_branch .LBB218_27
.LBB218_43:                             ;   in Loop: Header=BB218_18 Depth=1
	s_or_b32 exec_lo, exec_lo, s39
.LBB218_44:                             ;   in Loop: Header=BB218_18 Depth=1
	s_delay_alu instid0(SALU_CYCLE_1) | instskip(NEXT) | instid1(SALU_CYCLE_1)
	s_or_b32 exec_lo, exec_lo, s38
	s_and_not1_b32 vcc_lo, exec_lo, s56
	s_cbranch_vccnz .LBB218_58
; %bb.45:                               ;   in Loop: Header=BB218_18 Depth=1
	s_load_b128 s[60:63], s[34:35], 0x0
	s_mov_b32 s20, exec_lo
	s_waitcnt lgkmcnt(0)
	v_add_co_u32 v8, vcc_lo, s60, v27
	v_add_co_ci_u32_e32 v9, vcc_lo, s61, v28, vcc_lo
	s_sub_u32 s38, s62, s44
	s_subb_u32 s39, s63, 0
	s_delay_alu instid0(VALU_DEP_1) | instid1(SALU_CYCLE_1)
	v_cmpx_gt_i64_e64 s[38:39], v[8:9]
	s_cbranch_execz .LBB218_57
; %bb.46:                               ;   in Loop: Header=BB218_18 Depth=1
	v_lshlrev_b64 v[10:11], 2, v[8:9]
	v_lshlrev_b64 v[12:13], 3, v[8:9]
	s_mov_b32 s60, 0
                                        ; implicit-def: $sgpr61
                                        ; implicit-def: $sgpr62
	s_delay_alu instid0(VALU_DEP_2) | instskip(NEXT) | instid1(VALU_DEP_3)
	v_add_co_u32 v10, vcc_lo, s52, v10
	v_add_co_ci_u32_e32 v11, vcc_lo, s53, v11, vcc_lo
	s_delay_alu instid0(VALU_DEP_3) | instskip(NEXT) | instid1(VALU_DEP_4)
	v_add_co_u32 v12, vcc_lo, s54, v12
	v_add_co_ci_u32_e32 v13, vcc_lo, s55, v13, vcc_lo
	s_branch .LBB218_48
.LBB218_47:                             ;   in Loop: Header=BB218_48 Depth=2
	s_or_b32 exec_lo, exec_lo, s19
	s_delay_alu instid0(SALU_CYCLE_1) | instskip(NEXT) | instid1(SALU_CYCLE_1)
	s_and_b32 s18, exec_lo, s63
	s_or_b32 s60, s18, s60
	s_and_not1_b32 s18, s61, exec_lo
	s_and_b32 s19, s62, exec_lo
	s_delay_alu instid0(SALU_CYCLE_1)
	s_or_b32 s61, s18, s19
	s_and_not1_b32 exec_lo, exec_lo, s60
	s_cbranch_execz .LBB218_54
.LBB218_48:                             ;   Parent Loop BB218_18 Depth=1
                                        ; =>  This Inner Loop Header: Depth=2
	global_load_b32 v14, v[10:11], off
	s_waitcnt vmcnt(0)
	v_subrev_nc_u32_e32 v14, s31, v14
	s_delay_alu instid0(VALU_DEP_1) | instskip(SKIP_2) | instid1(VALU_DEP_2)
	v_cmp_lt_i32_e64 s18, v14, v36
	v_cmp_ge_i32_e64 s19, v14, v37
	v_cmp_lt_i32_e32 vcc_lo, v14, v37
	s_or_b32 s63, s18, s19
	s_mov_b32 s18, 0
                                        ; implicit-def: $sgpr19
	s_and_saveexec_b32 s64, s63
	s_delay_alu instid0(SALU_CYCLE_1)
	s_xor_b32 s63, exec_lo, s64
; %bb.49:                               ;   in Loop: Header=BB218_48 Depth=2
	s_mov_b32 s19, -1
	s_and_b32 s18, vcc_lo, exec_lo
; %bb.50:                               ;   in Loop: Header=BB218_48 Depth=2
	s_and_not1_saveexec_b32 s63, s63
	s_cbranch_execz .LBB218_52
; %bb.51:                               ;   in Loop: Header=BB218_48 Depth=2
	global_load_b64 v[15:16], v[12:13], off offset:-4
	v_sub_nc_u32_e32 v17, v14, v36
	s_or_b32 s18, s18, exec_lo
	ds_store_b8 v17, v35 offset:16384
	v_lshlrev_b32_e32 v19, 3, v17
	s_waitcnt vmcnt(0)
	v_mul_f32_e64 v18, v16, -s58
	v_mul_f32_e32 v16, s57, v16
	s_delay_alu instid0(VALU_DEP_2) | instskip(NEXT) | instid1(VALU_DEP_2)
	v_fmac_f32_e32 v18, s57, v15
	v_fmac_f32_e32 v16, s58, v15
	ds_add_f32 v19, v18
	ds_add_f32 v19, v16 offset:4
.LBB218_52:                             ;   in Loop: Header=BB218_48 Depth=2
	s_or_b32 exec_lo, exec_lo, s63
	s_delay_alu instid0(SALU_CYCLE_1)
	s_and_not1_b32 s62, s62, exec_lo
	s_and_b32 s19, s19, exec_lo
	s_mov_b32 s63, -1
	s_or_b32 s62, s62, s19
	s_and_saveexec_b32 s19, s18
	s_cbranch_execz .LBB218_47
; %bb.53:                               ;   in Loop: Header=BB218_48 Depth=2
	v_add_co_u32 v8, vcc_lo, 0x200, v8
	v_add_co_ci_u32_e32 v9, vcc_lo, 0, v9, vcc_lo
	v_add_co_u32 v10, vcc_lo, 0x800, v10
	v_add_co_ci_u32_e32 v11, vcc_lo, 0, v11, vcc_lo
	s_delay_alu instid0(VALU_DEP_3) | instskip(SKIP_1) | instid1(VALU_DEP_1)
	v_cmp_le_i64_e32 vcc_lo, s[38:39], v[8:9]
	v_add_co_u32 v12, s18, 0x1000, v12
	v_add_co_ci_u32_e64 v13, s18, 0, v13, s18
	s_and_not1_b32 s62, s62, exec_lo
	s_or_not1_b32 s63, vcc_lo, exec_lo
	s_branch .LBB218_47
.LBB218_54:                             ;   in Loop: Header=BB218_18 Depth=1
	s_or_b32 exec_lo, exec_lo, s60
	s_and_saveexec_b32 s18, s61
	s_delay_alu instid0(SALU_CYCLE_1)
	s_xor_b32 s18, exec_lo, s18
; %bb.55:                               ;   in Loop: Header=BB218_18 Depth=1
	v_min_i32_e32 v38, v14, v38
; %bb.56:                               ;   in Loop: Header=BB218_18 Depth=1
	s_or_b32 exec_lo, exec_lo, s18
.LBB218_57:                             ;   in Loop: Header=BB218_18 Depth=1
	s_delay_alu instid0(SALU_CYCLE_1)
	s_or_b32 exec_lo, exec_lo, s20
.LBB218_58:                             ;   in Loop: Header=BB218_18 Depth=1
	ds_bpermute_b32 v8, v29, v38
	s_waitcnt lgkmcnt(0)
	v_min_i32_e32 v8, v8, v38
	ds_bpermute_b32 v9, v30, v8
	s_waitcnt lgkmcnt(0)
	v_min_i32_e32 v8, v9, v8
	;; [unrolled: 3-line block ×3, first 2 shown]
	ds_bpermute_b32 v9, v32, v8
	s_and_saveexec_b32 s18, s1
	s_cbranch_execz .LBB218_63
; %bb.59:                               ;   in Loop: Header=BB218_18 Depth=1
	s_waitcnt lgkmcnt(0)
	v_min_i32_e32 v8, v9, v8
	s_mov_b32 s20, exec_lo
	s_brev_b32 s19, -2
.LBB218_60:                             ;   Parent Loop BB218_18 Depth=1
                                        ; =>  This Inner Loop Header: Depth=2
	s_ctz_i32_b32 s38, s20
	s_delay_alu instid0(VALU_DEP_1) | instid1(SALU_CYCLE_1)
	v_readlane_b32 s39, v8, s38
	s_lshl_b32 s38, 1, s38
	s_delay_alu instid0(SALU_CYCLE_1) | instskip(NEXT) | instid1(VALU_DEP_1)
	s_and_not1_b32 s20, s20, s38
	s_min_i32 s19, s19, s39
	s_cmp_lg_u32 s20, 0
	s_cbranch_scc1 .LBB218_60
; %bb.61:                               ;   in Loop: Header=BB218_18 Depth=1
	v_mbcnt_lo_u32_b32 v8, exec_lo, 0
	s_mov_b32 s20, exec_lo
	s_delay_alu instid0(VALU_DEP_1)
	v_cmpx_eq_u32_e32 0, v8
	s_xor_b32 s20, exec_lo, s20
	s_cbranch_execz .LBB218_63
; %bb.62:                               ;   in Loop: Header=BB218_18 Depth=1
	v_mov_b32_e32 v8, s19
	ds_min_i32 v1, v8 offset:18432
.LBB218_63:                             ;   in Loop: Header=BB218_18 Depth=1
	s_or_b32 exec_lo, exec_lo, s18
	v_dual_mov_b32 v12, v0 :: v_dual_mov_b32 v13, v34
	s_mov_b32 s19, 0
	s_waitcnt lgkmcnt(0)
	s_waitcnt_vscnt null, 0x0
	s_barrier
	buffer_gl0_inv
	s_branch .LBB218_65
.LBB218_64:                             ;   in Loop: Header=BB218_65 Depth=2
	s_or_b32 exec_lo, exec_lo, s18
	s_waitcnt lgkmcnt(0)
	s_waitcnt_vscnt null, 0x0
	s_barrier
	buffer_gl0_inv
	ds_load_b32 v8, v1 offset:60
	v_add_nc_u32_e32 v13, 0x200, v13
	v_add_nc_u32_e32 v12, 0x1000, v12
	s_delay_alu instid0(VALU_DEP_2) | instskip(SKIP_4) | instid1(VALU_DEP_1)
	v_cmp_lt_u32_e32 vcc_lo, 0x5ff, v13
	s_or_b32 s19, vcc_lo, s19
	s_waitcnt lgkmcnt(0)
	v_ashrrev_i32_e32 v9, 31, v8
	v_add_co_u32 v6, s18, v6, v8
	v_add_co_ci_u32_e64 v7, s18, v7, v9, s18
	s_and_not1_b32 exec_lo, exec_lo, s19
	s_cbranch_execz .LBB218_17
.LBB218_65:                             ;   Parent Loop BB218_18 Depth=1
                                        ; =>  This Inner Loop Header: Depth=2
	ds_load_u8 v10, v13 offset:16896
	ds_load_b64 v[8:9], v12
	s_waitcnt lgkmcnt(0)
	s_barrier
	buffer_gl0_inv
	v_cmp_ne_u16_e32 vcc_lo, 0, v10
	s_bcnt1_i32_b32 s18, vcc_lo
	s_delay_alu instid0(SALU_CYCLE_1)
	v_mov_b32_e32 v11, s18
	s_mov_b32 s18, exec_lo
	ds_store_b32 v33, v11
	s_waitcnt lgkmcnt(0)
	s_barrier
	buffer_gl0_inv
	ds_load_b128 v[14:17], v1
	ds_load_b128 v[18:21], v1 offset:16
	v_and_b32_e32 v11, vcc_lo, v5
	ds_load_b128 v[22:25], v1 offset:32
	s_waitcnt lgkmcnt(2)
	v_cndmask_b32_e64 v14, v14, 0, s3
	v_cndmask_b32_e64 v36, v15, 0, s4
	;; [unrolled: 1-line block ×4, first 2 shown]
	s_waitcnt lgkmcnt(1)
	v_cndmask_b32_e64 v18, v18, 0, s7
	v_bcnt_u32_b32 v11, v11, v14
	ds_load_b96 v[14:16], v1 offset:48
	v_cndmask_b32_e64 v19, v19, 0, s8
	v_cndmask_b32_e64 v20, v20, 0, s9
	v_add3_u32 v11, v11, v36, v37
	s_delay_alu instid0(VALU_DEP_1) | instskip(SKIP_3) | instid1(VALU_DEP_3)
	v_add3_u32 v11, v11, v17, v18
	v_cndmask_b32_e64 v17, v21, 0, s10
	s_waitcnt lgkmcnt(1)
	v_cndmask_b32_e64 v18, v22, 0, s11
	v_add3_u32 v11, v11, v19, v20
	v_cndmask_b32_e64 v19, v23, 0, s12
	v_cndmask_b32_e64 v20, v24, 0, s13
	s_delay_alu instid0(VALU_DEP_3)
	v_add3_u32 v11, v11, v17, v18
	v_cndmask_b32_e64 v17, v25, 0, s14
	s_waitcnt lgkmcnt(0)
	v_cndmask_b32_e64 v14, v14, 0, s15
	v_cndmask_b32_e64 v15, v15, 0, s16
	;; [unrolled: 1-line block ×3, first 2 shown]
	v_add3_u32 v11, v11, v19, v20
	s_delay_alu instid0(VALU_DEP_1) | instskip(SKIP_1) | instid1(VALU_DEP_2)
	v_add3_u32 v11, v11, v17, v14
	v_and_b32_e32 v14, 1, v10
	v_add3_u32 v10, v11, v15, v16
	s_delay_alu instid0(VALU_DEP_2)
	v_cmpx_eq_u32_e32 1, v14
	s_cbranch_execz .LBB218_67
; %bb.66:                               ;   in Loop: Header=BB218_65 Depth=2
	s_delay_alu instid0(VALU_DEP_2) | instskip(SKIP_1) | instid1(VALU_DEP_2)
	v_ashrrev_i32_e32 v11, 31, v10
	v_lshlrev_b64 v[14:15], 3, v[6:7]
	v_lshlrev_b64 v[16:17], 3, v[10:11]
	s_delay_alu instid0(VALU_DEP_2) | instskip(NEXT) | instid1(VALU_DEP_3)
	v_add_co_u32 v11, vcc_lo, s24, v14
	v_add_co_ci_u32_e32 v15, vcc_lo, s25, v15, vcc_lo
	s_delay_alu instid0(VALU_DEP_2) | instskip(NEXT) | instid1(VALU_DEP_2)
	v_add_co_u32 v14, vcc_lo, v11, v16
	v_add_co_ci_u32_e32 v15, vcc_lo, v15, v17, vcc_lo
	global_store_b64 v[14:15], v[8:9], off offset:-8
.LBB218_67:                             ;   in Loop: Header=BB218_65 Depth=2
	s_or_b32 exec_lo, exec_lo, s18
	s_and_saveexec_b32 s18, s2
	s_cbranch_execz .LBB218_64
; %bb.68:                               ;   in Loop: Header=BB218_65 Depth=2
	ds_store_b32 v1, v10 offset:60
	s_branch .LBB218_64
.LBB218_69:
	s_endpgm
	.section	.rodata,"a",@progbits
	.p2align	6, 0x0
	.amdhsa_kernel _ZN9rocsparseL51csrgemm_numeric_fill_block_per_row_multipass_kernelILj512ELj16ELj2048ELj32Eli21rocsparse_complex_numIfEEEvT4_PKS3_S5_NS_24const_host_device_scalarIT5_EEPKT3_S5_PKS7_SB_S5_SD_S8_SB_S5_SD_SB_S5_PS7_PS9_21rocsparse_index_base_SG_SG_SG_bbb
		.amdhsa_group_segment_fixed_size 18436
		.amdhsa_private_segment_fixed_size 0
		.amdhsa_kernarg_size 164
		.amdhsa_user_sgpr_count 15
		.amdhsa_user_sgpr_dispatch_ptr 0
		.amdhsa_user_sgpr_queue_ptr 0
		.amdhsa_user_sgpr_kernarg_segment_ptr 1
		.amdhsa_user_sgpr_dispatch_id 0
		.amdhsa_user_sgpr_private_segment_size 0
		.amdhsa_wavefront_size32 1
		.amdhsa_uses_dynamic_stack 0
		.amdhsa_enable_private_segment 0
		.amdhsa_system_sgpr_workgroup_id_x 1
		.amdhsa_system_sgpr_workgroup_id_y 0
		.amdhsa_system_sgpr_workgroup_id_z 0
		.amdhsa_system_sgpr_workgroup_info 0
		.amdhsa_system_vgpr_workitem_id 0
		.amdhsa_next_free_vgpr 43
		.amdhsa_next_free_sgpr 66
		.amdhsa_reserve_vcc 1
		.amdhsa_float_round_mode_32 0
		.amdhsa_float_round_mode_16_64 0
		.amdhsa_float_denorm_mode_32 3
		.amdhsa_float_denorm_mode_16_64 3
		.amdhsa_dx10_clamp 1
		.amdhsa_ieee_mode 1
		.amdhsa_fp16_overflow 0
		.amdhsa_workgroup_processor_mode 1
		.amdhsa_memory_ordered 1
		.amdhsa_forward_progress 0
		.amdhsa_shared_vgpr_count 0
		.amdhsa_exception_fp_ieee_invalid_op 0
		.amdhsa_exception_fp_denorm_src 0
		.amdhsa_exception_fp_ieee_div_zero 0
		.amdhsa_exception_fp_ieee_overflow 0
		.amdhsa_exception_fp_ieee_underflow 0
		.amdhsa_exception_fp_ieee_inexact 0
		.amdhsa_exception_int_div_zero 0
	.end_amdhsa_kernel
	.section	.text._ZN9rocsparseL51csrgemm_numeric_fill_block_per_row_multipass_kernelILj512ELj16ELj2048ELj32Eli21rocsparse_complex_numIfEEEvT4_PKS3_S5_NS_24const_host_device_scalarIT5_EEPKT3_S5_PKS7_SB_S5_SD_S8_SB_S5_SD_SB_S5_PS7_PS9_21rocsparse_index_base_SG_SG_SG_bbb,"axG",@progbits,_ZN9rocsparseL51csrgemm_numeric_fill_block_per_row_multipass_kernelILj512ELj16ELj2048ELj32Eli21rocsparse_complex_numIfEEEvT4_PKS3_S5_NS_24const_host_device_scalarIT5_EEPKT3_S5_PKS7_SB_S5_SD_S8_SB_S5_SD_SB_S5_PS7_PS9_21rocsparse_index_base_SG_SG_SG_bbb,comdat
.Lfunc_end218:
	.size	_ZN9rocsparseL51csrgemm_numeric_fill_block_per_row_multipass_kernelILj512ELj16ELj2048ELj32Eli21rocsparse_complex_numIfEEEvT4_PKS3_S5_NS_24const_host_device_scalarIT5_EEPKT3_S5_PKS7_SB_S5_SD_S8_SB_S5_SD_SB_S5_PS7_PS9_21rocsparse_index_base_SG_SG_SG_bbb, .Lfunc_end218-_ZN9rocsparseL51csrgemm_numeric_fill_block_per_row_multipass_kernelILj512ELj16ELj2048ELj32Eli21rocsparse_complex_numIfEEEvT4_PKS3_S5_NS_24const_host_device_scalarIT5_EEPKT3_S5_PKS7_SB_S5_SD_S8_SB_S5_SD_SB_S5_PS7_PS9_21rocsparse_index_base_SG_SG_SG_bbb
                                        ; -- End function
	.section	.AMDGPU.csdata,"",@progbits
; Kernel info:
; codeLenInByte = 3204
; NumSgprs: 68
; NumVgprs: 43
; ScratchSize: 0
; MemoryBound: 0
; FloatMode: 240
; IeeeMode: 1
; LDSByteSize: 18436 bytes/workgroup (compile time only)
; SGPRBlocks: 8
; VGPRBlocks: 5
; NumSGPRsForWavesPerEU: 68
; NumVGPRsForWavesPerEU: 43
; Occupancy: 16
; WaveLimiterHint : 1
; COMPUTE_PGM_RSRC2:SCRATCH_EN: 0
; COMPUTE_PGM_RSRC2:USER_SGPR: 15
; COMPUTE_PGM_RSRC2:TRAP_HANDLER: 0
; COMPUTE_PGM_RSRC2:TGID_X_EN: 1
; COMPUTE_PGM_RSRC2:TGID_Y_EN: 0
; COMPUTE_PGM_RSRC2:TGID_Z_EN: 0
; COMPUTE_PGM_RSRC2:TIDIG_COMP_CNT: 0
	.section	.text._ZN9rocsparseL51csrgemm_numeric_fill_block_per_row_multipass_kernelILj512ELj16ELj2048ELj64Eli21rocsparse_complex_numIfEEEvT4_PKS3_S5_NS_24const_host_device_scalarIT5_EEPKT3_S5_PKS7_SB_S5_SD_S8_SB_S5_SD_SB_S5_PS7_PS9_21rocsparse_index_base_SG_SG_SG_bbb,"axG",@progbits,_ZN9rocsparseL51csrgemm_numeric_fill_block_per_row_multipass_kernelILj512ELj16ELj2048ELj64Eli21rocsparse_complex_numIfEEEvT4_PKS3_S5_NS_24const_host_device_scalarIT5_EEPKT3_S5_PKS7_SB_S5_SD_S8_SB_S5_SD_SB_S5_PS7_PS9_21rocsparse_index_base_SG_SG_SG_bbb,comdat
	.globl	_ZN9rocsparseL51csrgemm_numeric_fill_block_per_row_multipass_kernelILj512ELj16ELj2048ELj64Eli21rocsparse_complex_numIfEEEvT4_PKS3_S5_NS_24const_host_device_scalarIT5_EEPKT3_S5_PKS7_SB_S5_SD_S8_SB_S5_SD_SB_S5_PS7_PS9_21rocsparse_index_base_SG_SG_SG_bbb ; -- Begin function _ZN9rocsparseL51csrgemm_numeric_fill_block_per_row_multipass_kernelILj512ELj16ELj2048ELj64Eli21rocsparse_complex_numIfEEEvT4_PKS3_S5_NS_24const_host_device_scalarIT5_EEPKT3_S5_PKS7_SB_S5_SD_S8_SB_S5_SD_SB_S5_PS7_PS9_21rocsparse_index_base_SG_SG_SG_bbb
	.p2align	8
	.type	_ZN9rocsparseL51csrgemm_numeric_fill_block_per_row_multipass_kernelILj512ELj16ELj2048ELj64Eli21rocsparse_complex_numIfEEEvT4_PKS3_S5_NS_24const_host_device_scalarIT5_EEPKT3_S5_PKS7_SB_S5_SD_S8_SB_S5_SD_SB_S5_PS7_PS9_21rocsparse_index_base_SG_SG_SG_bbb,@function
_ZN9rocsparseL51csrgemm_numeric_fill_block_per_row_multipass_kernelILj512ELj16ELj2048ELj64Eli21rocsparse_complex_numIfEEEvT4_PKS3_S5_NS_24const_host_device_scalarIT5_EEPKT3_S5_PKS7_SB_S5_SD_S8_SB_S5_SD_SB_S5_PS7_PS9_21rocsparse_index_base_SG_SG_SG_bbb: ; @_ZN9rocsparseL51csrgemm_numeric_fill_block_per_row_multipass_kernelILj512ELj16ELj2048ELj64Eli21rocsparse_complex_numIfEEEvT4_PKS3_S5_NS_24const_host_device_scalarIT5_EEPKT3_S5_PKS7_SB_S5_SD_S8_SB_S5_SD_SB_S5_PS7_PS9_21rocsparse_index_base_SG_SG_SG_bbb
; %bb.0:
	s_clause 0x6
	s_load_b32 s10, s[0:1], 0xa0
	s_load_b256 s[16:23], s[0:1], 0x80
	s_load_b64 s[2:3], s[0:1], 0x70
	s_load_b128 s[44:47], s[0:1], 0x60
	s_load_b256 s[24:31], s[0:1], 0x40
	s_load_b128 s[4:7], s[0:1], 0x8
	s_load_b256 s[36:43], s[0:1], 0x20
	s_mov_b32 s13, 0
	s_mov_b32 s33, 0
	s_waitcnt lgkmcnt(0)
	s_bitcmp1_b32 s10, 0
	s_cselect_b32 s8, -1, 0
	s_bitcmp1_b32 s10, 16
	s_cselect_b32 s9, -1, 0
	s_delay_alu instid0(SALU_CYCLE_1)
	s_xor_b32 s9, s9, -1
	s_bitcmp0_b32 s10, 0
	s_cbranch_scc1 .LBB219_5
; %bb.1:
	s_load_b64 s[12:13], s[0:1], 0x18
	s_and_not1_b32 vcc_lo, exec_lo, s9
	s_waitcnt lgkmcnt(0)
	s_mov_b32 s33, s12
	s_cbranch_vccnz .LBB219_3
; %bb.2:
	s_load_b32 s33, s[12:13], 0x0
.LBB219_3:
	s_and_not1_b32 vcc_lo, exec_lo, s9
	s_cbranch_vccnz .LBB219_5
; %bb.4:
	s_load_b32 s13, s[12:13], 0x4
.LBB219_5:
	s_bitcmp1_b32 s10, 8
	s_mov_b32 s48, 0
	s_cselect_b32 s34, -1, 0
	s_bfe_u32 s10, s10, 0x10008
	s_mov_b32 s35, 0
	s_cmp_eq_u32 s10, 0
	s_cbranch_scc1 .LBB219_11
; %bb.6:
	v_cndmask_b32_e64 v1, 0, 1, s9
	s_and_not1_b32 vcc_lo, exec_lo, s9
	s_mov_b32 s35, s28
	s_cbranch_vccnz .LBB219_8
; %bb.7:
	s_load_b32 s35, s[28:29], 0x0
.LBB219_8:
	s_delay_alu instid0(VALU_DEP_1)
	v_cmp_ne_u32_e32 vcc_lo, 1, v1
	s_cbranch_vccnz .LBB219_10
; %bb.9:
	s_load_b32 s29, s[28:29], 0x4
.LBB219_10:
	s_waitcnt lgkmcnt(0)
	s_mov_b32 s48, s29
.LBB219_11:
	s_load_b32 s4, s[4:5], 0x0
	s_mov_b32 s5, 0
	s_waitcnt lgkmcnt(0)
	s_add_i32 s4, s4, s15
	s_mov_b64 s[14:15], 0
	s_lshl_b64 s[4:5], s[4:5], 2
	s_delay_alu instid0(SALU_CYCLE_1)
	s_add_u32 s4, s6, s4
	s_addc_u32 s5, s7, s5
	s_and_not1_b32 vcc_lo, exec_lo, s8
	s_load_b32 s6, s[4:5], 0x0
	s_mov_b64 s[4:5], 0
	s_cbranch_vccz .LBB219_14
; %bb.12:
	s_and_not1_b32 vcc_lo, exec_lo, s8
	s_cbranch_vccz .LBB219_15
.LBB219_13:
	s_load_b32 s36, s[0:1], 0x0
	s_waitcnt lgkmcnt(0)
	s_cmp_lt_i32 s36, 1
	s_cbranch_scc0 .LBB219_16
	s_branch .LBB219_69
.LBB219_14:
	s_waitcnt lgkmcnt(0)
	s_ashr_i32 s7, s6, 31
	s_delay_alu instid0(SALU_CYCLE_1) | instskip(NEXT) | instid1(SALU_CYCLE_1)
	s_lshl_b64 s[4:5], s[6:7], 3
	s_add_u32 s4, s36, s4
	s_addc_u32 s5, s37, s5
	s_load_b64 s[4:5], s[4:5], 0x0
	s_waitcnt lgkmcnt(0)
	s_sub_u32 s4, s4, s20
	s_subb_u32 s5, s5, 0
	s_and_not1_b32 vcc_lo, exec_lo, s8
	s_cbranch_vccnz .LBB219_13
.LBB219_15:
	s_waitcnt lgkmcnt(0)
	s_ashr_i32 s7, s6, 31
	s_delay_alu instid0(SALU_CYCLE_1) | instskip(NEXT) | instid1(SALU_CYCLE_1)
	s_lshl_b64 s[10:11], s[6:7], 3
	s_add_u32 s10, s36, s10
	s_addc_u32 s11, s37, s11
	s_load_b64 s[10:11], s[10:11], 0x8
	s_waitcnt lgkmcnt(0)
	s_sub_u32 s14, s10, s20
	s_subb_u32 s15, s11, 0
	s_load_b32 s36, s[0:1], 0x0
	s_waitcnt lgkmcnt(0)
	s_cmp_lt_i32 s36, 1
	s_cbranch_scc1 .LBB219_69
.LBB219_16:
	v_mbcnt_lo_u32_b32 v5, -1, 0
	s_ashr_i32 s7, s6, 31
	v_lshrrev_b32_e32 v2, 4, v0
	s_lshl_b64 s[6:7], s[6:7], 3
	v_sub_co_u32 v27, s1, v0, s23
	v_xor_b32_e32 v6, 8, v5
	s_add_u32 s2, s2, s6
	s_addc_u32 s3, s3, s7
	v_xor_b32_e32 v7, 4, v5
	s_load_b64 s[10:11], s[2:3], 0x0
	v_cmp_gt_i32_e64 s2, 32, v6
	v_xor_b32_e32 v8, 2, v5
	v_xor_b32_e32 v9, 1, v5
	v_sub_co_ci_u32_e64 v28, null, 0, 0, s1
	s_delay_alu instid0(VALU_DEP_4) | instskip(SKIP_2) | instid1(VALU_DEP_1)
	v_cndmask_b32_e64 v6, v5, v6, s2
	v_cmp_gt_i32_e64 s2, 32, v7
	v_add_co_u32 v3, s1, s4, v2
	v_add_co_ci_u32_e64 v4, null, s5, 0, s1
	s_delay_alu instid0(VALU_DEP_3) | instskip(SKIP_2) | instid1(VALU_DEP_4)
	v_cndmask_b32_e64 v7, v5, v7, s2
	v_cmp_gt_i32_e64 s2, 32, v8
	v_dual_mov_b32 v1, 0 :: v_dual_and_b32 v26, 15, v0
	v_cmp_gt_i64_e32 vcc_lo, s[14:15], v[3:4]
	s_delay_alu instid0(VALU_DEP_4) | instskip(NEXT) | instid1(VALU_DEP_4)
	v_dual_mov_b32 v37, 0x800 :: v_dual_lshlrev_b32 v30, 2, v7
	v_cndmask_b32_e64 v8, v5, v8, s2
	v_cmp_gt_i32_e64 s2, 32, v9
	s_waitcnt lgkmcnt(0)
	s_sub_u32 s10, s10, s22
	s_subb_u32 s11, s11, 0
	s_add_u32 s28, s30, s6
	s_addc_u32 s29, s31, s7
	v_cndmask_b32_e64 v9, v5, v9, s2
	v_xor_b32_e32 v5, 63, v5
	s_and_b32 s22, s8, vcc_lo
	v_lshlrev_b32_e32 v29, 2, v6
	s_add_u32 s30, s42, 8
	s_addc_u32 s31, s43, 0
	v_lshrrev_b64 v[5:6], v5, -1
	v_mov_b32_e32 v6, s10
	v_cmp_eq_u32_e64 s0, 0, v0
	v_cmp_eq_u32_e64 s1, 15, v26
	v_lshlrev_b32_e32 v31, 2, v8
	v_dual_mov_b32 v7, s11 :: v_dual_lshlrev_b32 v32, 2, v9
	v_dual_mov_b32 v36, v1 :: v_dual_and_b32 v33, 28, v2
	v_cmp_eq_u32_e64 s2, 0x1ff, v0
	v_cmp_gt_u32_e64 s3, 64, v0
	v_cmp_gt_u32_e64 s4, 0x80, v0
	;; [unrolled: 1-line block ×7, first 2 shown]
	v_or_b32_e32 v34, 0xfffffe00, v0
	v_dual_mov_b32 v35, 1 :: v_dual_lshlrev_b32 v0, 3, v0
	s_add_u32 s50, s26, 4
	v_mov_b32_e32 v2, v1
	s_addc_u32 s51, s27, 0
	s_add_u32 s46, s46, 4
	s_mov_b32 s37, s21
	s_mov_b32 s49, s23
	s_addc_u32 s47, s47, 0
	s_branch .LBB219_18
.LBB219_17:                             ;   in Loop: Header=BB219_18 Depth=1
	s_or_b32 exec_lo, exec_lo, s11
	ds_load_b32 v36, v1 offset:18432
	s_waitcnt lgkmcnt(0)
	s_barrier
	buffer_gl0_inv
	v_cmp_le_i32_e32 vcc_lo, s36, v36
	v_add_nc_u32_e32 v37, 0x800, v36
	s_cbranch_vccnz .LBB219_69
.LBB219_18:                             ; =>This Loop Header: Depth=1
                                        ;     Child Loop BB219_19 Depth 2
                                        ;     Child Loop BB219_25 Depth 2
                                        ;       Child Loop BB219_31 Depth 3
                                        ;     Child Loop BB219_48 Depth 2
                                        ;     Child Loop BB219_60 Depth 2
	;; [unrolled: 1-line block ×3, first 2 shown]
	v_dual_mov_b32 v8, v0 :: v_dual_mov_b32 v9, v34
	s_mov_b32 s10, 0
.LBB219_19:                             ;   Parent Loop BB219_18 Depth=1
                                        ; =>  This Inner Loop Header: Depth=2
	ds_store_b8 v9, v1 offset:16896
	v_add_nc_u32_e32 v9, 0x200, v9
	ds_store_b64 v8, v[1:2]
	v_add_nc_u32_e32 v8, 0x1000, v8
	v_cmp_lt_u32_e32 vcc_lo, 0x5ff, v9
	s_or_b32 s10, vcc_lo, s10
	s_delay_alu instid0(SALU_CYCLE_1)
	s_and_not1_b32 exec_lo, exec_lo, s10
	s_cbranch_execnz .LBB219_19
; %bb.20:                               ;   in Loop: Header=BB219_18 Depth=1
	s_or_b32 exec_lo, exec_lo, s10
	s_and_saveexec_b32 s10, s0
	s_cbranch_execz .LBB219_22
; %bb.21:                               ;   in Loop: Header=BB219_18 Depth=1
	v_mov_b32_e32 v8, s36
	ds_store_b32 v1, v8 offset:18432
.LBB219_22:                             ;   in Loop: Header=BB219_18 Depth=1
	s_or_b32 exec_lo, exec_lo, s10
	v_mov_b32_e32 v38, s36
	s_waitcnt lgkmcnt(0)
	s_barrier
	buffer_gl0_inv
	s_and_saveexec_b32 s26, s22
	s_cbranch_execz .LBB219_44
; %bb.23:                               ;   in Loop: Header=BB219_18 Depth=1
	v_dual_mov_b32 v38, s36 :: v_dual_mov_b32 v9, v4
	v_cmp_ne_u32_e64 s10, 0, v36
	v_mov_b32_e32 v8, v3
	s_mov_b32 s27, 0
	s_branch .LBB219_25
.LBB219_24:                             ;   in Loop: Header=BB219_25 Depth=2
	s_or_b32 exec_lo, exec_lo, s12
	v_add_co_u32 v8, vcc_lo, v8, 32
	v_add_co_ci_u32_e32 v9, vcc_lo, 0, v9, vcc_lo
	s_delay_alu instid0(VALU_DEP_1) | instskip(SKIP_1) | instid1(SALU_CYCLE_1)
	v_cmp_le_i64_e32 vcc_lo, s[14:15], v[8:9]
	s_or_b32 s27, vcc_lo, s27
	s_and_not1_b32 exec_lo, exec_lo, s27
	s_cbranch_execz .LBB219_43
.LBB219_25:                             ;   Parent Loop BB219_18 Depth=1
                                        ; =>  This Loop Header: Depth=2
                                        ;       Child Loop BB219_31 Depth 3
	s_delay_alu instid0(VALU_DEP_1) | instskip(NEXT) | instid1(VALU_DEP_1)
	v_lshlrev_b64 v[10:11], 2, v[8:9]
	v_add_co_u32 v12, vcc_lo, s38, v10
	s_delay_alu instid0(VALU_DEP_2)
	v_add_co_ci_u32_e32 v13, vcc_lo, s39, v11, vcc_lo
	v_lshlrev_b64 v[10:11], 3, v[8:9]
	s_waitcnt lgkmcnt(0)
	global_load_b32 v14, v[12:13], off
	v_add_co_u32 v12, vcc_lo, s40, v10
	v_add_co_ci_u32_e32 v13, vcc_lo, s41, v11, vcc_lo
	s_and_b32 vcc_lo, exec_lo, s10
	global_load_b64 v[16:17], v[12:13], off
	s_waitcnt vmcnt(1)
	v_subrev_nc_u32_e32 v12, s20, v14
	s_delay_alu instid0(VALU_DEP_1)
	v_ashrrev_i32_e32 v13, 31, v12
	s_cbranch_vccz .LBB219_42
; %bb.26:                               ;   in Loop: Header=BB219_25 Depth=2
	v_add_co_u32 v14, vcc_lo, s18, v10
	v_add_co_ci_u32_e32 v15, vcc_lo, s19, v11, vcc_lo
	global_load_b64 v[18:19], v[14:15], off
	s_cbranch_execnz .LBB219_28
.LBB219_27:                             ;   in Loop: Header=BB219_25 Depth=2
	s_delay_alu instid0(VALU_DEP_1) | instskip(NEXT) | instid1(VALU_DEP_1)
	v_lshlrev_b64 v[14:15], 3, v[12:13]
	v_add_co_u32 v14, vcc_lo, s42, v14
	s_delay_alu instid0(VALU_DEP_2)
	v_add_co_ci_u32_e32 v15, vcc_lo, s43, v15, vcc_lo
	global_load_b64 v[14:15], v[14:15], off
	s_waitcnt vmcnt(0)
	v_sub_co_u32 v18, vcc_lo, v14, s37
	v_subrev_co_ci_u32_e32 v19, vcc_lo, 0, v15, vcc_lo
.LBB219_28:                             ;   in Loop: Header=BB219_25 Depth=2
	v_lshlrev_b64 v[12:13], 3, v[12:13]
	s_mov_b32 s52, exec_lo
	s_delay_alu instid0(VALU_DEP_1) | instskip(NEXT) | instid1(VALU_DEP_2)
	v_add_co_u32 v12, vcc_lo, s30, v12
	v_add_co_ci_u32_e32 v13, vcc_lo, s31, v13, vcc_lo
	global_load_b64 v[12:13], v[12:13], off
	s_waitcnt vmcnt(0)
	v_sub_co_u32 v14, vcc_lo, v12, s37
	v_subrev_co_ci_u32_e32 v15, vcc_lo, 0, v13, vcc_lo
	v_add_co_u32 v12, vcc_lo, v18, v26
	v_add_co_ci_u32_e32 v13, vcc_lo, 0, v19, vcc_lo
	s_delay_alu instid0(VALU_DEP_1)
	v_cmpx_lt_i64_e64 v[12:13], v[14:15]
	s_cbranch_execz .LBB219_40
; %bb.29:                               ;   in Loop: Header=BB219_25 Depth=2
	v_mul_f32_e64 v39, v17, -s13
	v_mul_f32_e32 v40, s33, v17
	v_lshlrev_b64 v[17:18], 2, v[12:13]
	v_lshlrev_b64 v[19:20], 3, v[12:13]
	s_mov_b32 s54, 0
	v_fmac_f32_e32 v39, s33, v16
	v_fmac_f32_e32 v40, s13, v16
                                        ; implicit-def: $sgpr53
                                        ; implicit-def: $sgpr55
	s_delay_alu instid0(VALU_DEP_4)
	v_add_co_u32 v16, vcc_lo, s24, v17
	v_add_co_ci_u32_e32 v17, vcc_lo, s25, v18, vcc_lo
	v_add_co_u32 v18, vcc_lo, s50, v19
	v_add_co_ci_u32_e32 v19, vcc_lo, s51, v20, vcc_lo
	v_dual_mov_b32 v21, v13 :: v_dual_mov_b32 v20, v12
	s_branch .LBB219_31
.LBB219_30:                             ;   in Loop: Header=BB219_31 Depth=3
	s_or_b32 exec_lo, exec_lo, s12
	s_delay_alu instid0(SALU_CYCLE_1) | instskip(SKIP_4) | instid1(SALU_CYCLE_1)
	s_and_b32 s11, exec_lo, s56
	v_dual_mov_b32 v20, v22 :: v_dual_mov_b32 v21, v23
	s_or_b32 s54, s11, s54
	s_and_not1_b32 s11, s53, exec_lo
	s_and_b32 s12, s55, exec_lo
	s_or_b32 s53, s11, s12
	s_and_not1_b32 exec_lo, exec_lo, s54
	s_cbranch_execz .LBB219_37
.LBB219_31:                             ;   Parent Loop BB219_18 Depth=1
                                        ;     Parent Loop BB219_25 Depth=2
                                        ; =>    This Inner Loop Header: Depth=3
	global_load_b32 v22, v[16:17], off
	s_waitcnt vmcnt(0)
	v_subrev_nc_u32_e32 v41, s21, v22
	s_delay_alu instid0(VALU_DEP_1) | instskip(SKIP_2) | instid1(VALU_DEP_2)
	v_cmp_lt_i32_e64 s11, v41, v36
	v_cmp_ge_i32_e64 s12, v41, v37
	v_cmp_lt_i32_e32 vcc_lo, v41, v37
	s_or_b32 s56, s11, s12
	s_mov_b32 s11, 0
                                        ; implicit-def: $sgpr12
	s_and_saveexec_b32 s57, s56
	s_delay_alu instid0(SALU_CYCLE_1)
	s_xor_b32 s56, exec_lo, s57
; %bb.32:                               ;   in Loop: Header=BB219_31 Depth=3
	s_mov_b32 s12, -1
	s_and_b32 s11, vcc_lo, exec_lo
; %bb.33:                               ;   in Loop: Header=BB219_31 Depth=3
	s_and_not1_saveexec_b32 s56, s56
	s_cbranch_execz .LBB219_35
; %bb.34:                               ;   in Loop: Header=BB219_31 Depth=3
	global_load_b64 v[22:23], v[18:19], off offset:-4
	v_sub_nc_u32_e32 v24, v41, v36
	s_or_b32 s11, s11, exec_lo
	ds_store_b8 v24, v35 offset:16384
	v_lshlrev_b32_e32 v42, 3, v24
	s_waitcnt vmcnt(0)
	v_mul_f32_e64 v25, v23, -v40
	v_mul_f32_e32 v23, v39, v23
	s_delay_alu instid0(VALU_DEP_2) | instskip(NEXT) | instid1(VALU_DEP_2)
	v_fmac_f32_e32 v25, v39, v22
	v_fmac_f32_e32 v23, v40, v22
	ds_add_f32 v42, v25
	ds_add_f32 v42, v23 offset:4
.LBB219_35:                             ;   in Loop: Header=BB219_31 Depth=3
	s_or_b32 exec_lo, exec_lo, s56
	v_dual_mov_b32 v25, v21 :: v_dual_mov_b32 v24, v20
	s_and_not1_b32 s55, s55, exec_lo
	s_and_b32 s12, s12, exec_lo
	s_mov_b32 s56, -1
	s_or_b32 s55, s55, s12
                                        ; implicit-def: $vgpr22_vgpr23
	s_and_saveexec_b32 s12, s11
	s_cbranch_execz .LBB219_30
; %bb.36:                               ;   in Loop: Header=BB219_31 Depth=3
	v_add_co_u32 v22, vcc_lo, v20, 16
	v_add_co_ci_u32_e32 v23, vcc_lo, 0, v21, vcc_lo
	v_add_co_u32 v16, vcc_lo, v16, 64
	v_add_co_ci_u32_e32 v17, vcc_lo, 0, v17, vcc_lo
	s_delay_alu instid0(VALU_DEP_3) | instskip(SKIP_1) | instid1(VALU_DEP_1)
	v_cmp_ge_i64_e32 vcc_lo, v[22:23], v[14:15]
	v_add_co_u32 v18, s11, 0x80, v18
	v_add_co_ci_u32_e64 v19, s11, 0, v19, s11
	v_dual_mov_b32 v25, v21 :: v_dual_mov_b32 v24, v20
	s_and_not1_b32 s55, s55, exec_lo
	s_or_not1_b32 s56, vcc_lo, exec_lo
	s_branch .LBB219_30
.LBB219_37:                             ;   in Loop: Header=BB219_25 Depth=2
	s_or_b32 exec_lo, exec_lo, s54
	s_and_saveexec_b32 s11, s53
	s_delay_alu instid0(SALU_CYCLE_1)
	s_xor_b32 s11, exec_lo, s11
; %bb.38:                               ;   in Loop: Header=BB219_25 Depth=2
	v_min_i32_e32 v38, v41, v38
	v_dual_mov_b32 v12, v24 :: v_dual_mov_b32 v13, v25
; %bb.39:                               ;   in Loop: Header=BB219_25 Depth=2
	s_or_b32 exec_lo, exec_lo, s11
.LBB219_40:                             ;   in Loop: Header=BB219_25 Depth=2
	s_delay_alu instid0(SALU_CYCLE_1)
	s_or_b32 exec_lo, exec_lo, s52
	ds_bpermute_b32 v14, v29, v12
	ds_bpermute_b32 v15, v29, v13
	s_waitcnt lgkmcnt(0)
	v_cmp_lt_i64_e32 vcc_lo, v[14:15], v[12:13]
	v_dual_cndmask_b32 v13, v13, v15 :: v_dual_cndmask_b32 v12, v12, v14
	ds_bpermute_b32 v15, v30, v13
	ds_bpermute_b32 v14, v30, v12
	s_waitcnt lgkmcnt(0)
	v_cmp_lt_i64_e32 vcc_lo, v[14:15], v[12:13]
	v_dual_cndmask_b32 v13, v13, v15 :: v_dual_cndmask_b32 v12, v12, v14
	;; [unrolled: 5-line block ×3, first 2 shown]
	ds_bpermute_b32 v15, v32, v13
	ds_bpermute_b32 v14, v32, v12
	s_and_saveexec_b32 s12, s1
	s_cbranch_execz .LBB219_24
; %bb.41:                               ;   in Loop: Header=BB219_25 Depth=2
	s_waitcnt lgkmcnt(0)
	v_cmp_lt_i64_e32 vcc_lo, v[14:15], v[12:13]
	v_add_co_u32 v10, s11, s18, v10
	s_delay_alu instid0(VALU_DEP_1)
	v_add_co_ci_u32_e64 v11, s11, s19, v11, s11
	v_dual_cndmask_b32 v13, v13, v15 :: v_dual_cndmask_b32 v12, v12, v14
	global_store_b64 v[10:11], v[12:13], off
	s_branch .LBB219_24
.LBB219_42:                             ;   in Loop: Header=BB219_25 Depth=2
                                        ; implicit-def: $vgpr18_vgpr19
	s_branch .LBB219_27
.LBB219_43:                             ;   in Loop: Header=BB219_18 Depth=1
	s_or_b32 exec_lo, exec_lo, s27
.LBB219_44:                             ;   in Loop: Header=BB219_18 Depth=1
	s_delay_alu instid0(SALU_CYCLE_1) | instskip(NEXT) | instid1(SALU_CYCLE_1)
	s_or_b32 exec_lo, exec_lo, s26
	s_and_not1_b32 vcc_lo, exec_lo, s34
	s_cbranch_vccnz .LBB219_58
; %bb.45:                               ;   in Loop: Header=BB219_18 Depth=1
	s_load_b128 s[52:55], s[28:29], 0x0
	s_mov_b32 s12, exec_lo
	s_waitcnt lgkmcnt(0)
	v_add_co_u32 v8, vcc_lo, s52, v27
	v_add_co_ci_u32_e32 v9, vcc_lo, s53, v28, vcc_lo
	s_sub_u32 s26, s54, s49
	s_subb_u32 s27, s55, 0
	s_delay_alu instid0(VALU_DEP_1) | instid1(SALU_CYCLE_1)
	v_cmpx_gt_i64_e64 s[26:27], v[8:9]
	s_cbranch_execz .LBB219_57
; %bb.46:                               ;   in Loop: Header=BB219_18 Depth=1
	v_lshlrev_b64 v[10:11], 2, v[8:9]
	v_lshlrev_b64 v[12:13], 3, v[8:9]
	s_mov_b32 s52, 0
                                        ; implicit-def: $sgpr53
                                        ; implicit-def: $sgpr54
	s_delay_alu instid0(VALU_DEP_2) | instskip(NEXT) | instid1(VALU_DEP_3)
	v_add_co_u32 v10, vcc_lo, s44, v10
	v_add_co_ci_u32_e32 v11, vcc_lo, s45, v11, vcc_lo
	s_delay_alu instid0(VALU_DEP_3) | instskip(NEXT) | instid1(VALU_DEP_4)
	v_add_co_u32 v12, vcc_lo, s46, v12
	v_add_co_ci_u32_e32 v13, vcc_lo, s47, v13, vcc_lo
	s_branch .LBB219_48
.LBB219_47:                             ;   in Loop: Header=BB219_48 Depth=2
	s_or_b32 exec_lo, exec_lo, s11
	s_delay_alu instid0(SALU_CYCLE_1) | instskip(NEXT) | instid1(SALU_CYCLE_1)
	s_and_b32 s10, exec_lo, s55
	s_or_b32 s52, s10, s52
	s_and_not1_b32 s10, s53, exec_lo
	s_and_b32 s11, s54, exec_lo
	s_delay_alu instid0(SALU_CYCLE_1)
	s_or_b32 s53, s10, s11
	s_and_not1_b32 exec_lo, exec_lo, s52
	s_cbranch_execz .LBB219_54
.LBB219_48:                             ;   Parent Loop BB219_18 Depth=1
                                        ; =>  This Inner Loop Header: Depth=2
	global_load_b32 v14, v[10:11], off
	s_waitcnt vmcnt(0)
	v_subrev_nc_u32_e32 v14, s23, v14
	s_delay_alu instid0(VALU_DEP_1) | instskip(SKIP_2) | instid1(VALU_DEP_2)
	v_cmp_lt_i32_e64 s10, v14, v36
	v_cmp_ge_i32_e64 s11, v14, v37
	v_cmp_lt_i32_e32 vcc_lo, v14, v37
	s_or_b32 s55, s10, s11
	s_mov_b32 s10, 0
                                        ; implicit-def: $sgpr11
	s_and_saveexec_b32 s56, s55
	s_delay_alu instid0(SALU_CYCLE_1)
	s_xor_b32 s55, exec_lo, s56
; %bb.49:                               ;   in Loop: Header=BB219_48 Depth=2
	s_mov_b32 s11, -1
	s_and_b32 s10, vcc_lo, exec_lo
; %bb.50:                               ;   in Loop: Header=BB219_48 Depth=2
	s_and_not1_saveexec_b32 s55, s55
	s_cbranch_execz .LBB219_52
; %bb.51:                               ;   in Loop: Header=BB219_48 Depth=2
	global_load_b64 v[15:16], v[12:13], off offset:-4
	v_sub_nc_u32_e32 v17, v14, v36
	s_or_b32 s10, s10, exec_lo
	ds_store_b8 v17, v35 offset:16384
	v_lshlrev_b32_e32 v19, 3, v17
	s_waitcnt vmcnt(0)
	v_mul_f32_e64 v18, v16, -s48
	v_mul_f32_e32 v16, s35, v16
	s_delay_alu instid0(VALU_DEP_2) | instskip(NEXT) | instid1(VALU_DEP_2)
	v_fmac_f32_e32 v18, s35, v15
	v_fmac_f32_e32 v16, s48, v15
	ds_add_f32 v19, v18
	ds_add_f32 v19, v16 offset:4
.LBB219_52:                             ;   in Loop: Header=BB219_48 Depth=2
	s_or_b32 exec_lo, exec_lo, s55
	s_delay_alu instid0(SALU_CYCLE_1)
	s_and_not1_b32 s54, s54, exec_lo
	s_and_b32 s11, s11, exec_lo
	s_mov_b32 s55, -1
	s_or_b32 s54, s54, s11
	s_and_saveexec_b32 s11, s10
	s_cbranch_execz .LBB219_47
; %bb.53:                               ;   in Loop: Header=BB219_48 Depth=2
	v_add_co_u32 v8, vcc_lo, 0x200, v8
	v_add_co_ci_u32_e32 v9, vcc_lo, 0, v9, vcc_lo
	v_add_co_u32 v10, vcc_lo, 0x800, v10
	v_add_co_ci_u32_e32 v11, vcc_lo, 0, v11, vcc_lo
	s_delay_alu instid0(VALU_DEP_3) | instskip(SKIP_1) | instid1(VALU_DEP_1)
	v_cmp_le_i64_e32 vcc_lo, s[26:27], v[8:9]
	v_add_co_u32 v12, s10, 0x1000, v12
	v_add_co_ci_u32_e64 v13, s10, 0, v13, s10
	s_and_not1_b32 s54, s54, exec_lo
	s_or_not1_b32 s55, vcc_lo, exec_lo
	s_branch .LBB219_47
.LBB219_54:                             ;   in Loop: Header=BB219_18 Depth=1
	s_or_b32 exec_lo, exec_lo, s52
	s_and_saveexec_b32 s10, s53
	s_delay_alu instid0(SALU_CYCLE_1)
	s_xor_b32 s10, exec_lo, s10
; %bb.55:                               ;   in Loop: Header=BB219_18 Depth=1
	v_min_i32_e32 v38, v14, v38
; %bb.56:                               ;   in Loop: Header=BB219_18 Depth=1
	s_or_b32 exec_lo, exec_lo, s10
.LBB219_57:                             ;   in Loop: Header=BB219_18 Depth=1
	s_delay_alu instid0(SALU_CYCLE_1)
	s_or_b32 exec_lo, exec_lo, s12
.LBB219_58:                             ;   in Loop: Header=BB219_18 Depth=1
	ds_bpermute_b32 v8, v29, v38
	s_waitcnt lgkmcnt(0)
	v_min_i32_e32 v8, v8, v38
	ds_bpermute_b32 v9, v30, v8
	s_waitcnt lgkmcnt(0)
	v_min_i32_e32 v8, v9, v8
	;; [unrolled: 3-line block ×3, first 2 shown]
	ds_bpermute_b32 v9, v32, v8
	s_and_saveexec_b32 s10, s1
	s_cbranch_execz .LBB219_63
; %bb.59:                               ;   in Loop: Header=BB219_18 Depth=1
	s_waitcnt lgkmcnt(0)
	v_min_i32_e32 v8, v9, v8
	s_mov_b32 s12, exec_lo
	s_brev_b32 s11, -2
.LBB219_60:                             ;   Parent Loop BB219_18 Depth=1
                                        ; =>  This Inner Loop Header: Depth=2
	s_ctz_i32_b32 s26, s12
	s_delay_alu instid0(VALU_DEP_1) | instid1(SALU_CYCLE_1)
	v_readlane_b32 s27, v8, s26
	s_lshl_b32 s26, 1, s26
	s_delay_alu instid0(SALU_CYCLE_1) | instskip(NEXT) | instid1(VALU_DEP_1)
	s_and_not1_b32 s12, s12, s26
	s_min_i32 s11, s11, s27
	s_cmp_lg_u32 s12, 0
	s_cbranch_scc1 .LBB219_60
; %bb.61:                               ;   in Loop: Header=BB219_18 Depth=1
	v_mbcnt_lo_u32_b32 v8, exec_lo, 0
	s_mov_b32 s12, exec_lo
	s_delay_alu instid0(VALU_DEP_1)
	v_cmpx_eq_u32_e32 0, v8
	s_xor_b32 s12, exec_lo, s12
	s_cbranch_execz .LBB219_63
; %bb.62:                               ;   in Loop: Header=BB219_18 Depth=1
	v_mov_b32_e32 v8, s11
	ds_min_i32 v1, v8 offset:18432
.LBB219_63:                             ;   in Loop: Header=BB219_18 Depth=1
	s_or_b32 exec_lo, exec_lo, s10
	v_dual_mov_b32 v12, v0 :: v_dual_mov_b32 v13, v34
	s_mov_b32 s11, 0
	s_waitcnt lgkmcnt(0)
	s_waitcnt_vscnt null, 0x0
	s_barrier
	buffer_gl0_inv
	s_branch .LBB219_65
.LBB219_64:                             ;   in Loop: Header=BB219_65 Depth=2
	s_or_b32 exec_lo, exec_lo, s10
	s_waitcnt lgkmcnt(0)
	s_waitcnt_vscnt null, 0x0
	s_barrier
	buffer_gl0_inv
	ds_load_b32 v8, v1 offset:28
	v_add_nc_u32_e32 v13, 0x200, v13
	v_add_nc_u32_e32 v12, 0x1000, v12
	s_delay_alu instid0(VALU_DEP_2) | instskip(SKIP_4) | instid1(VALU_DEP_1)
	v_cmp_lt_u32_e32 vcc_lo, 0x5ff, v13
	s_or_b32 s11, vcc_lo, s11
	s_waitcnt lgkmcnt(0)
	v_ashrrev_i32_e32 v9, 31, v8
	v_add_co_u32 v6, s10, v6, v8
	v_add_co_ci_u32_e64 v7, s10, v7, v9, s10
	s_and_not1_b32 exec_lo, exec_lo, s11
	s_cbranch_execz .LBB219_17
.LBB219_65:                             ;   Parent Loop BB219_18 Depth=1
                                        ; =>  This Inner Loop Header: Depth=2
	ds_load_u8 v10, v13 offset:16896
	ds_load_b64 v[8:9], v12
	s_waitcnt lgkmcnt(0)
	s_barrier
	buffer_gl0_inv
	v_cmp_ne_u16_e32 vcc_lo, 0, v10
	s_bcnt1_i32_b32 s10, vcc_lo
	s_delay_alu instid0(SALU_CYCLE_1)
	v_mov_b32_e32 v11, s10
	s_mov_b32 s10, exec_lo
	ds_store_b32 v33, v11
	s_waitcnt lgkmcnt(0)
	s_barrier
	buffer_gl0_inv
	ds_load_b128 v[14:17], v1
	ds_load_b96 v[18:20], v1 offset:16
	v_and_b32_e32 v11, vcc_lo, v5
	s_waitcnt lgkmcnt(1)
	v_cndmask_b32_e64 v14, v14, 0, s3
	v_cndmask_b32_e64 v15, v15, 0, s4
	;; [unrolled: 1-line block ×3, first 2 shown]
	s_delay_alu instid0(VALU_DEP_3) | instskip(SKIP_3) | instid1(VALU_DEP_3)
	v_bcnt_u32_b32 v11, v11, v14
	v_cndmask_b32_e64 v14, v17, 0, s6
	s_waitcnt lgkmcnt(0)
	v_cndmask_b32_e64 v17, v18, 0, s7
	v_add3_u32 v11, v11, v15, v16
	v_cndmask_b32_e64 v15, v19, 0, s8
	v_cndmask_b32_e64 v16, v20, 0, s9
	s_delay_alu instid0(VALU_DEP_3) | instskip(SKIP_1) | instid1(VALU_DEP_2)
	v_add3_u32 v11, v11, v14, v17
	v_and_b32_e32 v14, 1, v10
	v_add3_u32 v10, v11, v15, v16
	s_delay_alu instid0(VALU_DEP_2)
	v_cmpx_eq_u32_e32 1, v14
	s_cbranch_execz .LBB219_67
; %bb.66:                               ;   in Loop: Header=BB219_65 Depth=2
	s_delay_alu instid0(VALU_DEP_2) | instskip(SKIP_1) | instid1(VALU_DEP_2)
	v_ashrrev_i32_e32 v11, 31, v10
	v_lshlrev_b64 v[14:15], 3, v[6:7]
	v_lshlrev_b64 v[16:17], 3, v[10:11]
	s_delay_alu instid0(VALU_DEP_2) | instskip(NEXT) | instid1(VALU_DEP_3)
	v_add_co_u32 v11, vcc_lo, s16, v14
	v_add_co_ci_u32_e32 v15, vcc_lo, s17, v15, vcc_lo
	s_delay_alu instid0(VALU_DEP_2) | instskip(NEXT) | instid1(VALU_DEP_2)
	v_add_co_u32 v14, vcc_lo, v11, v16
	v_add_co_ci_u32_e32 v15, vcc_lo, v15, v17, vcc_lo
	global_store_b64 v[14:15], v[8:9], off offset:-8
.LBB219_67:                             ;   in Loop: Header=BB219_65 Depth=2
	s_or_b32 exec_lo, exec_lo, s10
	s_and_saveexec_b32 s10, s2
	s_cbranch_execz .LBB219_64
; %bb.68:                               ;   in Loop: Header=BB219_65 Depth=2
	ds_store_b32 v1, v10 offset:28
	s_branch .LBB219_64
.LBB219_69:
	s_endpgm
	.section	.rodata,"a",@progbits
	.p2align	6, 0x0
	.amdhsa_kernel _ZN9rocsparseL51csrgemm_numeric_fill_block_per_row_multipass_kernelILj512ELj16ELj2048ELj64Eli21rocsparse_complex_numIfEEEvT4_PKS3_S5_NS_24const_host_device_scalarIT5_EEPKT3_S5_PKS7_SB_S5_SD_S8_SB_S5_SD_SB_S5_PS7_PS9_21rocsparse_index_base_SG_SG_SG_bbb
		.amdhsa_group_segment_fixed_size 18436
		.amdhsa_private_segment_fixed_size 0
		.amdhsa_kernarg_size 164
		.amdhsa_user_sgpr_count 15
		.amdhsa_user_sgpr_dispatch_ptr 0
		.amdhsa_user_sgpr_queue_ptr 0
		.amdhsa_user_sgpr_kernarg_segment_ptr 1
		.amdhsa_user_sgpr_dispatch_id 0
		.amdhsa_user_sgpr_private_segment_size 0
		.amdhsa_wavefront_size32 1
		.amdhsa_uses_dynamic_stack 0
		.amdhsa_enable_private_segment 0
		.amdhsa_system_sgpr_workgroup_id_x 1
		.amdhsa_system_sgpr_workgroup_id_y 0
		.amdhsa_system_sgpr_workgroup_id_z 0
		.amdhsa_system_sgpr_workgroup_info 0
		.amdhsa_system_vgpr_workitem_id 0
		.amdhsa_next_free_vgpr 43
		.amdhsa_next_free_sgpr 58
		.amdhsa_reserve_vcc 1
		.amdhsa_float_round_mode_32 0
		.amdhsa_float_round_mode_16_64 0
		.amdhsa_float_denorm_mode_32 3
		.amdhsa_float_denorm_mode_16_64 3
		.amdhsa_dx10_clamp 1
		.amdhsa_ieee_mode 1
		.amdhsa_fp16_overflow 0
		.amdhsa_workgroup_processor_mode 1
		.amdhsa_memory_ordered 1
		.amdhsa_forward_progress 0
		.amdhsa_shared_vgpr_count 0
		.amdhsa_exception_fp_ieee_invalid_op 0
		.amdhsa_exception_fp_denorm_src 0
		.amdhsa_exception_fp_ieee_div_zero 0
		.amdhsa_exception_fp_ieee_overflow 0
		.amdhsa_exception_fp_ieee_underflow 0
		.amdhsa_exception_fp_ieee_inexact 0
		.amdhsa_exception_int_div_zero 0
	.end_amdhsa_kernel
	.section	.text._ZN9rocsparseL51csrgemm_numeric_fill_block_per_row_multipass_kernelILj512ELj16ELj2048ELj64Eli21rocsparse_complex_numIfEEEvT4_PKS3_S5_NS_24const_host_device_scalarIT5_EEPKT3_S5_PKS7_SB_S5_SD_S8_SB_S5_SD_SB_S5_PS7_PS9_21rocsparse_index_base_SG_SG_SG_bbb,"axG",@progbits,_ZN9rocsparseL51csrgemm_numeric_fill_block_per_row_multipass_kernelILj512ELj16ELj2048ELj64Eli21rocsparse_complex_numIfEEEvT4_PKS3_S5_NS_24const_host_device_scalarIT5_EEPKT3_S5_PKS7_SB_S5_SD_S8_SB_S5_SD_SB_S5_PS7_PS9_21rocsparse_index_base_SG_SG_SG_bbb,comdat
.Lfunc_end219:
	.size	_ZN9rocsparseL51csrgemm_numeric_fill_block_per_row_multipass_kernelILj512ELj16ELj2048ELj64Eli21rocsparse_complex_numIfEEEvT4_PKS3_S5_NS_24const_host_device_scalarIT5_EEPKT3_S5_PKS7_SB_S5_SD_S8_SB_S5_SD_SB_S5_PS7_PS9_21rocsparse_index_base_SG_SG_SG_bbb, .Lfunc_end219-_ZN9rocsparseL51csrgemm_numeric_fill_block_per_row_multipass_kernelILj512ELj16ELj2048ELj64Eli21rocsparse_complex_numIfEEEvT4_PKS3_S5_NS_24const_host_device_scalarIT5_EEPKT3_S5_PKS7_SB_S5_SD_S8_SB_S5_SD_SB_S5_PS7_PS9_21rocsparse_index_base_SG_SG_SG_bbb
                                        ; -- End function
	.section	.AMDGPU.csdata,"",@progbits
; Kernel info:
; codeLenInByte = 2988
; NumSgprs: 60
; NumVgprs: 43
; ScratchSize: 0
; MemoryBound: 0
; FloatMode: 240
; IeeeMode: 1
; LDSByteSize: 18436 bytes/workgroup (compile time only)
; SGPRBlocks: 7
; VGPRBlocks: 5
; NumSGPRsForWavesPerEU: 60
; NumVGPRsForWavesPerEU: 43
; Occupancy: 16
; WaveLimiterHint : 1
; COMPUTE_PGM_RSRC2:SCRATCH_EN: 0
; COMPUTE_PGM_RSRC2:USER_SGPR: 15
; COMPUTE_PGM_RSRC2:TRAP_HANDLER: 0
; COMPUTE_PGM_RSRC2:TGID_X_EN: 1
; COMPUTE_PGM_RSRC2:TGID_Y_EN: 0
; COMPUTE_PGM_RSRC2:TGID_Z_EN: 0
; COMPUTE_PGM_RSRC2:TIDIG_COMP_CNT: 0
	.section	.text._ZN9rocsparseL38csrgemm_numeric_fill_wf_per_row_kernelILj256ELj8ELj16ELj137Eli21rocsparse_complex_numIdEEEvT4_S3_PKS3_S5_NS_24const_host_device_scalarIT5_EEPKT3_S5_PKS7_SB_S5_SD_S8_SB_S5_SD_SB_S5_PS7_21rocsparse_index_base_SF_SF_SF_bbb,"axG",@progbits,_ZN9rocsparseL38csrgemm_numeric_fill_wf_per_row_kernelILj256ELj8ELj16ELj137Eli21rocsparse_complex_numIdEEEvT4_S3_PKS3_S5_NS_24const_host_device_scalarIT5_EEPKT3_S5_PKS7_SB_S5_SD_S8_SB_S5_SD_SB_S5_PS7_21rocsparse_index_base_SF_SF_SF_bbb,comdat
	.globl	_ZN9rocsparseL38csrgemm_numeric_fill_wf_per_row_kernelILj256ELj8ELj16ELj137Eli21rocsparse_complex_numIdEEEvT4_S3_PKS3_S5_NS_24const_host_device_scalarIT5_EEPKT3_S5_PKS7_SB_S5_SD_S8_SB_S5_SD_SB_S5_PS7_21rocsparse_index_base_SF_SF_SF_bbb ; -- Begin function _ZN9rocsparseL38csrgemm_numeric_fill_wf_per_row_kernelILj256ELj8ELj16ELj137Eli21rocsparse_complex_numIdEEEvT4_S3_PKS3_S5_NS_24const_host_device_scalarIT5_EEPKT3_S5_PKS7_SB_S5_SD_S8_SB_S5_SD_SB_S5_PS7_21rocsparse_index_base_SF_SF_SF_bbb
	.p2align	8
	.type	_ZN9rocsparseL38csrgemm_numeric_fill_wf_per_row_kernelILj256ELj8ELj16ELj137Eli21rocsparse_complex_numIdEEEvT4_S3_PKS3_S5_NS_24const_host_device_scalarIT5_EEPKT3_S5_PKS7_SB_S5_SD_S8_SB_S5_SD_SB_S5_PS7_21rocsparse_index_base_SF_SF_SF_bbb,@function
_ZN9rocsparseL38csrgemm_numeric_fill_wf_per_row_kernelILj256ELj8ELj16ELj137Eli21rocsparse_complex_numIdEEEvT4_S3_PKS3_S5_NS_24const_host_device_scalarIT5_EEPKT3_S5_PKS7_SB_S5_SD_S8_SB_S5_SD_SB_S5_PS7_21rocsparse_index_base_SF_SF_SF_bbb: ; @_ZN9rocsparseL38csrgemm_numeric_fill_wf_per_row_kernelILj256ELj8ELj16ELj137Eli21rocsparse_complex_numIdEEEvT4_S3_PKS3_S5_NS_24const_host_device_scalarIT5_EEPKT3_S5_PKS7_SB_S5_SD_S8_SB_S5_SD_SB_S5_PS7_21rocsparse_index_base_SF_SF_SF_bbb
; %bb.0:
	s_load_b32 s34, s[2:3], 0xa8
	s_load_b64 s[8:9], s[0:1], 0x4
	s_clause 0x1
	s_load_b128 s[4:7], s[2:3], 0x18
	s_load_b128 s[40:43], s[2:3], 0x58
	v_dual_mov_b32 v4, 0 :: v_dual_and_b32 v1, 0x3ff, v0
	s_load_b128 s[24:27], s[2:3], 0x98
	v_bfe_u32 v3, v0, 10, 10
	v_mov_b32_e32 v5, 0
	v_bfe_u32 v0, v0, 20, 10
	s_waitcnt lgkmcnt(0)
	s_bitcmp1_b32 s34, 0
	s_cselect_b32 s33, -1, 0
	s_bitcmp1_b32 s34, 16
	v_mov_b32_e32 v6, s40
	s_cselect_b32 s0, -1, 0
	s_lshr_b32 s1, s8, 16
	s_delay_alu instid0(SALU_CYCLE_1) | instskip(NEXT) | instid1(SALU_CYCLE_1)
	s_mul_i32 s1, s1, s9
	v_mul_lo_u32 v2, s1, v1
	s_xor_b32 s1, s0, -1
	s_bitcmp0_b32 s34, 0
	v_cndmask_b32_e64 v8, 0, 1, s1
	s_delay_alu instid0(VALU_DEP_2)
	v_mad_u32_u24 v9, v3, s9, v2
	v_dual_mov_b32 v2, s4 :: v_dual_mov_b32 v3, s5
	v_mov_b32_e32 v11, v5
	v_dual_mov_b32 v13, v5 :: v_dual_mov_b32 v12, v4
	v_dual_mov_b32 v7, s41 :: v_dual_mov_b32 v10, v4
	v_cmp_ne_u32_e32 vcc_lo, 1, v8
	v_add_lshl_u32 v0, v9, v0, 3
	ds_store_2addr_stride64_b64 v0, v[6:7], v[2:3] offset0:20 offset1:24
	s_cbranch_scc1 .LBB220_3
; %bb.1:
	s_mov_b64 s[8:9], src_shared_base
	s_and_b32 s8, s0, exec_lo
	s_cselect_b32 s8, s9, s5
	s_delay_alu instid0(SALU_CYCLE_1) | instskip(SKIP_2) | instid1(VALU_DEP_2)
	v_dual_mov_b32 v3, s8 :: v_dual_add_nc_u32 v2, 0x3000, v0
	v_dual_mov_b32 v13, s7 :: v_dual_mov_b32 v12, s6
	s_and_b32 vcc_lo, exec_lo, vcc_lo
	v_cndmask_b32_e64 v2, s4, v2, s0
	flat_load_b64 v[10:11], v[2:3]
	s_cbranch_vccnz .LBB220_3
; %bb.2:
	v_dual_mov_b32 v2, s4 :: v_dual_mov_b32 v3, s5
	flat_load_b64 v[12:13], v[2:3] offset:8
.LBB220_3:
	s_clause 0x4
	s_load_b64 s[12:13], s[2:3], 0x90
	s_load_b256 s[4:11], s[2:3], 0x68
	s_load_b128 s[28:31], s[2:3], 0x48
	s_load_b128 s[36:39], s[2:3], 0x8
	s_load_b256 s[16:23], s[2:3], 0x28
	s_bitcmp1_b32 s34, 8
	v_dual_mov_b32 v7, v5 :: v_dual_mov_b32 v6, v4
	s_cselect_b32 s14, -1, 0
	s_bfe_u32 s34, s34, 0x10008
	s_delay_alu instid0(SALU_CYCLE_1)
	s_cmp_eq_u32 s34, 0
	s_cbranch_scc1 .LBB220_6
; %bb.4:
	s_mov_b64 s[34:35], src_shared_base
	s_and_b32 s34, s0, exec_lo
	s_cselect_b32 s34, s35, s41
	s_delay_alu instid0(SALU_CYCLE_1) | instskip(SKIP_2) | instid1(VALU_DEP_2)
	v_dual_mov_b32 v3, s34 :: v_dual_add_nc_u32 v0, 0x2800, v0
	v_dual_mov_b32 v4, s42 :: v_dual_mov_b32 v5, s43
	s_and_not1_b32 vcc_lo, exec_lo, s1
	v_cndmask_b32_e64 v2, s40, v0, s0
	flat_load_b64 v[6:7], v[2:3]
	s_cbranch_vccnz .LBB220_6
; %bb.5:
	v_dual_mov_b32 v2, s40 :: v_dual_mov_b32 v3, s41
	flat_load_b64 v[4:5], v[2:3] offset:8
.LBB220_6:
	s_load_b64 s[0:1], s[2:3], 0x0
	v_lshrrev_b32_e32 v14, 3, v1
	v_dual_mov_b32 v0, 0 :: v_dual_and_b32 v33, 7, v1
	s_mov_b32 s2, 0
	s_delay_alu instid0(VALU_DEP_2) | instskip(NEXT) | instid1(VALU_DEP_2)
	v_lshlrev_b32_e32 v1, 6, v14
	v_lshlrev_b32_e32 v2, 2, v33
	v_or_b32_e32 v28, -8, v33
	s_delay_alu instid0(VALU_DEP_2) | instskip(SKIP_2) | instid1(VALU_DEP_4)
	v_or3_b32 v29, v1, v2, 0x2000
	v_mov_b32_e32 v1, v0
	v_dual_mov_b32 v2, v0 :: v_dual_lshlrev_b32 v3, 4, v33
	v_mov_b32_e32 v16, v28
	s_delay_alu instid0(VALU_DEP_4) | instskip(NEXT) | instid1(VALU_DEP_3)
	v_mov_b32_e32 v8, v29
	v_lshl_or_b32 v30, v14, 8, v3
	v_mov_b32_e32 v3, v0
	s_waitcnt lgkmcnt(0)
	v_mov_b32_e32 v15, s1
	s_delay_alu instid0(VALU_DEP_3)
	v_mov_b32_e32 v9, v30
.LBB220_7:                              ; =>This Inner Loop Header: Depth=1
	v_add_co_u32 v16, s3, v16, 8
	s_delay_alu instid0(VALU_DEP_1)
	s_xor_b32 s3, s3, -1
	ds_store_b32 v8, v15
	ds_store_b128 v9, v[0:3]
	v_add_nc_u32_e32 v9, 0x80, v9
	v_add_nc_u32_e32 v8, 32, v8
	s_and_b32 s3, exec_lo, s3
	s_delay_alu instid0(SALU_CYCLE_1) | instskip(NEXT) | instid1(SALU_CYCLE_1)
	s_or_b32 s2, s3, s2
	s_and_not1_b32 exec_lo, exec_lo, s2
	s_cbranch_execnz .LBB220_7
; %bb.8:
	s_or_b32 exec_lo, exec_lo, s2
	s_lshl_b32 s2, s15, 5
	s_waitcnt vmcnt(0) lgkmcnt(0)
	buffer_gl0_inv
	v_and_or_b32 v0, 0x1fffffe0, s2, v14
	s_delay_alu instid0(VALU_DEP_1)
	v_cmp_gt_i32_e32 vcc_lo, s0, v0
	s_and_saveexec_b32 s0, vcc_lo
	s_cbranch_execz .LBB220_67
; %bb.9:
	s_cmp_eq_u64 s[38:39], 0
	s_cbranch_scc1 .LBB220_11
; %bb.10:
	s_load_b32 s0, s[36:37], 0x0
	s_waitcnt lgkmcnt(0)
	v_add_nc_u32_e32 v0, s0, v0
	s_delay_alu instid0(VALU_DEP_1) | instskip(NEXT) | instid1(VALU_DEP_1)
	v_ashrrev_i32_e32 v1, 31, v0
	v_lshlrev_b64 v[0:1], 2, v[0:1]
	s_delay_alu instid0(VALU_DEP_1) | instskip(NEXT) | instid1(VALU_DEP_2)
	v_add_co_u32 v0, vcc_lo, s38, v0
	v_add_co_ci_u32_e32 v1, vcc_lo, s39, v1, vcc_lo
	global_load_b32 v0, v[0:1], off
.LBB220_11:
	s_waitcnt vmcnt(0)
	v_ashrrev_i32_e32 v1, 31, v0
	v_lshl_or_b32 v31, v14, 6, 0x2000
	v_lshlrev_b32_e32 v32, 8, v14
	s_and_not1_b32 vcc_lo, exec_lo, s33
	s_delay_alu instid0(VALU_DEP_3)
	v_lshlrev_b64 v[8:9], 3, v[0:1]
	s_cbranch_vccnz .LBB220_39
; %bb.12:
	s_delay_alu instid0(VALU_DEP_1) | instskip(NEXT) | instid1(VALU_DEP_2)
	v_add_co_u32 v0, vcc_lo, s16, v8
	v_add_co_ci_u32_e32 v1, vcc_lo, s17, v9, vcc_lo
	v_sub_co_u32 v16, s0, v33, s24
	s_delay_alu instid0(VALU_DEP_1)
	v_sub_co_ci_u32_e64 v17, null, 0, 0, s0
	global_load_b128 v[0:3], v[0:1], off
	s_mov_b32 s2, 0
	s_mov_b32 s0, exec_lo
	s_waitcnt vmcnt(0)
	v_sub_co_u32 v14, vcc_lo, v2, s24
	v_subrev_co_ci_u32_e32 v15, vcc_lo, 0, v3, vcc_lo
	v_add_co_u32 v16, vcc_lo, v0, v16
	v_add_co_ci_u32_e32 v17, vcc_lo, v1, v17, vcc_lo
	s_delay_alu instid0(VALU_DEP_1)
	v_cmpx_lt_i64_e64 v[16:17], v[14:15]
	s_cbranch_execz .LBB220_38
; %bb.13:
	s_mov_b32 s3, s25
	s_branch .LBB220_15
.LBB220_14:                             ;   in Loop: Header=BB220_15 Depth=1
	s_or_b32 exec_lo, exec_lo, s15
	v_add_co_u32 v16, vcc_lo, v16, 8
	v_add_co_ci_u32_e32 v17, vcc_lo, 0, v17, vcc_lo
	s_delay_alu instid0(VALU_DEP_1) | instskip(SKIP_1) | instid1(SALU_CYCLE_1)
	v_cmp_ge_i64_e32 vcc_lo, v[16:17], v[14:15]
	s_or_b32 s2, vcc_lo, s2
	s_and_not1_b32 exec_lo, exec_lo, s2
	s_cbranch_execz .LBB220_38
.LBB220_15:                             ; =>This Loop Header: Depth=1
                                        ;     Child Loop BB220_18 Depth 2
                                        ;       Child Loop BB220_20 Depth 3
                                        ;         Child Loop BB220_26 Depth 4
                                        ;         Child Loop BB220_28 Depth 4
                                        ;         Child Loop BB220_34 Depth 4
                                        ;         Child Loop BB220_36 Depth 4
	v_lshlrev_b64 v[0:1], 2, v[16:17]
	s_mov_b32 s15, exec_lo
	s_delay_alu instid0(VALU_DEP_1) | instskip(NEXT) | instid1(VALU_DEP_2)
	v_add_co_u32 v0, vcc_lo, s18, v0
	v_add_co_ci_u32_e32 v1, vcc_lo, s19, v1, vcc_lo
	global_load_b32 v0, v[0:1], off
	s_waitcnt vmcnt(0)
	v_subrev_nc_u32_e32 v0, s24, v0
	s_delay_alu instid0(VALU_DEP_1) | instskip(NEXT) | instid1(VALU_DEP_1)
	v_ashrrev_i32_e32 v1, 31, v0
	v_lshlrev_b64 v[0:1], 3, v[0:1]
	s_delay_alu instid0(VALU_DEP_1) | instskip(NEXT) | instid1(VALU_DEP_2)
	v_add_co_u32 v0, vcc_lo, s22, v0
	v_add_co_ci_u32_e32 v1, vcc_lo, s23, v1, vcc_lo
	global_load_b128 v[0:3], v[0:1], off
	s_waitcnt vmcnt(0)
	v_cmpx_lt_i64_e64 v[0:1], v[2:3]
	s_cbranch_execz .LBB220_14
; %bb.16:                               ;   in Loop: Header=BB220_15 Depth=1
	v_lshlrev_b64 v[18:19], 4, v[16:17]
	s_mov_b32 s16, 0
	s_delay_alu instid0(VALU_DEP_1) | instskip(NEXT) | instid1(VALU_DEP_2)
	v_add_co_u32 v18, vcc_lo, s20, v18
	v_add_co_ci_u32_e32 v19, vcc_lo, s21, v19, vcc_lo
	v_sub_co_u32 v2, vcc_lo, v2, s3
	v_subrev_co_ci_u32_e32 v3, vcc_lo, 0, v3, vcc_lo
	global_load_b128 v[20:23], v[18:19], off
	v_sub_co_u32 v0, vcc_lo, v0, s3
	v_subrev_co_ci_u32_e32 v1, vcc_lo, 0, v1, vcc_lo
	s_waitcnt vmcnt(0)
	v_mul_f64 v[18:19], v[22:23], -v[12:13]
	v_mul_f64 v[22:23], v[10:11], v[22:23]
	s_delay_alu instid0(VALU_DEP_2) | instskip(NEXT) | instid1(VALU_DEP_2)
	v_fma_f64 v[18:19], v[10:11], v[20:21], v[18:19]
	v_fma_f64 v[20:21], v[12:13], v[20:21], v[22:23]
	s_branch .LBB220_18
.LBB220_17:                             ;   in Loop: Header=BB220_18 Depth=2
	s_or_b32 exec_lo, exec_lo, s17
	v_add_co_u32 v0, vcc_lo, v0, 1
	v_add_co_ci_u32_e32 v1, vcc_lo, 0, v1, vcc_lo
	s_delay_alu instid0(VALU_DEP_1) | instskip(SKIP_1) | instid1(SALU_CYCLE_1)
	v_cmp_ge_i64_e32 vcc_lo, v[0:1], v[2:3]
	s_or_b32 s16, vcc_lo, s16
	s_and_not1_b32 exec_lo, exec_lo, s16
	s_cbranch_execz .LBB220_14
.LBB220_18:                             ;   Parent Loop BB220_15 Depth=1
                                        ; =>  This Loop Header: Depth=2
                                        ;       Child Loop BB220_20 Depth 3
                                        ;         Child Loop BB220_26 Depth 4
                                        ;         Child Loop BB220_28 Depth 4
	;; [unrolled: 1-line block ×4, first 2 shown]
	v_lshlrev_b64 v[22:23], 4, v[0:1]
	s_mov_b32 s17, 0
	s_delay_alu instid0(VALU_DEP_1) | instskip(NEXT) | instid1(VALU_DEP_2)
	v_add_co_u32 v22, vcc_lo, s30, v22
	v_add_co_ci_u32_e32 v23, vcc_lo, s31, v23, vcc_lo
	global_load_b128 v[24:27], v[22:23], off
	v_lshlrev_b64 v[22:23], 2, v[0:1]
	s_delay_alu instid0(VALU_DEP_1) | instskip(NEXT) | instid1(VALU_DEP_2)
	v_add_co_u32 v22, vcc_lo, s28, v22
	v_add_co_ci_u32_e32 v23, vcc_lo, s29, v23, vcc_lo
	global_load_b32 v34, v[22:23], off
	s_waitcnt vmcnt(1)
	v_mul_f64 v[22:23], v[26:27], -v[20:21]
	v_mul_f64 v[26:27], v[18:19], v[26:27]
	s_waitcnt vmcnt(0)
	v_subrev_nc_u32_e32 v34, s25, v34
	s_delay_alu instid0(VALU_DEP_3) | instskip(NEXT) | instid1(VALU_DEP_3)
	v_fma_f64 v[22:23], v[18:19], v[24:25], v[22:23]
	v_fma_f64 v[24:25], v[20:21], v[24:25], v[26:27]
	s_delay_alu instid0(VALU_DEP_3) | instskip(NEXT) | instid1(VALU_DEP_1)
	v_lshl_add_u32 v26, v34, 3, v34
	v_and_b32_e32 v35, 15, v26
	s_branch .LBB220_20
.LBB220_19:                             ;   in Loop: Header=BB220_20 Depth=3
	s_or_b32 exec_lo, exec_lo, s33
	s_xor_b32 s33, s34, -1
	s_delay_alu instid0(SALU_CYCLE_1) | instskip(NEXT) | instid1(SALU_CYCLE_1)
	s_and_b32 s33, exec_lo, s33
	s_or_b32 s17, s33, s17
	s_delay_alu instid0(SALU_CYCLE_1)
	s_and_not1_b32 exec_lo, exec_lo, s17
	s_cbranch_execz .LBB220_17
.LBB220_20:                             ;   Parent Loop BB220_15 Depth=1
                                        ;     Parent Loop BB220_18 Depth=2
                                        ; =>    This Loop Header: Depth=3
                                        ;         Child Loop BB220_26 Depth 4
                                        ;         Child Loop BB220_28 Depth 4
	;; [unrolled: 1-line block ×4, first 2 shown]
	s_delay_alu instid0(VALU_DEP_1)
	v_lshl_add_u32 v26, v35, 2, v31
	s_mov_b32 s33, exec_lo
                                        ; implicit-def: $sgpr34
	ds_load_b32 v27, v26
	s_waitcnt lgkmcnt(0)
	v_cmpx_ne_u32_e64 v27, v34
	s_xor_b32 s33, exec_lo, s33
	s_cbranch_execz .LBB220_32
; %bb.21:                               ;   in Loop: Header=BB220_20 Depth=3
	s_mov_b32 s35, exec_lo
                                        ; implicit-def: $sgpr34
	v_cmpx_ne_u32_e64 s1, v27
	s_xor_b32 s35, exec_lo, s35
; %bb.22:                               ;   in Loop: Header=BB220_20 Depth=3
	v_add_nc_u32_e32 v26, 1, v35
	s_mov_b32 s34, -1
	s_delay_alu instid0(VALU_DEP_1)
	v_and_b32_e32 v35, 15, v26
                                        ; implicit-def: $vgpr26
; %bb.23:                               ;   in Loop: Header=BB220_20 Depth=3
	s_and_not1_saveexec_b32 s35, s35
	s_cbranch_execz .LBB220_31
; %bb.24:                               ;   in Loop: Header=BB220_20 Depth=3
	v_mov_b32_e32 v27, s1
	s_mov_b32 s37, -1
	s_mov_b32 s36, exec_lo
	ds_cmpstore_rtn_b32 v26, v26, v34, v27
	s_waitcnt lgkmcnt(0)
	v_cmpx_eq_u32_e64 s1, v26
	s_cbranch_execz .LBB220_30
; %bb.25:                               ;   in Loop: Header=BB220_20 Depth=3
	v_lshl_add_u32 v36, v35, 4, v32
	s_mov_b32 s37, 0
	ds_load_b64 v[26:27], v36
.LBB220_26:                             ;   Parent Loop BB220_15 Depth=1
                                        ;     Parent Loop BB220_18 Depth=2
                                        ;       Parent Loop BB220_20 Depth=3
                                        ; =>      This Inner Loop Header: Depth=4
	s_waitcnt lgkmcnt(0)
	v_add_f64 v[37:38], v[26:27], v[22:23]
	ds_cmpstore_rtn_b64 v[37:38], v36, v[37:38], v[26:27]
	s_waitcnt lgkmcnt(0)
	v_cmp_eq_u64_e32 vcc_lo, v[37:38], v[26:27]
	v_dual_mov_b32 v26, v37 :: v_dual_mov_b32 v27, v38
	s_or_b32 s37, vcc_lo, s37
	s_delay_alu instid0(SALU_CYCLE_1)
	s_and_not1_b32 exec_lo, exec_lo, s37
	s_cbranch_execnz .LBB220_26
; %bb.27:                               ;   in Loop: Header=BB220_20 Depth=3
	s_or_b32 exec_lo, exec_lo, s37
	ds_load_b64 v[26:27], v36 offset:8
	s_mov_b32 s37, 0
.LBB220_28:                             ;   Parent Loop BB220_15 Depth=1
                                        ;     Parent Loop BB220_18 Depth=2
                                        ;       Parent Loop BB220_20 Depth=3
                                        ; =>      This Inner Loop Header: Depth=4
	s_waitcnt lgkmcnt(0)
	v_add_f64 v[37:38], v[26:27], v[24:25]
	ds_cmpstore_rtn_b64 v[37:38], v36, v[37:38], v[26:27] offset:8
	s_waitcnt lgkmcnt(0)
	v_cmp_eq_u64_e32 vcc_lo, v[37:38], v[26:27]
	v_dual_mov_b32 v26, v37 :: v_dual_mov_b32 v27, v38
	s_or_b32 s37, vcc_lo, s37
	s_delay_alu instid0(SALU_CYCLE_1)
	s_and_not1_b32 exec_lo, exec_lo, s37
	s_cbranch_execnz .LBB220_28
; %bb.29:                               ;   in Loop: Header=BB220_20 Depth=3
	s_or_b32 exec_lo, exec_lo, s37
	s_delay_alu instid0(SALU_CYCLE_1)
	s_xor_b32 s37, exec_lo, -1
.LBB220_30:                             ;   in Loop: Header=BB220_20 Depth=3
	s_or_b32 exec_lo, exec_lo, s36
	s_delay_alu instid0(SALU_CYCLE_1) | instskip(SKIP_1) | instid1(SALU_CYCLE_1)
	s_and_not1_b32 s34, s34, exec_lo
	s_and_b32 s36, s37, exec_lo
	s_or_b32 s34, s34, s36
.LBB220_31:                             ;   in Loop: Header=BB220_20 Depth=3
	s_or_b32 exec_lo, exec_lo, s35
	s_delay_alu instid0(SALU_CYCLE_1)
	s_and_b32 s34, s34, exec_lo
.LBB220_32:                             ;   in Loop: Header=BB220_20 Depth=3
	s_and_not1_saveexec_b32 s33, s33
	s_cbranch_execz .LBB220_19
; %bb.33:                               ;   in Loop: Header=BB220_20 Depth=3
	v_lshl_add_u32 v36, v35, 4, v32
	s_mov_b32 s35, 0
	ds_load_b64 v[26:27], v36
.LBB220_34:                             ;   Parent Loop BB220_15 Depth=1
                                        ;     Parent Loop BB220_18 Depth=2
                                        ;       Parent Loop BB220_20 Depth=3
                                        ; =>      This Inner Loop Header: Depth=4
	s_waitcnt lgkmcnt(0)
	v_add_f64 v[37:38], v[26:27], v[22:23]
	ds_cmpstore_rtn_b64 v[37:38], v36, v[37:38], v[26:27]
	s_waitcnt lgkmcnt(0)
	v_cmp_eq_u64_e32 vcc_lo, v[37:38], v[26:27]
	v_dual_mov_b32 v26, v37 :: v_dual_mov_b32 v27, v38
	s_or_b32 s35, vcc_lo, s35
	s_delay_alu instid0(SALU_CYCLE_1)
	s_and_not1_b32 exec_lo, exec_lo, s35
	s_cbranch_execnz .LBB220_34
; %bb.35:                               ;   in Loop: Header=BB220_20 Depth=3
	s_or_b32 exec_lo, exec_lo, s35
	ds_load_b64 v[26:27], v36 offset:8
	s_mov_b32 s35, 0
.LBB220_36:                             ;   Parent Loop BB220_15 Depth=1
                                        ;     Parent Loop BB220_18 Depth=2
                                        ;       Parent Loop BB220_20 Depth=3
                                        ; =>      This Inner Loop Header: Depth=4
	s_waitcnt lgkmcnt(0)
	v_add_f64 v[37:38], v[26:27], v[24:25]
	ds_cmpstore_rtn_b64 v[37:38], v36, v[37:38], v[26:27] offset:8
	s_waitcnt lgkmcnt(0)
	v_cmp_eq_u64_e32 vcc_lo, v[37:38], v[26:27]
	v_dual_mov_b32 v26, v37 :: v_dual_mov_b32 v27, v38
	s_or_b32 s35, vcc_lo, s35
	s_delay_alu instid0(SALU_CYCLE_1)
	s_and_not1_b32 exec_lo, exec_lo, s35
	s_cbranch_execnz .LBB220_36
; %bb.37:                               ;   in Loop: Header=BB220_20 Depth=3
	s_or_b32 exec_lo, exec_lo, s35
	s_delay_alu instid0(SALU_CYCLE_1)
	s_and_not1_b32 s34, s34, exec_lo
	s_branch .LBB220_19
.LBB220_38:
	s_or_b32 exec_lo, exec_lo, s0
.LBB220_39:
	s_delay_alu instid0(SALU_CYCLE_1)
	s_and_not1_b32 vcc_lo, exec_lo, s14
	s_cbranch_vccnz .LBB220_42
; %bb.40:
	s_delay_alu instid0(VALU_DEP_1) | instskip(NEXT) | instid1(VALU_DEP_2)
	v_add_co_u32 v0, vcc_lo, s4, v8
	v_add_co_ci_u32_e32 v1, vcc_lo, s5, v9, vcc_lo
	v_sub_co_u32 v2, s0, v33, s27
	s_delay_alu instid0(VALU_DEP_1)
	v_sub_co_ci_u32_e64 v3, null, 0, 0, s0
	global_load_b128 v[10:13], v[0:1], off
	s_mov_b32 s2, 0
	s_mov_b32 s0, exec_lo
	s_waitcnt vmcnt(0)
	v_sub_co_u32 v0, vcc_lo, v12, s27
	v_subrev_co_ci_u32_e32 v1, vcc_lo, 0, v13, vcc_lo
	v_add_co_u32 v2, vcc_lo, v10, v2
	v_add_co_ci_u32_e32 v3, vcc_lo, v11, v3, vcc_lo
	s_delay_alu instid0(VALU_DEP_1)
	v_cmpx_lt_i64_e64 v[2:3], v[0:1]
	s_cbranch_execnz .LBB220_47
.LBB220_41:
	s_or_b32 exec_lo, exec_lo, s0
.LBB220_42:
	s_delay_alu instid0(VALU_DEP_1) | instskip(NEXT) | instid1(VALU_DEP_2)
	v_add_co_u32 v0, vcc_lo, s10, v8
	v_add_co_ci_u32_e32 v1, vcc_lo, s11, v9, vcc_lo
	buffer_gl0_inv
	s_mov_b32 s0, 0
	global_load_b64 v[0:1], v[0:1], off
	s_waitcnt vmcnt(0)
	v_sub_co_u32 v0, vcc_lo, v0, s26
	v_subrev_co_ci_u32_e32 v1, vcc_lo, 0, v1, vcc_lo
	s_delay_alu instid0(VALU_DEP_1) | instskip(NEXT) | instid1(VALU_DEP_1)
	v_lshlrev_b64 v[0:1], 4, v[0:1]
	v_add_co_u32 v0, vcc_lo, s12, v0
	s_delay_alu instid0(VALU_DEP_2)
	v_add_co_ci_u32_e32 v1, vcc_lo, s13, v1, vcc_lo
	s_branch .LBB220_44
.LBB220_43:                             ;   in Loop: Header=BB220_44 Depth=1
	s_or_b32 exec_lo, exec_lo, s2
	v_add_co_u32 v28, s2, v28, 8
	s_delay_alu instid0(VALU_DEP_1) | instskip(SKIP_3) | instid1(SALU_CYCLE_1)
	s_xor_b32 s2, s2, -1
	v_add_nc_u32_e32 v30, 0x80, v30
	v_add_nc_u32_e32 v29, 32, v29
	s_and_b32 s2, exec_lo, s2
	s_or_b32 s0, s2, s0
	s_delay_alu instid0(SALU_CYCLE_1)
	s_and_not1_b32 exec_lo, exec_lo, s0
	s_cbranch_execz .LBB220_67
.LBB220_44:                             ; =>This Inner Loop Header: Depth=1
	ds_load_b32 v2, v29
	s_mov_b32 s2, exec_lo
	s_waitcnt lgkmcnt(0)
	v_cmpx_gt_i32_e64 s1, v2
	s_cbranch_execz .LBB220_43
; %bb.45:                               ;   in Loop: Header=BB220_44 Depth=1
	ds_load_b128 v[3:6], v31
	ds_load_b128 v[7:10], v31 offset:16
	ds_load_b128 v[11:14], v31 offset:32
	;; [unrolled: 1-line block ×3, first 2 shown]
	s_waitcnt lgkmcnt(3)
	v_cmp_gt_i32_e32 vcc_lo, v2, v3
	v_cndmask_b32_e64 v3, 0, 1, vcc_lo
	v_cmp_gt_i32_e32 vcc_lo, v2, v4
	s_delay_alu instid0(VALU_DEP_2) | instskip(SKIP_2) | instid1(VALU_DEP_2)
	v_lshlrev_b32_e32 v3, 4, v3
	v_cndmask_b32_e64 v4, 0, 1, vcc_lo
	v_cmp_gt_i32_e32 vcc_lo, v2, v5
	v_lshlrev_b32_e32 v4, 4, v4
	v_cndmask_b32_e64 v5, 0, 1, vcc_lo
	v_cmp_gt_i32_e32 vcc_lo, v2, v6
	s_delay_alu instid0(VALU_DEP_2) | instskip(SKIP_3) | instid1(VALU_DEP_2)
	v_lshlrev_b32_e32 v5, 4, v5
	v_cndmask_b32_e64 v6, 0, 1, vcc_lo
	s_waitcnt lgkmcnt(2)
	v_cmp_gt_i32_e32 vcc_lo, v2, v7
	v_lshlrev_b32_e32 v6, 4, v6
	v_cndmask_b32_e64 v7, 0, 1, vcc_lo
	v_cmp_gt_i32_e32 vcc_lo, v2, v8
	v_cndmask_b32_e64 v8, 0, 1, vcc_lo
	v_cmp_gt_i32_e32 vcc_lo, v2, v9
	;; [unrolled: 2-line block ×3, first 2 shown]
	v_cndmask_b32_e64 v10, 0, 1, vcc_lo
	s_waitcnt lgkmcnt(1)
	v_cmp_gt_i32_e32 vcc_lo, v2, v11
	v_cndmask_b32_e64 v11, 0, 1, vcc_lo
	v_cmp_gt_i32_e32 vcc_lo, v2, v12
	v_cndmask_b32_e64 v12, 0, 1, vcc_lo
	v_add_co_u32 v3, vcc_lo, v0, v3
	v_add_co_ci_u32_e32 v19, vcc_lo, 0, v1, vcc_lo
	s_delay_alu instid0(VALU_DEP_2) | instskip(NEXT) | instid1(VALU_DEP_2)
	v_add_co_u32 v3, vcc_lo, v3, v4
	v_add_co_ci_u32_e32 v4, vcc_lo, 0, v19, vcc_lo
	s_delay_alu instid0(VALU_DEP_2) | instskip(NEXT) | instid1(VALU_DEP_2)
	v_add_co_u32 v3, vcc_lo, v3, v5
	v_add_co_ci_u32_e32 v4, vcc_lo, 0, v4, vcc_lo
	v_lshlrev_b32_e32 v5, 4, v7
	s_delay_alu instid0(VALU_DEP_3) | instskip(NEXT) | instid1(VALU_DEP_3)
	v_add_co_u32 v3, vcc_lo, v3, v6
	v_add_co_ci_u32_e32 v4, vcc_lo, 0, v4, vcc_lo
	v_lshlrev_b32_e32 v6, 4, v8
	s_delay_alu instid0(VALU_DEP_3) | instskip(NEXT) | instid1(VALU_DEP_3)
	;; [unrolled: 4-line block ×5, first 2 shown]
	v_add_co_u32 v3, vcc_lo, v3, v6
	v_add_co_ci_u32_e32 v4, vcc_lo, 0, v4, vcc_lo
	v_cmp_gt_i32_e32 vcc_lo, v2, v13
	v_cndmask_b32_e64 v6, 0, 1, vcc_lo
	s_delay_alu instid0(VALU_DEP_4) | instskip(NEXT) | instid1(VALU_DEP_4)
	v_add_co_u32 v3, vcc_lo, v3, v5
	v_add_co_ci_u32_e32 v4, vcc_lo, 0, v4, vcc_lo
	v_lshlrev_b32_e32 v5, 4, v12
	v_cmp_gt_i32_e32 vcc_lo, v2, v14
	v_lshlrev_b32_e32 v6, 4, v6
	v_cndmask_b32_e64 v7, 0, 1, vcc_lo
	s_delay_alu instid0(VALU_DEP_4) | instskip(SKIP_1) | instid1(VALU_DEP_3)
	v_add_co_u32 v3, vcc_lo, v3, v5
	v_add_co_ci_u32_e32 v4, vcc_lo, 0, v4, vcc_lo
	v_lshlrev_b32_e32 v5, 4, v7
	s_delay_alu instid0(VALU_DEP_3) | instskip(NEXT) | instid1(VALU_DEP_3)
	v_add_co_u32 v3, vcc_lo, v3, v6
	v_add_co_ci_u32_e32 v4, vcc_lo, 0, v4, vcc_lo
	s_waitcnt lgkmcnt(0)
	v_cmp_gt_i32_e32 vcc_lo, v2, v15
	v_cndmask_b32_e64 v6, 0, 1, vcc_lo
	v_add_co_u32 v3, vcc_lo, v3, v5
	v_add_co_ci_u32_e32 v4, vcc_lo, 0, v4, vcc_lo
	v_cmp_gt_i32_e32 vcc_lo, v2, v16
	s_delay_alu instid0(VALU_DEP_4) | instskip(SKIP_2) | instid1(VALU_DEP_2)
	v_lshlrev_b32_e32 v5, 4, v6
	v_cndmask_b32_e64 v6, 0, 1, vcc_lo
	v_cmp_gt_i32_e32 vcc_lo, v2, v17
	v_lshlrev_b32_e32 v10, 4, v6
	v_cndmask_b32_e64 v7, 0, 1, vcc_lo
	v_add_co_u32 v8, vcc_lo, v3, v5
	v_add_co_ci_u32_e32 v9, vcc_lo, 0, v4, vcc_lo
	v_cmp_gt_i32_e32 vcc_lo, v2, v18
	ds_load_2addr_b64 v[3:6], v30 offset1:1
	v_lshlrev_b32_e32 v7, 4, v7
	v_cndmask_b32_e64 v2, 0, 1, vcc_lo
	v_add_co_u32 v8, vcc_lo, v8, v10
	v_add_co_ci_u32_e32 v9, vcc_lo, 0, v9, vcc_lo
	s_delay_alu instid0(VALU_DEP_3) | instskip(NEXT) | instid1(VALU_DEP_3)
	v_lshlrev_b32_e32 v2, 4, v2
	v_add_co_u32 v7, vcc_lo, v8, v7
	s_delay_alu instid0(VALU_DEP_3) | instskip(NEXT) | instid1(VALU_DEP_2)
	v_add_co_ci_u32_e32 v8, vcc_lo, 0, v9, vcc_lo
	v_add_co_u32 v7, vcc_lo, v7, v2
	s_delay_alu instid0(VALU_DEP_2)
	v_add_co_ci_u32_e32 v8, vcc_lo, 0, v8, vcc_lo
	s_waitcnt lgkmcnt(0)
	global_store_b128 v[7:8], v[3:6], off
	s_branch .LBB220_43
.LBB220_46:                             ;   in Loop: Header=BB220_47 Depth=1
	s_or_b32 exec_lo, exec_lo, s3
	v_add_co_u32 v2, vcc_lo, v2, 8
	v_add_co_ci_u32_e32 v3, vcc_lo, 0, v3, vcc_lo
	s_delay_alu instid0(VALU_DEP_1) | instskip(SKIP_1) | instid1(SALU_CYCLE_1)
	v_cmp_ge_i64_e32 vcc_lo, v[2:3], v[0:1]
	s_or_b32 s2, vcc_lo, s2
	s_and_not1_b32 exec_lo, exec_lo, s2
	s_cbranch_execz .LBB220_41
.LBB220_47:                             ; =>This Loop Header: Depth=1
                                        ;     Child Loop BB220_49 Depth 2
                                        ;       Child Loop BB220_55 Depth 3
                                        ;       Child Loop BB220_57 Depth 3
	;; [unrolled: 1-line block ×4, first 2 shown]
	v_lshlrev_b64 v[10:11], 4, v[2:3]
	s_mov_b32 s3, 0
	s_delay_alu instid0(VALU_DEP_1) | instskip(NEXT) | instid1(VALU_DEP_2)
	v_add_co_u32 v10, vcc_lo, s8, v10
	v_add_co_ci_u32_e32 v11, vcc_lo, s9, v11, vcc_lo
	global_load_b128 v[12:15], v[10:11], off
	v_lshlrev_b64 v[10:11], 2, v[2:3]
	s_delay_alu instid0(VALU_DEP_1) | instskip(NEXT) | instid1(VALU_DEP_2)
	v_add_co_u32 v10, vcc_lo, s6, v10
	v_add_co_ci_u32_e32 v11, vcc_lo, s7, v11, vcc_lo
	global_load_b32 v16, v[10:11], off
	s_waitcnt vmcnt(1)
	v_mul_f64 v[10:11], v[14:15], -v[4:5]
	v_mul_f64 v[14:15], v[6:7], v[14:15]
	s_waitcnt vmcnt(0)
	v_subrev_nc_u32_e32 v16, s27, v16
	s_delay_alu instid0(VALU_DEP_3) | instskip(NEXT) | instid1(VALU_DEP_3)
	v_fma_f64 v[10:11], v[6:7], v[12:13], v[10:11]
	v_fma_f64 v[12:13], v[4:5], v[12:13], v[14:15]
	s_delay_alu instid0(VALU_DEP_3) | instskip(NEXT) | instid1(VALU_DEP_1)
	v_lshl_add_u32 v14, v16, 3, v16
	v_and_b32_e32 v17, 15, v14
	s_branch .LBB220_49
.LBB220_48:                             ;   in Loop: Header=BB220_49 Depth=2
	s_or_b32 exec_lo, exec_lo, s4
	s_xor_b32 s4, s5, -1
	s_delay_alu instid0(SALU_CYCLE_1) | instskip(NEXT) | instid1(SALU_CYCLE_1)
	s_and_b32 s4, exec_lo, s4
	s_or_b32 s3, s4, s3
	s_delay_alu instid0(SALU_CYCLE_1)
	s_and_not1_b32 exec_lo, exec_lo, s3
	s_cbranch_execz .LBB220_46
.LBB220_49:                             ;   Parent Loop BB220_47 Depth=1
                                        ; =>  This Loop Header: Depth=2
                                        ;       Child Loop BB220_55 Depth 3
                                        ;       Child Loop BB220_57 Depth 3
	;; [unrolled: 1-line block ×4, first 2 shown]
	s_delay_alu instid0(VALU_DEP_1)
	v_lshl_add_u32 v14, v17, 2, v31
	s_mov_b32 s4, exec_lo
                                        ; implicit-def: $sgpr5
	ds_load_b32 v15, v14
	s_waitcnt lgkmcnt(0)
	v_cmpx_ne_u32_e64 v15, v16
	s_xor_b32 s4, exec_lo, s4
	s_cbranch_execz .LBB220_61
; %bb.50:                               ;   in Loop: Header=BB220_49 Depth=2
	s_mov_b32 s14, exec_lo
                                        ; implicit-def: $sgpr5
	v_cmpx_ne_u32_e64 s1, v15
	s_xor_b32 s14, exec_lo, s14
; %bb.51:                               ;   in Loop: Header=BB220_49 Depth=2
	v_add_nc_u32_e32 v14, 1, v17
	s_mov_b32 s5, -1
	s_delay_alu instid0(VALU_DEP_1)
	v_and_b32_e32 v17, 15, v14
                                        ; implicit-def: $vgpr14
; %bb.52:                               ;   in Loop: Header=BB220_49 Depth=2
	s_and_not1_saveexec_b32 s14, s14
	s_cbranch_execz .LBB220_60
; %bb.53:                               ;   in Loop: Header=BB220_49 Depth=2
	v_mov_b32_e32 v15, s1
	s_mov_b32 s16, -1
	s_mov_b32 s15, exec_lo
	ds_cmpstore_rtn_b32 v14, v14, v16, v15
	s_waitcnt lgkmcnt(0)
	v_cmpx_eq_u32_e64 s1, v14
	s_cbranch_execz .LBB220_59
; %bb.54:                               ;   in Loop: Header=BB220_49 Depth=2
	v_lshl_add_u32 v18, v17, 4, v32
	s_mov_b32 s16, 0
	ds_load_b64 v[14:15], v18
.LBB220_55:                             ;   Parent Loop BB220_47 Depth=1
                                        ;     Parent Loop BB220_49 Depth=2
                                        ; =>    This Inner Loop Header: Depth=3
	s_waitcnt lgkmcnt(0)
	v_add_f64 v[19:20], v[14:15], v[10:11]
	ds_cmpstore_rtn_b64 v[19:20], v18, v[19:20], v[14:15]
	s_waitcnt lgkmcnt(0)
	v_cmp_eq_u64_e32 vcc_lo, v[19:20], v[14:15]
	v_dual_mov_b32 v14, v19 :: v_dual_mov_b32 v15, v20
	s_or_b32 s16, vcc_lo, s16
	s_delay_alu instid0(SALU_CYCLE_1)
	s_and_not1_b32 exec_lo, exec_lo, s16
	s_cbranch_execnz .LBB220_55
; %bb.56:                               ;   in Loop: Header=BB220_49 Depth=2
	s_or_b32 exec_lo, exec_lo, s16
	ds_load_b64 v[14:15], v18 offset:8
	s_mov_b32 s16, 0
.LBB220_57:                             ;   Parent Loop BB220_47 Depth=1
                                        ;     Parent Loop BB220_49 Depth=2
                                        ; =>    This Inner Loop Header: Depth=3
	s_waitcnt lgkmcnt(0)
	v_add_f64 v[19:20], v[14:15], v[12:13]
	ds_cmpstore_rtn_b64 v[19:20], v18, v[19:20], v[14:15] offset:8
	s_waitcnt lgkmcnt(0)
	v_cmp_eq_u64_e32 vcc_lo, v[19:20], v[14:15]
	v_dual_mov_b32 v14, v19 :: v_dual_mov_b32 v15, v20
	s_or_b32 s16, vcc_lo, s16
	s_delay_alu instid0(SALU_CYCLE_1)
	s_and_not1_b32 exec_lo, exec_lo, s16
	s_cbranch_execnz .LBB220_57
; %bb.58:                               ;   in Loop: Header=BB220_49 Depth=2
	s_or_b32 exec_lo, exec_lo, s16
	s_delay_alu instid0(SALU_CYCLE_1)
	s_xor_b32 s16, exec_lo, -1
.LBB220_59:                             ;   in Loop: Header=BB220_49 Depth=2
	s_or_b32 exec_lo, exec_lo, s15
	s_delay_alu instid0(SALU_CYCLE_1) | instskip(SKIP_1) | instid1(SALU_CYCLE_1)
	s_and_not1_b32 s5, s5, exec_lo
	s_and_b32 s15, s16, exec_lo
	s_or_b32 s5, s5, s15
.LBB220_60:                             ;   in Loop: Header=BB220_49 Depth=2
	s_or_b32 exec_lo, exec_lo, s14
	s_delay_alu instid0(SALU_CYCLE_1)
	s_and_b32 s5, s5, exec_lo
.LBB220_61:                             ;   in Loop: Header=BB220_49 Depth=2
	s_and_not1_saveexec_b32 s4, s4
	s_cbranch_execz .LBB220_48
; %bb.62:                               ;   in Loop: Header=BB220_49 Depth=2
	v_lshl_add_u32 v18, v17, 4, v32
	s_mov_b32 s14, 0
	ds_load_b64 v[14:15], v18
.LBB220_63:                             ;   Parent Loop BB220_47 Depth=1
                                        ;     Parent Loop BB220_49 Depth=2
                                        ; =>    This Inner Loop Header: Depth=3
	s_waitcnt lgkmcnt(0)
	v_add_f64 v[19:20], v[14:15], v[10:11]
	ds_cmpstore_rtn_b64 v[19:20], v18, v[19:20], v[14:15]
	s_waitcnt lgkmcnt(0)
	v_cmp_eq_u64_e32 vcc_lo, v[19:20], v[14:15]
	v_dual_mov_b32 v14, v19 :: v_dual_mov_b32 v15, v20
	s_or_b32 s14, vcc_lo, s14
	s_delay_alu instid0(SALU_CYCLE_1)
	s_and_not1_b32 exec_lo, exec_lo, s14
	s_cbranch_execnz .LBB220_63
; %bb.64:                               ;   in Loop: Header=BB220_49 Depth=2
	s_or_b32 exec_lo, exec_lo, s14
	ds_load_b64 v[14:15], v18 offset:8
	s_mov_b32 s14, 0
.LBB220_65:                             ;   Parent Loop BB220_47 Depth=1
                                        ;     Parent Loop BB220_49 Depth=2
                                        ; =>    This Inner Loop Header: Depth=3
	s_waitcnt lgkmcnt(0)
	v_add_f64 v[19:20], v[14:15], v[12:13]
	ds_cmpstore_rtn_b64 v[19:20], v18, v[19:20], v[14:15] offset:8
	s_waitcnt lgkmcnt(0)
	v_cmp_eq_u64_e32 vcc_lo, v[19:20], v[14:15]
	v_dual_mov_b32 v14, v19 :: v_dual_mov_b32 v15, v20
	s_or_b32 s14, vcc_lo, s14
	s_delay_alu instid0(SALU_CYCLE_1)
	s_and_not1_b32 exec_lo, exec_lo, s14
	s_cbranch_execnz .LBB220_65
; %bb.66:                               ;   in Loop: Header=BB220_49 Depth=2
	s_or_b32 exec_lo, exec_lo, s14
	s_delay_alu instid0(SALU_CYCLE_1)
	s_and_not1_b32 s5, s5, exec_lo
	s_branch .LBB220_48
.LBB220_67:
	s_nop 0
	s_sendmsg sendmsg(MSG_DEALLOC_VGPRS)
	s_endpgm
	.section	.rodata,"a",@progbits
	.p2align	6, 0x0
	.amdhsa_kernel _ZN9rocsparseL38csrgemm_numeric_fill_wf_per_row_kernelILj256ELj8ELj16ELj137Eli21rocsparse_complex_numIdEEEvT4_S3_PKS3_S5_NS_24const_host_device_scalarIT5_EEPKT3_S5_PKS7_SB_S5_SD_S8_SB_S5_SD_SB_S5_PS7_21rocsparse_index_base_SF_SF_SF_bbb
		.amdhsa_group_segment_fixed_size 14336
		.amdhsa_private_segment_fixed_size 0
		.amdhsa_kernarg_size 172
		.amdhsa_user_sgpr_count 15
		.amdhsa_user_sgpr_dispatch_ptr 1
		.amdhsa_user_sgpr_queue_ptr 0
		.amdhsa_user_sgpr_kernarg_segment_ptr 1
		.amdhsa_user_sgpr_dispatch_id 0
		.amdhsa_user_sgpr_private_segment_size 0
		.amdhsa_wavefront_size32 1
		.amdhsa_uses_dynamic_stack 0
		.amdhsa_enable_private_segment 0
		.amdhsa_system_sgpr_workgroup_id_x 1
		.amdhsa_system_sgpr_workgroup_id_y 0
		.amdhsa_system_sgpr_workgroup_id_z 0
		.amdhsa_system_sgpr_workgroup_info 0
		.amdhsa_system_vgpr_workitem_id 2
		.amdhsa_next_free_vgpr 39
		.amdhsa_next_free_sgpr 44
		.amdhsa_reserve_vcc 1
		.amdhsa_float_round_mode_32 0
		.amdhsa_float_round_mode_16_64 0
		.amdhsa_float_denorm_mode_32 3
		.amdhsa_float_denorm_mode_16_64 3
		.amdhsa_dx10_clamp 1
		.amdhsa_ieee_mode 1
		.amdhsa_fp16_overflow 0
		.amdhsa_workgroup_processor_mode 1
		.amdhsa_memory_ordered 1
		.amdhsa_forward_progress 0
		.amdhsa_shared_vgpr_count 0
		.amdhsa_exception_fp_ieee_invalid_op 0
		.amdhsa_exception_fp_denorm_src 0
		.amdhsa_exception_fp_ieee_div_zero 0
		.amdhsa_exception_fp_ieee_overflow 0
		.amdhsa_exception_fp_ieee_underflow 0
		.amdhsa_exception_fp_ieee_inexact 0
		.amdhsa_exception_int_div_zero 0
	.end_amdhsa_kernel
	.section	.text._ZN9rocsparseL38csrgemm_numeric_fill_wf_per_row_kernelILj256ELj8ELj16ELj137Eli21rocsparse_complex_numIdEEEvT4_S3_PKS3_S5_NS_24const_host_device_scalarIT5_EEPKT3_S5_PKS7_SB_S5_SD_S8_SB_S5_SD_SB_S5_PS7_21rocsparse_index_base_SF_SF_SF_bbb,"axG",@progbits,_ZN9rocsparseL38csrgemm_numeric_fill_wf_per_row_kernelILj256ELj8ELj16ELj137Eli21rocsparse_complex_numIdEEEvT4_S3_PKS3_S5_NS_24const_host_device_scalarIT5_EEPKT3_S5_PKS7_SB_S5_SD_S8_SB_S5_SD_SB_S5_PS7_21rocsparse_index_base_SF_SF_SF_bbb,comdat
.Lfunc_end220:
	.size	_ZN9rocsparseL38csrgemm_numeric_fill_wf_per_row_kernelILj256ELj8ELj16ELj137Eli21rocsparse_complex_numIdEEEvT4_S3_PKS3_S5_NS_24const_host_device_scalarIT5_EEPKT3_S5_PKS7_SB_S5_SD_S8_SB_S5_SD_SB_S5_PS7_21rocsparse_index_base_SF_SF_SF_bbb, .Lfunc_end220-_ZN9rocsparseL38csrgemm_numeric_fill_wf_per_row_kernelILj256ELj8ELj16ELj137Eli21rocsparse_complex_numIdEEEvT4_S3_PKS3_S5_NS_24const_host_device_scalarIT5_EEPKT3_S5_PKS7_SB_S5_SD_S8_SB_S5_SD_SB_S5_PS7_21rocsparse_index_base_SF_SF_SF_bbb
                                        ; -- End function
	.section	.AMDGPU.csdata,"",@progbits
; Kernel info:
; codeLenInByte = 3324
; NumSgprs: 46
; NumVgprs: 39
; ScratchSize: 0
; MemoryBound: 0
; FloatMode: 240
; IeeeMode: 1
; LDSByteSize: 14336 bytes/workgroup (compile time only)
; SGPRBlocks: 5
; VGPRBlocks: 4
; NumSGPRsForWavesPerEU: 46
; NumVGPRsForWavesPerEU: 39
; Occupancy: 16
; WaveLimiterHint : 1
; COMPUTE_PGM_RSRC2:SCRATCH_EN: 0
; COMPUTE_PGM_RSRC2:USER_SGPR: 15
; COMPUTE_PGM_RSRC2:TRAP_HANDLER: 0
; COMPUTE_PGM_RSRC2:TGID_X_EN: 1
; COMPUTE_PGM_RSRC2:TGID_Y_EN: 0
; COMPUTE_PGM_RSRC2:TGID_Z_EN: 0
; COMPUTE_PGM_RSRC2:TIDIG_COMP_CNT: 2
	.section	.text._ZN9rocsparseL38csrgemm_numeric_fill_wf_per_row_kernelILj256ELj16ELj32ELj137Eli21rocsparse_complex_numIdEEEvT4_S3_PKS3_S5_NS_24const_host_device_scalarIT5_EEPKT3_S5_PKS7_SB_S5_SD_S8_SB_S5_SD_SB_S5_PS7_21rocsparse_index_base_SF_SF_SF_bbb,"axG",@progbits,_ZN9rocsparseL38csrgemm_numeric_fill_wf_per_row_kernelILj256ELj16ELj32ELj137Eli21rocsparse_complex_numIdEEEvT4_S3_PKS3_S5_NS_24const_host_device_scalarIT5_EEPKT3_S5_PKS7_SB_S5_SD_S8_SB_S5_SD_SB_S5_PS7_21rocsparse_index_base_SF_SF_SF_bbb,comdat
	.globl	_ZN9rocsparseL38csrgemm_numeric_fill_wf_per_row_kernelILj256ELj16ELj32ELj137Eli21rocsparse_complex_numIdEEEvT4_S3_PKS3_S5_NS_24const_host_device_scalarIT5_EEPKT3_S5_PKS7_SB_S5_SD_S8_SB_S5_SD_SB_S5_PS7_21rocsparse_index_base_SF_SF_SF_bbb ; -- Begin function _ZN9rocsparseL38csrgemm_numeric_fill_wf_per_row_kernelILj256ELj16ELj32ELj137Eli21rocsparse_complex_numIdEEEvT4_S3_PKS3_S5_NS_24const_host_device_scalarIT5_EEPKT3_S5_PKS7_SB_S5_SD_S8_SB_S5_SD_SB_S5_PS7_21rocsparse_index_base_SF_SF_SF_bbb
	.p2align	8
	.type	_ZN9rocsparseL38csrgemm_numeric_fill_wf_per_row_kernelILj256ELj16ELj32ELj137Eli21rocsparse_complex_numIdEEEvT4_S3_PKS3_S5_NS_24const_host_device_scalarIT5_EEPKT3_S5_PKS7_SB_S5_SD_S8_SB_S5_SD_SB_S5_PS7_21rocsparse_index_base_SF_SF_SF_bbb,@function
_ZN9rocsparseL38csrgemm_numeric_fill_wf_per_row_kernelILj256ELj16ELj32ELj137Eli21rocsparse_complex_numIdEEEvT4_S3_PKS3_S5_NS_24const_host_device_scalarIT5_EEPKT3_S5_PKS7_SB_S5_SD_S8_SB_S5_SD_SB_S5_PS7_21rocsparse_index_base_SF_SF_SF_bbb: ; @_ZN9rocsparseL38csrgemm_numeric_fill_wf_per_row_kernelILj256ELj16ELj32ELj137Eli21rocsparse_complex_numIdEEEvT4_S3_PKS3_S5_NS_24const_host_device_scalarIT5_EEPKT3_S5_PKS7_SB_S5_SD_S8_SB_S5_SD_SB_S5_PS7_21rocsparse_index_base_SF_SF_SF_bbb
; %bb.0:
	s_load_b32 s34, s[2:3], 0xa8
	s_load_b64 s[8:9], s[0:1], 0x4
	s_clause 0x1
	s_load_b128 s[4:7], s[2:3], 0x18
	s_load_b128 s[40:43], s[2:3], 0x58
	v_dual_mov_b32 v4, 0 :: v_dual_and_b32 v1, 0x3ff, v0
	s_load_b128 s[24:27], s[2:3], 0x98
	v_bfe_u32 v3, v0, 10, 10
	v_mov_b32_e32 v5, 0
	v_bfe_u32 v0, v0, 20, 10
	s_waitcnt lgkmcnt(0)
	s_bitcmp1_b32 s34, 0
	s_cselect_b32 s33, -1, 0
	s_bitcmp1_b32 s34, 16
	v_mov_b32_e32 v6, s40
	s_cselect_b32 s0, -1, 0
	s_lshr_b32 s1, s8, 16
	s_delay_alu instid0(SALU_CYCLE_1) | instskip(NEXT) | instid1(SALU_CYCLE_1)
	s_mul_i32 s1, s1, s9
	v_mul_lo_u32 v2, s1, v1
	s_xor_b32 s1, s0, -1
	s_bitcmp0_b32 s34, 0
	v_cndmask_b32_e64 v8, 0, 1, s1
	s_delay_alu instid0(VALU_DEP_2)
	v_mad_u32_u24 v9, v3, s9, v2
	v_dual_mov_b32 v2, s4 :: v_dual_mov_b32 v3, s5
	v_mov_b32_e32 v11, v5
	v_dual_mov_b32 v13, v5 :: v_dual_mov_b32 v12, v4
	v_dual_mov_b32 v7, s41 :: v_dual_mov_b32 v10, v4
	v_cmp_ne_u32_e32 vcc_lo, 1, v8
	v_add_lshl_u32 v0, v9, v0, 3
	ds_store_2addr_stride64_b64 v0, v[6:7], v[2:3] offset0:20 offset1:24
	s_cbranch_scc1 .LBB221_3
; %bb.1:
	s_mov_b64 s[8:9], src_shared_base
	s_and_b32 s8, s0, exec_lo
	s_cselect_b32 s8, s9, s5
	s_delay_alu instid0(SALU_CYCLE_1) | instskip(SKIP_2) | instid1(VALU_DEP_2)
	v_dual_mov_b32 v3, s8 :: v_dual_add_nc_u32 v2, 0x3000, v0
	v_dual_mov_b32 v13, s7 :: v_dual_mov_b32 v12, s6
	s_and_b32 vcc_lo, exec_lo, vcc_lo
	v_cndmask_b32_e64 v2, s4, v2, s0
	flat_load_b64 v[10:11], v[2:3]
	s_cbranch_vccnz .LBB221_3
; %bb.2:
	v_dual_mov_b32 v2, s4 :: v_dual_mov_b32 v3, s5
	flat_load_b64 v[12:13], v[2:3] offset:8
.LBB221_3:
	s_clause 0x4
	s_load_b64 s[12:13], s[2:3], 0x90
	s_load_b256 s[4:11], s[2:3], 0x68
	s_load_b128 s[28:31], s[2:3], 0x48
	s_load_b128 s[36:39], s[2:3], 0x8
	s_load_b256 s[16:23], s[2:3], 0x28
	s_bitcmp1_b32 s34, 8
	v_dual_mov_b32 v7, v5 :: v_dual_mov_b32 v6, v4
	s_cselect_b32 s14, -1, 0
	s_bfe_u32 s34, s34, 0x10008
	s_delay_alu instid0(SALU_CYCLE_1)
	s_cmp_eq_u32 s34, 0
	s_cbranch_scc1 .LBB221_6
; %bb.4:
	s_mov_b64 s[34:35], src_shared_base
	s_and_b32 s34, s0, exec_lo
	s_cselect_b32 s34, s35, s41
	s_delay_alu instid0(SALU_CYCLE_1) | instskip(SKIP_2) | instid1(VALU_DEP_2)
	v_dual_mov_b32 v3, s34 :: v_dual_add_nc_u32 v0, 0x2800, v0
	v_dual_mov_b32 v4, s42 :: v_dual_mov_b32 v5, s43
	s_and_not1_b32 vcc_lo, exec_lo, s1
	v_cndmask_b32_e64 v2, s40, v0, s0
	flat_load_b64 v[6:7], v[2:3]
	s_cbranch_vccnz .LBB221_6
; %bb.5:
	v_dual_mov_b32 v2, s40 :: v_dual_mov_b32 v3, s41
	flat_load_b64 v[4:5], v[2:3] offset:8
.LBB221_6:
	s_load_b64 s[0:1], s[2:3], 0x0
	v_lshrrev_b32_e32 v14, 4, v1
	v_dual_mov_b32 v0, 0 :: v_dual_and_b32 v33, 15, v1
	s_mov_b32 s2, 0
	s_delay_alu instid0(VALU_DEP_2) | instskip(NEXT) | instid1(VALU_DEP_2)
	v_lshlrev_b32_e32 v1, 7, v14
	v_lshlrev_b32_e32 v2, 2, v33
	v_or_b32_e32 v28, -16, v33
	s_delay_alu instid0(VALU_DEP_2) | instskip(SKIP_2) | instid1(VALU_DEP_4)
	v_or3_b32 v29, v1, v2, 0x2000
	v_mov_b32_e32 v1, v0
	v_dual_mov_b32 v2, v0 :: v_dual_lshlrev_b32 v3, 4, v33
	v_mov_b32_e32 v16, v28
	s_delay_alu instid0(VALU_DEP_4) | instskip(NEXT) | instid1(VALU_DEP_3)
	v_mov_b32_e32 v8, v29
	v_lshl_or_b32 v30, v14, 9, v3
	v_mov_b32_e32 v3, v0
	s_waitcnt lgkmcnt(0)
	v_mov_b32_e32 v15, s1
	s_delay_alu instid0(VALU_DEP_3)
	v_mov_b32_e32 v9, v30
.LBB221_7:                              ; =>This Inner Loop Header: Depth=1
	v_add_co_u32 v16, s3, v16, 16
	s_delay_alu instid0(VALU_DEP_1)
	s_xor_b32 s3, s3, -1
	ds_store_b32 v8, v15
	ds_store_b128 v9, v[0:3]
	v_add_nc_u32_e32 v9, 0x100, v9
	v_add_nc_u32_e32 v8, 64, v8
	s_and_b32 s3, exec_lo, s3
	s_delay_alu instid0(SALU_CYCLE_1) | instskip(NEXT) | instid1(SALU_CYCLE_1)
	s_or_b32 s2, s3, s2
	s_and_not1_b32 exec_lo, exec_lo, s2
	s_cbranch_execnz .LBB221_7
; %bb.8:
	s_or_b32 exec_lo, exec_lo, s2
	s_lshl_b32 s2, s15, 4
	s_waitcnt vmcnt(0) lgkmcnt(0)
	buffer_gl0_inv
	v_and_or_b32 v0, 0xffffff0, s2, v14
	s_delay_alu instid0(VALU_DEP_1)
	v_cmp_gt_i32_e32 vcc_lo, s0, v0
	s_and_saveexec_b32 s0, vcc_lo
	s_cbranch_execz .LBB221_67
; %bb.9:
	s_cmp_eq_u64 s[38:39], 0
	s_cbranch_scc1 .LBB221_11
; %bb.10:
	s_load_b32 s0, s[36:37], 0x0
	s_waitcnt lgkmcnt(0)
	v_add_nc_u32_e32 v0, s0, v0
	s_delay_alu instid0(VALU_DEP_1) | instskip(NEXT) | instid1(VALU_DEP_1)
	v_ashrrev_i32_e32 v1, 31, v0
	v_lshlrev_b64 v[0:1], 2, v[0:1]
	s_delay_alu instid0(VALU_DEP_1) | instskip(NEXT) | instid1(VALU_DEP_2)
	v_add_co_u32 v0, vcc_lo, s38, v0
	v_add_co_ci_u32_e32 v1, vcc_lo, s39, v1, vcc_lo
	global_load_b32 v0, v[0:1], off
.LBB221_11:
	s_waitcnt vmcnt(0)
	v_ashrrev_i32_e32 v1, 31, v0
	v_lshl_or_b32 v31, v14, 7, 0x2000
	v_lshlrev_b32_e32 v32, 9, v14
	s_and_not1_b32 vcc_lo, exec_lo, s33
	s_delay_alu instid0(VALU_DEP_3)
	v_lshlrev_b64 v[8:9], 3, v[0:1]
	s_cbranch_vccnz .LBB221_39
; %bb.12:
	s_delay_alu instid0(VALU_DEP_1) | instskip(NEXT) | instid1(VALU_DEP_2)
	v_add_co_u32 v0, vcc_lo, s16, v8
	v_add_co_ci_u32_e32 v1, vcc_lo, s17, v9, vcc_lo
	v_sub_co_u32 v16, s0, v33, s24
	s_delay_alu instid0(VALU_DEP_1)
	v_sub_co_ci_u32_e64 v17, null, 0, 0, s0
	global_load_b128 v[0:3], v[0:1], off
	s_mov_b32 s2, 0
	s_mov_b32 s0, exec_lo
	s_waitcnt vmcnt(0)
	v_sub_co_u32 v14, vcc_lo, v2, s24
	v_subrev_co_ci_u32_e32 v15, vcc_lo, 0, v3, vcc_lo
	v_add_co_u32 v16, vcc_lo, v0, v16
	v_add_co_ci_u32_e32 v17, vcc_lo, v1, v17, vcc_lo
	s_delay_alu instid0(VALU_DEP_1)
	v_cmpx_lt_i64_e64 v[16:17], v[14:15]
	s_cbranch_execz .LBB221_38
; %bb.13:
	s_mov_b32 s3, s25
	s_branch .LBB221_15
.LBB221_14:                             ;   in Loop: Header=BB221_15 Depth=1
	s_or_b32 exec_lo, exec_lo, s15
	v_add_co_u32 v16, vcc_lo, v16, 16
	v_add_co_ci_u32_e32 v17, vcc_lo, 0, v17, vcc_lo
	s_delay_alu instid0(VALU_DEP_1) | instskip(SKIP_1) | instid1(SALU_CYCLE_1)
	v_cmp_ge_i64_e32 vcc_lo, v[16:17], v[14:15]
	s_or_b32 s2, vcc_lo, s2
	s_and_not1_b32 exec_lo, exec_lo, s2
	s_cbranch_execz .LBB221_38
.LBB221_15:                             ; =>This Loop Header: Depth=1
                                        ;     Child Loop BB221_18 Depth 2
                                        ;       Child Loop BB221_20 Depth 3
                                        ;         Child Loop BB221_26 Depth 4
                                        ;         Child Loop BB221_28 Depth 4
	;; [unrolled: 1-line block ×4, first 2 shown]
	v_lshlrev_b64 v[0:1], 2, v[16:17]
	s_mov_b32 s15, exec_lo
	s_delay_alu instid0(VALU_DEP_1) | instskip(NEXT) | instid1(VALU_DEP_2)
	v_add_co_u32 v0, vcc_lo, s18, v0
	v_add_co_ci_u32_e32 v1, vcc_lo, s19, v1, vcc_lo
	global_load_b32 v0, v[0:1], off
	s_waitcnt vmcnt(0)
	v_subrev_nc_u32_e32 v0, s24, v0
	s_delay_alu instid0(VALU_DEP_1) | instskip(NEXT) | instid1(VALU_DEP_1)
	v_ashrrev_i32_e32 v1, 31, v0
	v_lshlrev_b64 v[0:1], 3, v[0:1]
	s_delay_alu instid0(VALU_DEP_1) | instskip(NEXT) | instid1(VALU_DEP_2)
	v_add_co_u32 v0, vcc_lo, s22, v0
	v_add_co_ci_u32_e32 v1, vcc_lo, s23, v1, vcc_lo
	global_load_b128 v[0:3], v[0:1], off
	s_waitcnt vmcnt(0)
	v_cmpx_lt_i64_e64 v[0:1], v[2:3]
	s_cbranch_execz .LBB221_14
; %bb.16:                               ;   in Loop: Header=BB221_15 Depth=1
	v_lshlrev_b64 v[18:19], 4, v[16:17]
	s_mov_b32 s16, 0
	s_delay_alu instid0(VALU_DEP_1) | instskip(NEXT) | instid1(VALU_DEP_2)
	v_add_co_u32 v18, vcc_lo, s20, v18
	v_add_co_ci_u32_e32 v19, vcc_lo, s21, v19, vcc_lo
	v_sub_co_u32 v2, vcc_lo, v2, s3
	v_subrev_co_ci_u32_e32 v3, vcc_lo, 0, v3, vcc_lo
	global_load_b128 v[20:23], v[18:19], off
	v_sub_co_u32 v0, vcc_lo, v0, s3
	v_subrev_co_ci_u32_e32 v1, vcc_lo, 0, v1, vcc_lo
	s_waitcnt vmcnt(0)
	v_mul_f64 v[18:19], v[22:23], -v[12:13]
	v_mul_f64 v[22:23], v[10:11], v[22:23]
	s_delay_alu instid0(VALU_DEP_2) | instskip(NEXT) | instid1(VALU_DEP_2)
	v_fma_f64 v[18:19], v[10:11], v[20:21], v[18:19]
	v_fma_f64 v[20:21], v[12:13], v[20:21], v[22:23]
	s_branch .LBB221_18
.LBB221_17:                             ;   in Loop: Header=BB221_18 Depth=2
	s_or_b32 exec_lo, exec_lo, s17
	v_add_co_u32 v0, vcc_lo, v0, 1
	v_add_co_ci_u32_e32 v1, vcc_lo, 0, v1, vcc_lo
	s_delay_alu instid0(VALU_DEP_1) | instskip(SKIP_1) | instid1(SALU_CYCLE_1)
	v_cmp_ge_i64_e32 vcc_lo, v[0:1], v[2:3]
	s_or_b32 s16, vcc_lo, s16
	s_and_not1_b32 exec_lo, exec_lo, s16
	s_cbranch_execz .LBB221_14
.LBB221_18:                             ;   Parent Loop BB221_15 Depth=1
                                        ; =>  This Loop Header: Depth=2
                                        ;       Child Loop BB221_20 Depth 3
                                        ;         Child Loop BB221_26 Depth 4
                                        ;         Child Loop BB221_28 Depth 4
	;; [unrolled: 1-line block ×4, first 2 shown]
	v_lshlrev_b64 v[22:23], 4, v[0:1]
	s_mov_b32 s17, 0
	s_delay_alu instid0(VALU_DEP_1) | instskip(NEXT) | instid1(VALU_DEP_2)
	v_add_co_u32 v22, vcc_lo, s30, v22
	v_add_co_ci_u32_e32 v23, vcc_lo, s31, v23, vcc_lo
	global_load_b128 v[24:27], v[22:23], off
	v_lshlrev_b64 v[22:23], 2, v[0:1]
	s_delay_alu instid0(VALU_DEP_1) | instskip(NEXT) | instid1(VALU_DEP_2)
	v_add_co_u32 v22, vcc_lo, s28, v22
	v_add_co_ci_u32_e32 v23, vcc_lo, s29, v23, vcc_lo
	global_load_b32 v34, v[22:23], off
	s_waitcnt vmcnt(1)
	v_mul_f64 v[22:23], v[26:27], -v[20:21]
	v_mul_f64 v[26:27], v[18:19], v[26:27]
	s_waitcnt vmcnt(0)
	v_subrev_nc_u32_e32 v34, s25, v34
	s_delay_alu instid0(VALU_DEP_3) | instskip(NEXT) | instid1(VALU_DEP_3)
	v_fma_f64 v[22:23], v[18:19], v[24:25], v[22:23]
	v_fma_f64 v[24:25], v[20:21], v[24:25], v[26:27]
	s_delay_alu instid0(VALU_DEP_3) | instskip(NEXT) | instid1(VALU_DEP_1)
	v_lshl_add_u32 v26, v34, 3, v34
	v_and_b32_e32 v35, 31, v26
	s_branch .LBB221_20
.LBB221_19:                             ;   in Loop: Header=BB221_20 Depth=3
	s_or_b32 exec_lo, exec_lo, s33
	s_xor_b32 s33, s34, -1
	s_delay_alu instid0(SALU_CYCLE_1) | instskip(NEXT) | instid1(SALU_CYCLE_1)
	s_and_b32 s33, exec_lo, s33
	s_or_b32 s17, s33, s17
	s_delay_alu instid0(SALU_CYCLE_1)
	s_and_not1_b32 exec_lo, exec_lo, s17
	s_cbranch_execz .LBB221_17
.LBB221_20:                             ;   Parent Loop BB221_15 Depth=1
                                        ;     Parent Loop BB221_18 Depth=2
                                        ; =>    This Loop Header: Depth=3
                                        ;         Child Loop BB221_26 Depth 4
                                        ;         Child Loop BB221_28 Depth 4
	;; [unrolled: 1-line block ×4, first 2 shown]
	s_delay_alu instid0(VALU_DEP_1)
	v_lshl_add_u32 v26, v35, 2, v31
	s_mov_b32 s33, exec_lo
                                        ; implicit-def: $sgpr34
	ds_load_b32 v27, v26
	s_waitcnt lgkmcnt(0)
	v_cmpx_ne_u32_e64 v27, v34
	s_xor_b32 s33, exec_lo, s33
	s_cbranch_execz .LBB221_32
; %bb.21:                               ;   in Loop: Header=BB221_20 Depth=3
	s_mov_b32 s35, exec_lo
                                        ; implicit-def: $sgpr34
	v_cmpx_ne_u32_e64 s1, v27
	s_xor_b32 s35, exec_lo, s35
; %bb.22:                               ;   in Loop: Header=BB221_20 Depth=3
	v_add_nc_u32_e32 v26, 1, v35
	s_mov_b32 s34, -1
	s_delay_alu instid0(VALU_DEP_1)
	v_and_b32_e32 v35, 31, v26
                                        ; implicit-def: $vgpr26
; %bb.23:                               ;   in Loop: Header=BB221_20 Depth=3
	s_and_not1_saveexec_b32 s35, s35
	s_cbranch_execz .LBB221_31
; %bb.24:                               ;   in Loop: Header=BB221_20 Depth=3
	v_mov_b32_e32 v27, s1
	s_mov_b32 s37, -1
	s_mov_b32 s36, exec_lo
	ds_cmpstore_rtn_b32 v26, v26, v34, v27
	s_waitcnt lgkmcnt(0)
	v_cmpx_eq_u32_e64 s1, v26
	s_cbranch_execz .LBB221_30
; %bb.25:                               ;   in Loop: Header=BB221_20 Depth=3
	v_lshl_add_u32 v36, v35, 4, v32
	s_mov_b32 s37, 0
	ds_load_b64 v[26:27], v36
.LBB221_26:                             ;   Parent Loop BB221_15 Depth=1
                                        ;     Parent Loop BB221_18 Depth=2
                                        ;       Parent Loop BB221_20 Depth=3
                                        ; =>      This Inner Loop Header: Depth=4
	s_waitcnt lgkmcnt(0)
	v_add_f64 v[37:38], v[26:27], v[22:23]
	ds_cmpstore_rtn_b64 v[37:38], v36, v[37:38], v[26:27]
	s_waitcnt lgkmcnt(0)
	v_cmp_eq_u64_e32 vcc_lo, v[37:38], v[26:27]
	v_dual_mov_b32 v26, v37 :: v_dual_mov_b32 v27, v38
	s_or_b32 s37, vcc_lo, s37
	s_delay_alu instid0(SALU_CYCLE_1)
	s_and_not1_b32 exec_lo, exec_lo, s37
	s_cbranch_execnz .LBB221_26
; %bb.27:                               ;   in Loop: Header=BB221_20 Depth=3
	s_or_b32 exec_lo, exec_lo, s37
	ds_load_b64 v[26:27], v36 offset:8
	s_mov_b32 s37, 0
.LBB221_28:                             ;   Parent Loop BB221_15 Depth=1
                                        ;     Parent Loop BB221_18 Depth=2
                                        ;       Parent Loop BB221_20 Depth=3
                                        ; =>      This Inner Loop Header: Depth=4
	s_waitcnt lgkmcnt(0)
	v_add_f64 v[37:38], v[26:27], v[24:25]
	ds_cmpstore_rtn_b64 v[37:38], v36, v[37:38], v[26:27] offset:8
	s_waitcnt lgkmcnt(0)
	v_cmp_eq_u64_e32 vcc_lo, v[37:38], v[26:27]
	v_dual_mov_b32 v26, v37 :: v_dual_mov_b32 v27, v38
	s_or_b32 s37, vcc_lo, s37
	s_delay_alu instid0(SALU_CYCLE_1)
	s_and_not1_b32 exec_lo, exec_lo, s37
	s_cbranch_execnz .LBB221_28
; %bb.29:                               ;   in Loop: Header=BB221_20 Depth=3
	s_or_b32 exec_lo, exec_lo, s37
	s_delay_alu instid0(SALU_CYCLE_1)
	s_xor_b32 s37, exec_lo, -1
.LBB221_30:                             ;   in Loop: Header=BB221_20 Depth=3
	s_or_b32 exec_lo, exec_lo, s36
	s_delay_alu instid0(SALU_CYCLE_1) | instskip(SKIP_1) | instid1(SALU_CYCLE_1)
	s_and_not1_b32 s34, s34, exec_lo
	s_and_b32 s36, s37, exec_lo
	s_or_b32 s34, s34, s36
.LBB221_31:                             ;   in Loop: Header=BB221_20 Depth=3
	s_or_b32 exec_lo, exec_lo, s35
	s_delay_alu instid0(SALU_CYCLE_1)
	s_and_b32 s34, s34, exec_lo
.LBB221_32:                             ;   in Loop: Header=BB221_20 Depth=3
	s_and_not1_saveexec_b32 s33, s33
	s_cbranch_execz .LBB221_19
; %bb.33:                               ;   in Loop: Header=BB221_20 Depth=3
	v_lshl_add_u32 v36, v35, 4, v32
	s_mov_b32 s35, 0
	ds_load_b64 v[26:27], v36
.LBB221_34:                             ;   Parent Loop BB221_15 Depth=1
                                        ;     Parent Loop BB221_18 Depth=2
                                        ;       Parent Loop BB221_20 Depth=3
                                        ; =>      This Inner Loop Header: Depth=4
	s_waitcnt lgkmcnt(0)
	v_add_f64 v[37:38], v[26:27], v[22:23]
	ds_cmpstore_rtn_b64 v[37:38], v36, v[37:38], v[26:27]
	s_waitcnt lgkmcnt(0)
	v_cmp_eq_u64_e32 vcc_lo, v[37:38], v[26:27]
	v_dual_mov_b32 v26, v37 :: v_dual_mov_b32 v27, v38
	s_or_b32 s35, vcc_lo, s35
	s_delay_alu instid0(SALU_CYCLE_1)
	s_and_not1_b32 exec_lo, exec_lo, s35
	s_cbranch_execnz .LBB221_34
; %bb.35:                               ;   in Loop: Header=BB221_20 Depth=3
	s_or_b32 exec_lo, exec_lo, s35
	ds_load_b64 v[26:27], v36 offset:8
	s_mov_b32 s35, 0
.LBB221_36:                             ;   Parent Loop BB221_15 Depth=1
                                        ;     Parent Loop BB221_18 Depth=2
                                        ;       Parent Loop BB221_20 Depth=3
                                        ; =>      This Inner Loop Header: Depth=4
	s_waitcnt lgkmcnt(0)
	v_add_f64 v[37:38], v[26:27], v[24:25]
	ds_cmpstore_rtn_b64 v[37:38], v36, v[37:38], v[26:27] offset:8
	s_waitcnt lgkmcnt(0)
	v_cmp_eq_u64_e32 vcc_lo, v[37:38], v[26:27]
	v_dual_mov_b32 v26, v37 :: v_dual_mov_b32 v27, v38
	s_or_b32 s35, vcc_lo, s35
	s_delay_alu instid0(SALU_CYCLE_1)
	s_and_not1_b32 exec_lo, exec_lo, s35
	s_cbranch_execnz .LBB221_36
; %bb.37:                               ;   in Loop: Header=BB221_20 Depth=3
	s_or_b32 exec_lo, exec_lo, s35
	s_delay_alu instid0(SALU_CYCLE_1)
	s_and_not1_b32 s34, s34, exec_lo
	s_branch .LBB221_19
.LBB221_38:
	s_or_b32 exec_lo, exec_lo, s0
.LBB221_39:
	s_delay_alu instid0(SALU_CYCLE_1)
	s_and_not1_b32 vcc_lo, exec_lo, s14
	s_cbranch_vccnz .LBB221_42
; %bb.40:
	s_delay_alu instid0(VALU_DEP_1) | instskip(NEXT) | instid1(VALU_DEP_2)
	v_add_co_u32 v0, vcc_lo, s4, v8
	v_add_co_ci_u32_e32 v1, vcc_lo, s5, v9, vcc_lo
	v_sub_co_u32 v2, s0, v33, s27
	s_delay_alu instid0(VALU_DEP_1)
	v_sub_co_ci_u32_e64 v3, null, 0, 0, s0
	global_load_b128 v[10:13], v[0:1], off
	s_mov_b32 s2, 0
	s_mov_b32 s0, exec_lo
	s_waitcnt vmcnt(0)
	v_sub_co_u32 v0, vcc_lo, v12, s27
	v_subrev_co_ci_u32_e32 v1, vcc_lo, 0, v13, vcc_lo
	v_add_co_u32 v2, vcc_lo, v10, v2
	v_add_co_ci_u32_e32 v3, vcc_lo, v11, v3, vcc_lo
	s_delay_alu instid0(VALU_DEP_1)
	v_cmpx_lt_i64_e64 v[2:3], v[0:1]
	s_cbranch_execnz .LBB221_47
.LBB221_41:
	s_or_b32 exec_lo, exec_lo, s0
.LBB221_42:
	s_delay_alu instid0(VALU_DEP_1) | instskip(NEXT) | instid1(VALU_DEP_2)
	v_add_co_u32 v0, vcc_lo, s10, v8
	v_add_co_ci_u32_e32 v1, vcc_lo, s11, v9, vcc_lo
	buffer_gl0_inv
	s_mov_b32 s0, 0
	global_load_b64 v[0:1], v[0:1], off
	s_waitcnt vmcnt(0)
	v_sub_co_u32 v0, vcc_lo, v0, s26
	v_subrev_co_ci_u32_e32 v1, vcc_lo, 0, v1, vcc_lo
	s_delay_alu instid0(VALU_DEP_1) | instskip(NEXT) | instid1(VALU_DEP_1)
	v_lshlrev_b64 v[0:1], 4, v[0:1]
	v_add_co_u32 v0, vcc_lo, s12, v0
	s_delay_alu instid0(VALU_DEP_2)
	v_add_co_ci_u32_e32 v1, vcc_lo, s13, v1, vcc_lo
	s_branch .LBB221_44
.LBB221_43:                             ;   in Loop: Header=BB221_44 Depth=1
	s_or_b32 exec_lo, exec_lo, s2
	v_add_co_u32 v28, s2, v28, 16
	s_delay_alu instid0(VALU_DEP_1) | instskip(SKIP_3) | instid1(SALU_CYCLE_1)
	s_xor_b32 s2, s2, -1
	v_add_nc_u32_e32 v30, 0x100, v30
	v_add_nc_u32_e32 v29, 64, v29
	s_and_b32 s2, exec_lo, s2
	s_or_b32 s0, s2, s0
	s_delay_alu instid0(SALU_CYCLE_1)
	s_and_not1_b32 exec_lo, exec_lo, s0
	s_cbranch_execz .LBB221_67
.LBB221_44:                             ; =>This Inner Loop Header: Depth=1
	ds_load_b32 v2, v29
	s_mov_b32 s2, exec_lo
	s_waitcnt lgkmcnt(0)
	v_cmpx_gt_i32_e64 s1, v2
	s_cbranch_execz .LBB221_43
; %bb.45:                               ;   in Loop: Header=BB221_44 Depth=1
	ds_load_b128 v[3:6], v31
	ds_load_b128 v[7:10], v31 offset:16
	ds_load_b128 v[11:14], v31 offset:32
	;; [unrolled: 1-line block ×7, first 2 shown]
	s_waitcnt lgkmcnt(7)
	v_cmp_gt_i32_e32 vcc_lo, v2, v3
	v_cndmask_b32_e64 v3, 0, 1, vcc_lo
	v_cmp_gt_i32_e32 vcc_lo, v2, v4
	s_delay_alu instid0(VALU_DEP_2) | instskip(SKIP_2) | instid1(VALU_DEP_2)
	v_lshlrev_b32_e32 v3, 4, v3
	v_cndmask_b32_e64 v4, 0, 1, vcc_lo
	v_cmp_gt_i32_e32 vcc_lo, v2, v5
	v_lshlrev_b32_e32 v4, 4, v4
	v_cndmask_b32_e64 v5, 0, 1, vcc_lo
	v_cmp_gt_i32_e32 vcc_lo, v2, v6
	s_delay_alu instid0(VALU_DEP_2) | instskip(SKIP_3) | instid1(VALU_DEP_2)
	v_lshlrev_b32_e32 v5, 4, v5
	v_cndmask_b32_e64 v6, 0, 1, vcc_lo
	s_waitcnt lgkmcnt(6)
	v_cmp_gt_i32_e32 vcc_lo, v2, v7
	v_lshlrev_b32_e32 v6, 4, v6
	v_cndmask_b32_e64 v7, 0, 1, vcc_lo
	v_cmp_gt_i32_e32 vcc_lo, v2, v8
	v_cndmask_b32_e64 v8, 0, 1, vcc_lo
	v_cmp_gt_i32_e32 vcc_lo, v2, v9
	;; [unrolled: 2-line block ×3, first 2 shown]
	v_cndmask_b32_e64 v10, 0, 1, vcc_lo
	v_add_co_u32 v3, vcc_lo, v0, v3
	v_add_co_ci_u32_e32 v27, vcc_lo, 0, v1, vcc_lo
	s_delay_alu instid0(VALU_DEP_2) | instskip(NEXT) | instid1(VALU_DEP_2)
	v_add_co_u32 v3, vcc_lo, v3, v4
	v_add_co_ci_u32_e32 v4, vcc_lo, 0, v27, vcc_lo
	s_delay_alu instid0(VALU_DEP_2) | instskip(NEXT) | instid1(VALU_DEP_2)
	v_add_co_u32 v3, vcc_lo, v3, v5
	v_add_co_ci_u32_e32 v4, vcc_lo, 0, v4, vcc_lo
	v_lshlrev_b32_e32 v5, 4, v7
	s_delay_alu instid0(VALU_DEP_3) | instskip(NEXT) | instid1(VALU_DEP_3)
	v_add_co_u32 v3, vcc_lo, v3, v6
	v_add_co_ci_u32_e32 v4, vcc_lo, 0, v4, vcc_lo
	v_lshlrev_b32_e32 v6, 4, v8
	s_delay_alu instid0(VALU_DEP_3) | instskip(NEXT) | instid1(VALU_DEP_3)
	;; [unrolled: 4-line block ×4, first 2 shown]
	v_add_co_u32 v3, vcc_lo, v3, v5
	v_add_co_ci_u32_e32 v4, vcc_lo, 0, v4, vcc_lo
	s_waitcnt lgkmcnt(5)
	v_cmp_gt_i32_e32 vcc_lo, v2, v11
	v_cndmask_b32_e64 v5, 0, 1, vcc_lo
	v_add_co_u32 v3, vcc_lo, v3, v6
	v_add_co_ci_u32_e32 v4, vcc_lo, 0, v4, vcc_lo
	v_cmp_gt_i32_e32 vcc_lo, v2, v12
	s_delay_alu instid0(VALU_DEP_4) | instskip(SKIP_3) | instid1(VALU_DEP_4)
	v_lshlrev_b32_e32 v5, 4, v5
	v_cndmask_b32_e64 v6, 0, 1, vcc_lo
	v_cmp_gt_i32_e32 vcc_lo, v2, v13
	v_cndmask_b32_e64 v7, 0, 1, vcc_lo
	v_add_co_u32 v3, vcc_lo, v3, v5
	v_add_co_ci_u32_e32 v4, vcc_lo, 0, v4, vcc_lo
	v_lshlrev_b32_e32 v5, 4, v6
	v_cmp_gt_i32_e32 vcc_lo, v2, v14
	v_lshlrev_b32_e32 v6, 4, v7
	v_cndmask_b32_e64 v7, 0, 1, vcc_lo
	s_delay_alu instid0(VALU_DEP_4) | instskip(SKIP_1) | instid1(VALU_DEP_3)
	v_add_co_u32 v3, vcc_lo, v3, v5
	v_add_co_ci_u32_e32 v4, vcc_lo, 0, v4, vcc_lo
	v_lshlrev_b32_e32 v5, 4, v7
	s_delay_alu instid0(VALU_DEP_3) | instskip(NEXT) | instid1(VALU_DEP_3)
	v_add_co_u32 v3, vcc_lo, v3, v6
	v_add_co_ci_u32_e32 v4, vcc_lo, 0, v4, vcc_lo
	s_waitcnt lgkmcnt(4)
	v_cmp_gt_i32_e32 vcc_lo, v2, v15
	v_cndmask_b32_e64 v6, 0, 1, vcc_lo
	v_add_co_u32 v3, vcc_lo, v3, v5
	v_add_co_ci_u32_e32 v4, vcc_lo, 0, v4, vcc_lo
	v_cmp_gt_i32_e32 vcc_lo, v2, v16
	s_delay_alu instid0(VALU_DEP_4) | instskip(SKIP_3) | instid1(VALU_DEP_4)
	v_lshlrev_b32_e32 v5, 4, v6
	v_cndmask_b32_e64 v6, 0, 1, vcc_lo
	v_cmp_gt_i32_e32 vcc_lo, v2, v17
	v_cndmask_b32_e64 v7, 0, 1, vcc_lo
	v_add_co_u32 v3, vcc_lo, v3, v5
	v_add_co_ci_u32_e32 v4, vcc_lo, 0, v4, vcc_lo
	v_lshlrev_b32_e32 v5, 4, v6
	v_cmp_gt_i32_e32 vcc_lo, v2, v18
	v_lshlrev_b32_e32 v6, 4, v7
	v_cndmask_b32_e64 v7, 0, 1, vcc_lo
	s_delay_alu instid0(VALU_DEP_4) | instskip(SKIP_1) | instid1(VALU_DEP_3)
	v_add_co_u32 v3, vcc_lo, v3, v5
	v_add_co_ci_u32_e32 v4, vcc_lo, 0, v4, vcc_lo
	v_lshlrev_b32_e32 v5, 4, v7
	s_delay_alu instid0(VALU_DEP_3) | instskip(NEXT) | instid1(VALU_DEP_3)
	;; [unrolled: 24-line block ×5, first 2 shown]
	v_add_co_u32 v3, vcc_lo, v3, v6
	v_add_co_ci_u32_e32 v4, vcc_lo, 0, v4, vcc_lo
	s_waitcnt lgkmcnt(0)
	v_cmp_gt_i32_e32 vcc_lo, v2, v36
	v_cndmask_b32_e64 v6, 0, 1, vcc_lo
	v_add_co_u32 v3, vcc_lo, v3, v5
	v_add_co_ci_u32_e32 v4, vcc_lo, 0, v4, vcc_lo
	v_cmp_gt_i32_e32 vcc_lo, v2, v37
	s_delay_alu instid0(VALU_DEP_4) | instskip(SKIP_2) | instid1(VALU_DEP_2)
	v_lshlrev_b32_e32 v5, 4, v6
	v_cndmask_b32_e64 v6, 0, 1, vcc_lo
	v_cmp_gt_i32_e32 vcc_lo, v2, v38
	v_lshlrev_b32_e32 v10, 4, v6
	v_cndmask_b32_e64 v7, 0, 1, vcc_lo
	v_add_co_u32 v8, vcc_lo, v3, v5
	v_add_co_ci_u32_e32 v9, vcc_lo, 0, v4, vcc_lo
	v_cmp_gt_i32_e32 vcc_lo, v2, v39
	ds_load_2addr_b64 v[3:6], v30 offset1:1
	v_lshlrev_b32_e32 v7, 4, v7
	v_cndmask_b32_e64 v2, 0, 1, vcc_lo
	v_add_co_u32 v8, vcc_lo, v8, v10
	v_add_co_ci_u32_e32 v9, vcc_lo, 0, v9, vcc_lo
	s_delay_alu instid0(VALU_DEP_3) | instskip(NEXT) | instid1(VALU_DEP_3)
	v_lshlrev_b32_e32 v2, 4, v2
	v_add_co_u32 v7, vcc_lo, v8, v7
	s_delay_alu instid0(VALU_DEP_3) | instskip(NEXT) | instid1(VALU_DEP_2)
	v_add_co_ci_u32_e32 v8, vcc_lo, 0, v9, vcc_lo
	v_add_co_u32 v7, vcc_lo, v7, v2
	s_delay_alu instid0(VALU_DEP_2)
	v_add_co_ci_u32_e32 v8, vcc_lo, 0, v8, vcc_lo
	s_waitcnt lgkmcnt(0)
	global_store_b128 v[7:8], v[3:6], off
	s_branch .LBB221_43
.LBB221_46:                             ;   in Loop: Header=BB221_47 Depth=1
	s_or_b32 exec_lo, exec_lo, s3
	v_add_co_u32 v2, vcc_lo, v2, 16
	v_add_co_ci_u32_e32 v3, vcc_lo, 0, v3, vcc_lo
	s_delay_alu instid0(VALU_DEP_1) | instskip(SKIP_1) | instid1(SALU_CYCLE_1)
	v_cmp_ge_i64_e32 vcc_lo, v[2:3], v[0:1]
	s_or_b32 s2, vcc_lo, s2
	s_and_not1_b32 exec_lo, exec_lo, s2
	s_cbranch_execz .LBB221_41
.LBB221_47:                             ; =>This Loop Header: Depth=1
                                        ;     Child Loop BB221_49 Depth 2
                                        ;       Child Loop BB221_55 Depth 3
                                        ;       Child Loop BB221_57 Depth 3
                                        ;       Child Loop BB221_63 Depth 3
                                        ;       Child Loop BB221_65 Depth 3
	v_lshlrev_b64 v[10:11], 4, v[2:3]
	s_mov_b32 s3, 0
	s_delay_alu instid0(VALU_DEP_1) | instskip(NEXT) | instid1(VALU_DEP_2)
	v_add_co_u32 v10, vcc_lo, s8, v10
	v_add_co_ci_u32_e32 v11, vcc_lo, s9, v11, vcc_lo
	global_load_b128 v[12:15], v[10:11], off
	v_lshlrev_b64 v[10:11], 2, v[2:3]
	s_delay_alu instid0(VALU_DEP_1) | instskip(NEXT) | instid1(VALU_DEP_2)
	v_add_co_u32 v10, vcc_lo, s6, v10
	v_add_co_ci_u32_e32 v11, vcc_lo, s7, v11, vcc_lo
	global_load_b32 v16, v[10:11], off
	s_waitcnt vmcnt(1)
	v_mul_f64 v[10:11], v[14:15], -v[4:5]
	v_mul_f64 v[14:15], v[6:7], v[14:15]
	s_waitcnt vmcnt(0)
	v_subrev_nc_u32_e32 v16, s27, v16
	s_delay_alu instid0(VALU_DEP_3) | instskip(NEXT) | instid1(VALU_DEP_3)
	v_fma_f64 v[10:11], v[6:7], v[12:13], v[10:11]
	v_fma_f64 v[12:13], v[4:5], v[12:13], v[14:15]
	s_delay_alu instid0(VALU_DEP_3) | instskip(NEXT) | instid1(VALU_DEP_1)
	v_lshl_add_u32 v14, v16, 3, v16
	v_and_b32_e32 v17, 31, v14
	s_branch .LBB221_49
.LBB221_48:                             ;   in Loop: Header=BB221_49 Depth=2
	s_or_b32 exec_lo, exec_lo, s4
	s_xor_b32 s4, s5, -1
	s_delay_alu instid0(SALU_CYCLE_1) | instskip(NEXT) | instid1(SALU_CYCLE_1)
	s_and_b32 s4, exec_lo, s4
	s_or_b32 s3, s4, s3
	s_delay_alu instid0(SALU_CYCLE_1)
	s_and_not1_b32 exec_lo, exec_lo, s3
	s_cbranch_execz .LBB221_46
.LBB221_49:                             ;   Parent Loop BB221_47 Depth=1
                                        ; =>  This Loop Header: Depth=2
                                        ;       Child Loop BB221_55 Depth 3
                                        ;       Child Loop BB221_57 Depth 3
	;; [unrolled: 1-line block ×4, first 2 shown]
	s_delay_alu instid0(VALU_DEP_1)
	v_lshl_add_u32 v14, v17, 2, v31
	s_mov_b32 s4, exec_lo
                                        ; implicit-def: $sgpr5
	ds_load_b32 v15, v14
	s_waitcnt lgkmcnt(0)
	v_cmpx_ne_u32_e64 v15, v16
	s_xor_b32 s4, exec_lo, s4
	s_cbranch_execz .LBB221_61
; %bb.50:                               ;   in Loop: Header=BB221_49 Depth=2
	s_mov_b32 s14, exec_lo
                                        ; implicit-def: $sgpr5
	v_cmpx_ne_u32_e64 s1, v15
	s_xor_b32 s14, exec_lo, s14
; %bb.51:                               ;   in Loop: Header=BB221_49 Depth=2
	v_add_nc_u32_e32 v14, 1, v17
	s_mov_b32 s5, -1
	s_delay_alu instid0(VALU_DEP_1)
	v_and_b32_e32 v17, 31, v14
                                        ; implicit-def: $vgpr14
; %bb.52:                               ;   in Loop: Header=BB221_49 Depth=2
	s_and_not1_saveexec_b32 s14, s14
	s_cbranch_execz .LBB221_60
; %bb.53:                               ;   in Loop: Header=BB221_49 Depth=2
	v_mov_b32_e32 v15, s1
	s_mov_b32 s16, -1
	s_mov_b32 s15, exec_lo
	ds_cmpstore_rtn_b32 v14, v14, v16, v15
	s_waitcnt lgkmcnt(0)
	v_cmpx_eq_u32_e64 s1, v14
	s_cbranch_execz .LBB221_59
; %bb.54:                               ;   in Loop: Header=BB221_49 Depth=2
	v_lshl_add_u32 v18, v17, 4, v32
	s_mov_b32 s16, 0
	ds_load_b64 v[14:15], v18
.LBB221_55:                             ;   Parent Loop BB221_47 Depth=1
                                        ;     Parent Loop BB221_49 Depth=2
                                        ; =>    This Inner Loop Header: Depth=3
	s_waitcnt lgkmcnt(0)
	v_add_f64 v[19:20], v[14:15], v[10:11]
	ds_cmpstore_rtn_b64 v[19:20], v18, v[19:20], v[14:15]
	s_waitcnt lgkmcnt(0)
	v_cmp_eq_u64_e32 vcc_lo, v[19:20], v[14:15]
	v_dual_mov_b32 v14, v19 :: v_dual_mov_b32 v15, v20
	s_or_b32 s16, vcc_lo, s16
	s_delay_alu instid0(SALU_CYCLE_1)
	s_and_not1_b32 exec_lo, exec_lo, s16
	s_cbranch_execnz .LBB221_55
; %bb.56:                               ;   in Loop: Header=BB221_49 Depth=2
	s_or_b32 exec_lo, exec_lo, s16
	ds_load_b64 v[14:15], v18 offset:8
	s_mov_b32 s16, 0
.LBB221_57:                             ;   Parent Loop BB221_47 Depth=1
                                        ;     Parent Loop BB221_49 Depth=2
                                        ; =>    This Inner Loop Header: Depth=3
	s_waitcnt lgkmcnt(0)
	v_add_f64 v[19:20], v[14:15], v[12:13]
	ds_cmpstore_rtn_b64 v[19:20], v18, v[19:20], v[14:15] offset:8
	s_waitcnt lgkmcnt(0)
	v_cmp_eq_u64_e32 vcc_lo, v[19:20], v[14:15]
	v_dual_mov_b32 v14, v19 :: v_dual_mov_b32 v15, v20
	s_or_b32 s16, vcc_lo, s16
	s_delay_alu instid0(SALU_CYCLE_1)
	s_and_not1_b32 exec_lo, exec_lo, s16
	s_cbranch_execnz .LBB221_57
; %bb.58:                               ;   in Loop: Header=BB221_49 Depth=2
	s_or_b32 exec_lo, exec_lo, s16
	s_delay_alu instid0(SALU_CYCLE_1)
	s_xor_b32 s16, exec_lo, -1
.LBB221_59:                             ;   in Loop: Header=BB221_49 Depth=2
	s_or_b32 exec_lo, exec_lo, s15
	s_delay_alu instid0(SALU_CYCLE_1) | instskip(SKIP_1) | instid1(SALU_CYCLE_1)
	s_and_not1_b32 s5, s5, exec_lo
	s_and_b32 s15, s16, exec_lo
	s_or_b32 s5, s5, s15
.LBB221_60:                             ;   in Loop: Header=BB221_49 Depth=2
	s_or_b32 exec_lo, exec_lo, s14
	s_delay_alu instid0(SALU_CYCLE_1)
	s_and_b32 s5, s5, exec_lo
.LBB221_61:                             ;   in Loop: Header=BB221_49 Depth=2
	s_and_not1_saveexec_b32 s4, s4
	s_cbranch_execz .LBB221_48
; %bb.62:                               ;   in Loop: Header=BB221_49 Depth=2
	v_lshl_add_u32 v18, v17, 4, v32
	s_mov_b32 s14, 0
	ds_load_b64 v[14:15], v18
.LBB221_63:                             ;   Parent Loop BB221_47 Depth=1
                                        ;     Parent Loop BB221_49 Depth=2
                                        ; =>    This Inner Loop Header: Depth=3
	s_waitcnt lgkmcnt(0)
	v_add_f64 v[19:20], v[14:15], v[10:11]
	ds_cmpstore_rtn_b64 v[19:20], v18, v[19:20], v[14:15]
	s_waitcnt lgkmcnt(0)
	v_cmp_eq_u64_e32 vcc_lo, v[19:20], v[14:15]
	v_dual_mov_b32 v14, v19 :: v_dual_mov_b32 v15, v20
	s_or_b32 s14, vcc_lo, s14
	s_delay_alu instid0(SALU_CYCLE_1)
	s_and_not1_b32 exec_lo, exec_lo, s14
	s_cbranch_execnz .LBB221_63
; %bb.64:                               ;   in Loop: Header=BB221_49 Depth=2
	s_or_b32 exec_lo, exec_lo, s14
	ds_load_b64 v[14:15], v18 offset:8
	s_mov_b32 s14, 0
.LBB221_65:                             ;   Parent Loop BB221_47 Depth=1
                                        ;     Parent Loop BB221_49 Depth=2
                                        ; =>    This Inner Loop Header: Depth=3
	s_waitcnt lgkmcnt(0)
	v_add_f64 v[19:20], v[14:15], v[12:13]
	ds_cmpstore_rtn_b64 v[19:20], v18, v[19:20], v[14:15] offset:8
	s_waitcnt lgkmcnt(0)
	v_cmp_eq_u64_e32 vcc_lo, v[19:20], v[14:15]
	v_dual_mov_b32 v14, v19 :: v_dual_mov_b32 v15, v20
	s_or_b32 s14, vcc_lo, s14
	s_delay_alu instid0(SALU_CYCLE_1)
	s_and_not1_b32 exec_lo, exec_lo, s14
	s_cbranch_execnz .LBB221_65
; %bb.66:                               ;   in Loop: Header=BB221_49 Depth=2
	s_or_b32 exec_lo, exec_lo, s14
	s_delay_alu instid0(SALU_CYCLE_1)
	s_and_not1_b32 s5, s5, exec_lo
	s_branch .LBB221_48
.LBB221_67:
	s_nop 0
	s_sendmsg sendmsg(MSG_DEALLOC_VGPRS)
	s_endpgm
	.section	.rodata,"a",@progbits
	.p2align	6, 0x0
	.amdhsa_kernel _ZN9rocsparseL38csrgemm_numeric_fill_wf_per_row_kernelILj256ELj16ELj32ELj137Eli21rocsparse_complex_numIdEEEvT4_S3_PKS3_S5_NS_24const_host_device_scalarIT5_EEPKT3_S5_PKS7_SB_S5_SD_S8_SB_S5_SD_SB_S5_PS7_21rocsparse_index_base_SF_SF_SF_bbb
		.amdhsa_group_segment_fixed_size 14336
		.amdhsa_private_segment_fixed_size 0
		.amdhsa_kernarg_size 172
		.amdhsa_user_sgpr_count 15
		.amdhsa_user_sgpr_dispatch_ptr 1
		.amdhsa_user_sgpr_queue_ptr 0
		.amdhsa_user_sgpr_kernarg_segment_ptr 1
		.amdhsa_user_sgpr_dispatch_id 0
		.amdhsa_user_sgpr_private_segment_size 0
		.amdhsa_wavefront_size32 1
		.amdhsa_uses_dynamic_stack 0
		.amdhsa_enable_private_segment 0
		.amdhsa_system_sgpr_workgroup_id_x 1
		.amdhsa_system_sgpr_workgroup_id_y 0
		.amdhsa_system_sgpr_workgroup_id_z 0
		.amdhsa_system_sgpr_workgroup_info 0
		.amdhsa_system_vgpr_workitem_id 2
		.amdhsa_next_free_vgpr 40
		.amdhsa_next_free_sgpr 44
		.amdhsa_reserve_vcc 1
		.amdhsa_float_round_mode_32 0
		.amdhsa_float_round_mode_16_64 0
		.amdhsa_float_denorm_mode_32 3
		.amdhsa_float_denorm_mode_16_64 3
		.amdhsa_dx10_clamp 1
		.amdhsa_ieee_mode 1
		.amdhsa_fp16_overflow 0
		.amdhsa_workgroup_processor_mode 1
		.amdhsa_memory_ordered 1
		.amdhsa_forward_progress 0
		.amdhsa_shared_vgpr_count 0
		.amdhsa_exception_fp_ieee_invalid_op 0
		.amdhsa_exception_fp_denorm_src 0
		.amdhsa_exception_fp_ieee_div_zero 0
		.amdhsa_exception_fp_ieee_overflow 0
		.amdhsa_exception_fp_ieee_underflow 0
		.amdhsa_exception_fp_ieee_inexact 0
		.amdhsa_exception_int_div_zero 0
	.end_amdhsa_kernel
	.section	.text._ZN9rocsparseL38csrgemm_numeric_fill_wf_per_row_kernelILj256ELj16ELj32ELj137Eli21rocsparse_complex_numIdEEEvT4_S3_PKS3_S5_NS_24const_host_device_scalarIT5_EEPKT3_S5_PKS7_SB_S5_SD_S8_SB_S5_SD_SB_S5_PS7_21rocsparse_index_base_SF_SF_SF_bbb,"axG",@progbits,_ZN9rocsparseL38csrgemm_numeric_fill_wf_per_row_kernelILj256ELj16ELj32ELj137Eli21rocsparse_complex_numIdEEEvT4_S3_PKS3_S5_NS_24const_host_device_scalarIT5_EEPKT3_S5_PKS7_SB_S5_SD_S8_SB_S5_SD_SB_S5_PS7_21rocsparse_index_base_SF_SF_SF_bbb,comdat
.Lfunc_end221:
	.size	_ZN9rocsparseL38csrgemm_numeric_fill_wf_per_row_kernelILj256ELj16ELj32ELj137Eli21rocsparse_complex_numIdEEEvT4_S3_PKS3_S5_NS_24const_host_device_scalarIT5_EEPKT3_S5_PKS7_SB_S5_SD_S8_SB_S5_SD_SB_S5_PS7_21rocsparse_index_base_SF_SF_SF_bbb, .Lfunc_end221-_ZN9rocsparseL38csrgemm_numeric_fill_wf_per_row_kernelILj256ELj16ELj32ELj137Eli21rocsparse_complex_numIdEEEvT4_S3_PKS3_S5_NS_24const_host_device_scalarIT5_EEPKT3_S5_PKS7_SB_S5_SD_S8_SB_S5_SD_SB_S5_PS7_21rocsparse_index_base_SF_SF_SF_bbb
                                        ; -- End function
	.section	.AMDGPU.csdata,"",@progbits
; Kernel info:
; codeLenInByte = 3864
; NumSgprs: 46
; NumVgprs: 40
; ScratchSize: 0
; MemoryBound: 0
; FloatMode: 240
; IeeeMode: 1
; LDSByteSize: 14336 bytes/workgroup (compile time only)
; SGPRBlocks: 5
; VGPRBlocks: 4
; NumSGPRsForWavesPerEU: 46
; NumVGPRsForWavesPerEU: 40
; Occupancy: 16
; WaveLimiterHint : 1
; COMPUTE_PGM_RSRC2:SCRATCH_EN: 0
; COMPUTE_PGM_RSRC2:USER_SGPR: 15
; COMPUTE_PGM_RSRC2:TRAP_HANDLER: 0
; COMPUTE_PGM_RSRC2:TGID_X_EN: 1
; COMPUTE_PGM_RSRC2:TGID_Y_EN: 0
; COMPUTE_PGM_RSRC2:TGID_Z_EN: 0
; COMPUTE_PGM_RSRC2:TIDIG_COMP_CNT: 2
	.section	.text._ZN9rocsparseL41csrgemm_numeric_fill_block_per_row_kernelILj128ELj16ELj256ELj137ELj32Eli21rocsparse_complex_numIdEEEvT5_PKS3_S5_NS_24const_host_device_scalarIT6_EEPKT4_S5_PKS7_SB_S5_SD_S8_SB_S5_SD_SB_S5_PS7_21rocsparse_index_base_SF_SF_SF_bbb,"axG",@progbits,_ZN9rocsparseL41csrgemm_numeric_fill_block_per_row_kernelILj128ELj16ELj256ELj137ELj32Eli21rocsparse_complex_numIdEEEvT5_PKS3_S5_NS_24const_host_device_scalarIT6_EEPKT4_S5_PKS7_SB_S5_SD_S8_SB_S5_SD_SB_S5_PS7_21rocsparse_index_base_SF_SF_SF_bbb,comdat
	.globl	_ZN9rocsparseL41csrgemm_numeric_fill_block_per_row_kernelILj128ELj16ELj256ELj137ELj32Eli21rocsparse_complex_numIdEEEvT5_PKS3_S5_NS_24const_host_device_scalarIT6_EEPKT4_S5_PKS7_SB_S5_SD_S8_SB_S5_SD_SB_S5_PS7_21rocsparse_index_base_SF_SF_SF_bbb ; -- Begin function _ZN9rocsparseL41csrgemm_numeric_fill_block_per_row_kernelILj128ELj16ELj256ELj137ELj32Eli21rocsparse_complex_numIdEEEvT5_PKS3_S5_NS_24const_host_device_scalarIT6_EEPKT4_S5_PKS7_SB_S5_SD_S8_SB_S5_SD_SB_S5_PS7_21rocsparse_index_base_SF_SF_SF_bbb
	.p2align	8
	.type	_ZN9rocsparseL41csrgemm_numeric_fill_block_per_row_kernelILj128ELj16ELj256ELj137ELj32Eli21rocsparse_complex_numIdEEEvT5_PKS3_S5_NS_24const_host_device_scalarIT6_EEPKT4_S5_PKS7_SB_S5_SD_S8_SB_S5_SD_SB_S5_PS7_21rocsparse_index_base_SF_SF_SF_bbb,@function
_ZN9rocsparseL41csrgemm_numeric_fill_block_per_row_kernelILj128ELj16ELj256ELj137ELj32Eli21rocsparse_complex_numIdEEEvT5_PKS3_S5_NS_24const_host_device_scalarIT6_EEPKT4_S5_PKS7_SB_S5_SD_S8_SB_S5_SD_SB_S5_PS7_21rocsparse_index_base_SF_SF_SF_bbb: ; @_ZN9rocsparseL41csrgemm_numeric_fill_block_per_row_kernelILj128ELj16ELj256ELj137ELj32Eli21rocsparse_complex_numIdEEEvT5_PKS3_S5_NS_24const_host_device_scalarIT6_EEPKT4_S5_PKS7_SB_S5_SD_S8_SB_S5_SD_SB_S5_PS7_21rocsparse_index_base_SF_SF_SF_bbb
; %bb.0:
	s_clause 0x2
	s_load_b32 s12, s[0:1], 0xa8
	s_load_b128 s[8:11], s[0:1], 0x18
	s_load_b128 s[4:7], s[0:1], 0x58
	v_mov_b32_e32 v1, 0
	v_mov_b32_e32 v2, 0
	s_waitcnt lgkmcnt(0)
	s_bitcmp1_b32 s12, 0
	v_mov_b32_e32 v3, s8
	s_cselect_b32 s35, -1, 0
	s_bitcmp1_b32 s12, 16
	v_dual_mov_b32 v6, v2 :: v_dual_mov_b32 v5, v1
	s_cselect_b32 s2, -1, 0
	v_mov_b32_e32 v4, s9
	s_xor_b32 s3, s2, -1
	v_dual_mov_b32 v10, s5 :: v_dual_mov_b32 v9, s4
	v_cndmask_b32_e64 v7, 0, 1, s3
	s_bitcmp0_b32 s12, 0
	s_clause 0x1
	scratch_store_b64 off, v[3:4], off offset:16
	scratch_store_b64 off, v[9:10], off offset:24
	v_cmp_ne_u32_e32 vcc_lo, 1, v7
	v_dual_mov_b32 v8, v2 :: v_dual_mov_b32 v7, v1
	s_cbranch_scc1 .LBB222_3
; %bb.1:
	s_mov_b64 s[16:17], src_private_base
	s_and_b32 s13, s2, exec_lo
	s_cselect_b32 s13, s17, s9
	s_delay_alu instid0(SALU_CYCLE_1) | instskip(SKIP_2) | instid1(VALU_DEP_2)
	v_dual_mov_b32 v3, 16 :: v_dual_mov_b32 v4, s13
	v_dual_mov_b32 v7, s10 :: v_dual_mov_b32 v8, s11
	s_and_b32 vcc_lo, exec_lo, vcc_lo
	v_cndmask_b32_e64 v3, s8, v3, s2
	flat_load_b64 v[5:6], v[3:4]
	s_cbranch_vccnz .LBB222_3
; %bb.2:
	v_dual_mov_b32 v3, s8 :: v_dual_mov_b32 v4, s9
	flat_load_b64 v[7:8], v[3:4] offset:8
.LBB222_3:
	s_load_b128 s[24:27], s[0:1], 0x98
	s_bitcmp1_b32 s12, 8
	v_dual_mov_b32 v4, v2 :: v_dual_mov_b32 v3, v1
	s_cselect_b32 s34, -1, 0
	s_bfe_u32 s8, s12, 0x10008
	s_delay_alu instid0(SALU_CYCLE_1)
	s_cmp_eq_u32 s8, 0
	s_cbranch_scc1 .LBB222_6
; %bb.4:
	s_mov_b64 s[8:9], src_private_base
	s_and_b32 s8, s2, exec_lo
	s_cselect_b32 s8, s9, s5
	s_delay_alu instid0(SALU_CYCLE_1) | instskip(SKIP_1) | instid1(VALU_DEP_1)
	v_dual_mov_b32 v1, 24 :: v_dual_mov_b32 v2, s8
	s_and_not1_b32 vcc_lo, exec_lo, s3
	v_cndmask_b32_e64 v1, s4, v1, s2
	flat_load_b64 v[3:4], v[1:2]
	v_dual_mov_b32 v1, s6 :: v_dual_mov_b32 v2, s7
	s_cbranch_vccnz .LBB222_6
; %bb.5:
	v_dual_mov_b32 v1, s4 :: v_dual_mov_b32 v2, s5
	flat_load_b64 v[1:2], v[1:2] offset:8
.LBB222_6:
	s_clause 0x5
	s_load_b64 s[12:13], s[0:1], 0x90
	s_load_b256 s[4:11], s[0:1], 0x68
	s_load_b128 s[28:31], s[0:1], 0x48
	s_load_b256 s[16:23], s[0:1], 0x28
	s_load_b128 s[36:39], s[0:1], 0x8
	s_load_b32 s33, s[0:1], 0x0
	v_cmp_gt_u32_e64 s0, 0x100, v0
	v_lshlrev_b32_e32 v27, 4, v0
	v_or_b32_e32 v25, 0xffffff80, v0
	v_lshl_add_u32 v26, v0, 2, 0
	s_delay_alu instid0(VALU_DEP_4)
	s_and_saveexec_b32 s1, s0
	s_cbranch_execz .LBB222_9
; %bb.7:
	s_mov_b32 s2, 0
	v_add3_u32 v13, v27, 0, 0x400
	s_mov_b32 s3, s2
	s_mov_b32 s40, s2
	;; [unrolled: 1-line block ×3, first 2 shown]
	v_dual_mov_b32 v10, s3 :: v_dual_mov_b32 v11, s40
	v_or_b32_e32 v14, 0xffffff80, v0
	v_lshl_add_u32 v15, v0, 2, 0
	s_waitcnt lgkmcnt(0)
	v_dual_mov_b32 v16, s33 :: v_dual_mov_b32 v9, s2
	v_mov_b32_e32 v12, s41
.LBB222_8:                              ; =>This Inner Loop Header: Depth=1
	v_add_co_u32 v14, s3, 0x80, v14
	s_delay_alu instid0(VALU_DEP_1)
	s_xor_b32 s3, s3, -1
	ds_store_b32 v15, v16
	ds_store_2addr_b64 v13, v[9:10], v[11:12] offset1:1
	v_add_nc_u32_e32 v13, 0x800, v13
	v_add_nc_u32_e32 v15, 0x200, v15
	s_and_b32 s3, exec_lo, s3
	s_delay_alu instid0(SALU_CYCLE_1) | instskip(NEXT) | instid1(SALU_CYCLE_1)
	s_or_b32 s2, s3, s2
	s_and_not1_b32 exec_lo, exec_lo, s2
	s_cbranch_execnz .LBB222_8
.LBB222_9:
	s_or_b32 exec_lo, exec_lo, s1
	s_waitcnt vmcnt(0) lgkmcnt(0)
	s_waitcnt_vscnt null, 0x0
	s_barrier
	buffer_gl0_inv
	s_load_b32 s1, s[36:37], 0x0
	s_mov_b32 s3, 0
	s_waitcnt lgkmcnt(0)
	s_add_i32 s2, s1, s15
	s_delay_alu instid0(SALU_CYCLE_1) | instskip(NEXT) | instid1(SALU_CYCLE_1)
	s_lshl_b64 s[2:3], s[2:3], 2
	s_add_u32 s2, s38, s2
	s_addc_u32 s3, s39, s3
	s_and_b32 vcc_lo, exec_lo, s35
	s_load_b32 s14, s[2:3], 0x0
	s_cbranch_vccz .LBB222_37
; %bb.10:
	s_waitcnt lgkmcnt(0)
	s_ashr_i32 s15, s14, 31
	v_lshrrev_b32_e32 v9, 4, v0
	s_lshl_b64 s[2:3], s[14:15], 3
	s_delay_alu instid0(SALU_CYCLE_1) | instskip(SKIP_1) | instid1(VALU_DEP_1)
	s_add_u32 s2, s16, s2
	s_addc_u32 s3, s17, s3
	v_sub_co_u32 v9, s1, v9, s24
	s_load_b128 s[36:39], s[2:3], 0x0
	v_sub_co_ci_u32_e64 v10, null, 0, 0, s1
	s_mov_b32 s1, exec_lo
	s_waitcnt lgkmcnt(0)
	v_add_co_u32 v9, vcc_lo, s36, v9
	s_delay_alu instid0(VALU_DEP_2)
	v_add_co_ci_u32_e32 v10, vcc_lo, s37, v10, vcc_lo
	s_sub_u32 s2, s38, s24
	s_subb_u32 s3, s39, 0
	s_delay_alu instid0(VALU_DEP_1) | instid1(SALU_CYCLE_1)
	v_cmpx_gt_i64_e64 s[2:3], v[9:10]
	s_cbranch_execz .LBB222_36
; %bb.11:
	v_and_b32_e32 v11, 15, v0
	s_mov_b32 s16, s25
	s_delay_alu instid0(VALU_DEP_1) | instskip(NEXT) | instid1(VALU_DEP_1)
	v_sub_co_u32 v28, s15, v11, s25
	v_sub_co_ci_u32_e64 v29, null, 0, 0, s15
	s_mov_b32 s15, 0
	s_branch .LBB222_13
.LBB222_12:                             ;   in Loop: Header=BB222_13 Depth=1
	s_or_b32 exec_lo, exec_lo, s17
	v_add_co_u32 v9, vcc_lo, v9, 8
	v_add_co_ci_u32_e32 v10, vcc_lo, 0, v10, vcc_lo
	s_delay_alu instid0(VALU_DEP_1) | instskip(SKIP_1) | instid1(SALU_CYCLE_1)
	v_cmp_le_i64_e32 vcc_lo, s[2:3], v[9:10]
	s_or_b32 s15, vcc_lo, s15
	s_and_not1_b32 exec_lo, exec_lo, s15
	s_cbranch_execz .LBB222_36
.LBB222_13:                             ; =>This Loop Header: Depth=1
                                        ;     Child Loop BB222_16 Depth 2
                                        ;       Child Loop BB222_18 Depth 3
                                        ;         Child Loop BB222_24 Depth 4
                                        ;         Child Loop BB222_26 Depth 4
	;; [unrolled: 1-line block ×4, first 2 shown]
	v_lshlrev_b64 v[11:12], 2, v[9:10]
	s_mov_b32 s17, exec_lo
	s_delay_alu instid0(VALU_DEP_1) | instskip(NEXT) | instid1(VALU_DEP_2)
	v_add_co_u32 v11, vcc_lo, s18, v11
	v_add_co_ci_u32_e32 v12, vcc_lo, s19, v12, vcc_lo
	global_load_b32 v11, v[11:12], off
	s_waitcnt vmcnt(0)
	v_subrev_nc_u32_e32 v11, s24, v11
	s_delay_alu instid0(VALU_DEP_1) | instskip(NEXT) | instid1(VALU_DEP_1)
	v_ashrrev_i32_e32 v12, 31, v11
	v_lshlrev_b64 v[11:12], 3, v[11:12]
	s_delay_alu instid0(VALU_DEP_1) | instskip(NEXT) | instid1(VALU_DEP_2)
	v_add_co_u32 v11, vcc_lo, s22, v11
	v_add_co_ci_u32_e32 v12, vcc_lo, s23, v12, vcc_lo
	global_load_b128 v[13:16], v[11:12], off
	s_waitcnt vmcnt(0)
	v_sub_co_u32 v11, vcc_lo, v15, s16
	v_subrev_co_ci_u32_e32 v12, vcc_lo, 0, v16, vcc_lo
	v_add_co_u32 v13, vcc_lo, v13, v28
	v_add_co_ci_u32_e32 v14, vcc_lo, v14, v29, vcc_lo
	s_delay_alu instid0(VALU_DEP_1)
	v_cmpx_lt_i64_e64 v[13:14], v[11:12]
	s_cbranch_execz .LBB222_12
; %bb.14:                               ;   in Loop: Header=BB222_13 Depth=1
	v_lshlrev_b64 v[15:16], 4, v[9:10]
	s_mov_b32 s35, 0
	s_delay_alu instid0(VALU_DEP_1) | instskip(NEXT) | instid1(VALU_DEP_2)
	v_add_co_u32 v15, vcc_lo, s20, v15
	v_add_co_ci_u32_e32 v16, vcc_lo, s21, v16, vcc_lo
	global_load_b128 v[17:20], v[15:16], off
	s_waitcnt vmcnt(0)
	v_mul_f64 v[15:16], v[19:20], -v[7:8]
	v_mul_f64 v[19:20], v[5:6], v[19:20]
	s_delay_alu instid0(VALU_DEP_2) | instskip(NEXT) | instid1(VALU_DEP_2)
	v_fma_f64 v[15:16], v[5:6], v[17:18], v[15:16]
	v_fma_f64 v[17:18], v[7:8], v[17:18], v[19:20]
	s_branch .LBB222_16
.LBB222_15:                             ;   in Loop: Header=BB222_16 Depth=2
	s_or_b32 exec_lo, exec_lo, s36
	v_add_co_u32 v13, vcc_lo, v13, 16
	v_add_co_ci_u32_e32 v14, vcc_lo, 0, v14, vcc_lo
	s_delay_alu instid0(VALU_DEP_1) | instskip(SKIP_1) | instid1(SALU_CYCLE_1)
	v_cmp_ge_i64_e32 vcc_lo, v[13:14], v[11:12]
	s_or_b32 s35, vcc_lo, s35
	s_and_not1_b32 exec_lo, exec_lo, s35
	s_cbranch_execz .LBB222_12
.LBB222_16:                             ;   Parent Loop BB222_13 Depth=1
                                        ; =>  This Loop Header: Depth=2
                                        ;       Child Loop BB222_18 Depth 3
                                        ;         Child Loop BB222_24 Depth 4
                                        ;         Child Loop BB222_26 Depth 4
                                        ;         Child Loop BB222_32 Depth 4
                                        ;         Child Loop BB222_34 Depth 4
	v_lshlrev_b64 v[19:20], 4, v[13:14]
	s_mov_b32 s36, 0
	s_delay_alu instid0(VALU_DEP_1) | instskip(NEXT) | instid1(VALU_DEP_2)
	v_add_co_u32 v19, vcc_lo, s30, v19
	v_add_co_ci_u32_e32 v20, vcc_lo, s31, v20, vcc_lo
	global_load_b128 v[21:24], v[19:20], off
	v_lshlrev_b64 v[19:20], 2, v[13:14]
	s_delay_alu instid0(VALU_DEP_1) | instskip(NEXT) | instid1(VALU_DEP_2)
	v_add_co_u32 v19, vcc_lo, s28, v19
	v_add_co_ci_u32_e32 v20, vcc_lo, s29, v20, vcc_lo
	global_load_b32 v30, v[19:20], off
	s_waitcnt vmcnt(1)
	v_mul_f64 v[19:20], v[23:24], -v[17:18]
	v_mul_f64 v[23:24], v[15:16], v[23:24]
	s_waitcnt vmcnt(0)
	v_subrev_nc_u32_e32 v30, s25, v30
	s_delay_alu instid0(VALU_DEP_3) | instskip(NEXT) | instid1(VALU_DEP_3)
	v_fma_f64 v[19:20], v[15:16], v[21:22], v[19:20]
	v_fma_f64 v[21:22], v[17:18], v[21:22], v[23:24]
	s_delay_alu instid0(VALU_DEP_3) | instskip(NEXT) | instid1(VALU_DEP_1)
	v_mul_lo_u32 v23, 0x89, v30
	v_and_b32_e32 v31, 0xff, v23
	s_branch .LBB222_18
.LBB222_17:                             ;   in Loop: Header=BB222_18 Depth=3
	s_or_b32 exec_lo, exec_lo, s37
	s_xor_b32 s37, s38, -1
	s_delay_alu instid0(SALU_CYCLE_1) | instskip(NEXT) | instid1(SALU_CYCLE_1)
	s_and_b32 s37, exec_lo, s37
	s_or_b32 s36, s37, s36
	s_delay_alu instid0(SALU_CYCLE_1)
	s_and_not1_b32 exec_lo, exec_lo, s36
	s_cbranch_execz .LBB222_15
.LBB222_18:                             ;   Parent Loop BB222_13 Depth=1
                                        ;     Parent Loop BB222_16 Depth=2
                                        ; =>    This Loop Header: Depth=3
                                        ;         Child Loop BB222_24 Depth 4
                                        ;         Child Loop BB222_26 Depth 4
	;; [unrolled: 1-line block ×4, first 2 shown]
	s_delay_alu instid0(VALU_DEP_1)
	v_lshl_add_u32 v23, v31, 2, 0
	s_mov_b32 s37, exec_lo
                                        ; implicit-def: $sgpr38
	ds_load_b32 v24, v23
	s_waitcnt lgkmcnt(0)
	v_cmpx_ne_u32_e64 v24, v30
	s_xor_b32 s37, exec_lo, s37
	s_cbranch_execz .LBB222_30
; %bb.19:                               ;   in Loop: Header=BB222_18 Depth=3
	s_mov_b32 s39, exec_lo
                                        ; implicit-def: $sgpr38
	v_cmpx_ne_u32_e64 s33, v24
	s_xor_b32 s39, exec_lo, s39
; %bb.20:                               ;   in Loop: Header=BB222_18 Depth=3
	v_add_nc_u32_e32 v23, 1, v31
	s_mov_b32 s38, -1
	s_delay_alu instid0(VALU_DEP_1)
	v_and_b32_e32 v31, 0xff, v23
                                        ; implicit-def: $vgpr23
; %bb.21:                               ;   in Loop: Header=BB222_18 Depth=3
	s_and_not1_saveexec_b32 s39, s39
	s_cbranch_execz .LBB222_29
; %bb.22:                               ;   in Loop: Header=BB222_18 Depth=3
	v_mov_b32_e32 v24, s33
	s_mov_b32 s41, -1
	s_mov_b32 s40, exec_lo
	ds_cmpstore_rtn_b32 v24, v23, v30, v24
	s_waitcnt lgkmcnt(0)
	v_cmpx_eq_u32_e64 s33, v24
	s_cbranch_execz .LBB222_28
; %bb.23:                               ;   in Loop: Header=BB222_18 Depth=3
	v_mul_lo_u32 v24, v31, 12
	s_mov_b32 s41, 0
	s_delay_alu instid0(VALU_DEP_1)
	v_add_nc_u32_e32 v32, v23, v24
	ds_load_b64 v[23:24], v32 offset:1024
.LBB222_24:                             ;   Parent Loop BB222_13 Depth=1
                                        ;     Parent Loop BB222_16 Depth=2
                                        ;       Parent Loop BB222_18 Depth=3
                                        ; =>      This Inner Loop Header: Depth=4
	s_waitcnt lgkmcnt(0)
	v_add_f64 v[33:34], v[23:24], v[19:20]
	ds_cmpstore_rtn_b64 v[33:34], v32, v[33:34], v[23:24] offset:1024
	s_waitcnt lgkmcnt(0)
	v_cmp_eq_u64_e32 vcc_lo, v[33:34], v[23:24]
	v_dual_mov_b32 v23, v33 :: v_dual_mov_b32 v24, v34
	s_or_b32 s41, vcc_lo, s41
	s_delay_alu instid0(SALU_CYCLE_1)
	s_and_not1_b32 exec_lo, exec_lo, s41
	s_cbranch_execnz .LBB222_24
; %bb.25:                               ;   in Loop: Header=BB222_18 Depth=3
	s_or_b32 exec_lo, exec_lo, s41
	ds_load_b64 v[23:24], v32 offset:1032
	s_mov_b32 s41, 0
.LBB222_26:                             ;   Parent Loop BB222_13 Depth=1
                                        ;     Parent Loop BB222_16 Depth=2
                                        ;       Parent Loop BB222_18 Depth=3
                                        ; =>      This Inner Loop Header: Depth=4
	s_waitcnt lgkmcnt(0)
	v_add_f64 v[33:34], v[23:24], v[21:22]
	ds_cmpstore_rtn_b64 v[33:34], v32, v[33:34], v[23:24] offset:1032
	s_waitcnt lgkmcnt(0)
	v_cmp_eq_u64_e32 vcc_lo, v[33:34], v[23:24]
	v_dual_mov_b32 v23, v33 :: v_dual_mov_b32 v24, v34
	s_or_b32 s41, vcc_lo, s41
	s_delay_alu instid0(SALU_CYCLE_1)
	s_and_not1_b32 exec_lo, exec_lo, s41
	s_cbranch_execnz .LBB222_26
; %bb.27:                               ;   in Loop: Header=BB222_18 Depth=3
	s_or_b32 exec_lo, exec_lo, s41
	s_delay_alu instid0(SALU_CYCLE_1)
	s_xor_b32 s41, exec_lo, -1
.LBB222_28:                             ;   in Loop: Header=BB222_18 Depth=3
	s_or_b32 exec_lo, exec_lo, s40
	s_delay_alu instid0(SALU_CYCLE_1) | instskip(SKIP_1) | instid1(SALU_CYCLE_1)
	s_and_not1_b32 s38, s38, exec_lo
	s_and_b32 s40, s41, exec_lo
	s_or_b32 s38, s38, s40
.LBB222_29:                             ;   in Loop: Header=BB222_18 Depth=3
	s_or_b32 exec_lo, exec_lo, s39
	s_delay_alu instid0(SALU_CYCLE_1)
	s_and_b32 s38, s38, exec_lo
                                        ; implicit-def: $vgpr23
.LBB222_30:                             ;   in Loop: Header=BB222_18 Depth=3
	s_and_not1_saveexec_b32 s37, s37
	s_cbranch_execz .LBB222_17
; %bb.31:                               ;   in Loop: Header=BB222_18 Depth=3
	v_mul_lo_u32 v24, v31, 12
	s_mov_b32 s39, 0
	s_delay_alu instid0(VALU_DEP_1)
	v_add_nc_u32_e32 v32, v23, v24
	ds_load_b64 v[23:24], v32 offset:1024
.LBB222_32:                             ;   Parent Loop BB222_13 Depth=1
                                        ;     Parent Loop BB222_16 Depth=2
                                        ;       Parent Loop BB222_18 Depth=3
                                        ; =>      This Inner Loop Header: Depth=4
	s_waitcnt lgkmcnt(0)
	v_add_f64 v[33:34], v[23:24], v[19:20]
	ds_cmpstore_rtn_b64 v[33:34], v32, v[33:34], v[23:24] offset:1024
	s_waitcnt lgkmcnt(0)
	v_cmp_eq_u64_e32 vcc_lo, v[33:34], v[23:24]
	v_dual_mov_b32 v23, v33 :: v_dual_mov_b32 v24, v34
	s_or_b32 s39, vcc_lo, s39
	s_delay_alu instid0(SALU_CYCLE_1)
	s_and_not1_b32 exec_lo, exec_lo, s39
	s_cbranch_execnz .LBB222_32
; %bb.33:                               ;   in Loop: Header=BB222_18 Depth=3
	s_or_b32 exec_lo, exec_lo, s39
	ds_load_b64 v[23:24], v32 offset:1032
	s_mov_b32 s39, 0
.LBB222_34:                             ;   Parent Loop BB222_13 Depth=1
                                        ;     Parent Loop BB222_16 Depth=2
                                        ;       Parent Loop BB222_18 Depth=3
                                        ; =>      This Inner Loop Header: Depth=4
	s_waitcnt lgkmcnt(0)
	v_add_f64 v[33:34], v[23:24], v[21:22]
	ds_cmpstore_rtn_b64 v[33:34], v32, v[33:34], v[23:24] offset:1032
	s_waitcnt lgkmcnt(0)
	v_cmp_eq_u64_e32 vcc_lo, v[33:34], v[23:24]
	v_dual_mov_b32 v23, v33 :: v_dual_mov_b32 v24, v34
	s_or_b32 s39, vcc_lo, s39
	s_delay_alu instid0(SALU_CYCLE_1)
	s_and_not1_b32 exec_lo, exec_lo, s39
	s_cbranch_execnz .LBB222_34
; %bb.35:                               ;   in Loop: Header=BB222_18 Depth=3
	s_or_b32 exec_lo, exec_lo, s39
	s_delay_alu instid0(SALU_CYCLE_1)
	s_and_not1_b32 s38, s38, exec_lo
	s_branch .LBB222_17
.LBB222_36:
	s_or_b32 exec_lo, exec_lo, s1
.LBB222_37:
	s_delay_alu instid0(SALU_CYCLE_1)
	s_and_not1_b32 vcc_lo, exec_lo, s34
	s_cbranch_vccnz .LBB222_40
; %bb.38:
	s_waitcnt lgkmcnt(0)
	s_ashr_i32 s15, s14, 31
	v_sub_co_u32 v5, s1, v0, s27
	s_lshl_b64 s[2:3], s[14:15], 3
	v_sub_co_ci_u32_e64 v6, null, 0, 0, s1
	s_add_u32 s2, s4, s2
	s_addc_u32 s3, s5, s3
	s_mov_b32 s4, 0
	s_load_b128 s[16:19], s[2:3], 0x0
	s_mov_b32 s1, exec_lo
	s_waitcnt lgkmcnt(0)
	v_add_co_u32 v5, vcc_lo, s16, v5
	v_add_co_ci_u32_e32 v6, vcc_lo, s17, v6, vcc_lo
	s_sub_u32 s2, s18, s27
	s_subb_u32 s3, s19, 0
	s_delay_alu instid0(VALU_DEP_1) | instid1(SALU_CYCLE_1)
	v_cmpx_gt_i64_e64 s[2:3], v[5:6]
	s_cbranch_execnz .LBB222_54
.LBB222_39:
	s_or_b32 exec_lo, exec_lo, s1
.LBB222_40:
	s_waitcnt lgkmcnt(0)
	s_barrier
	buffer_gl0_inv
	s_and_saveexec_b32 s4, s0
	s_cbranch_execz .LBB222_74
; %bb.41:
	v_mbcnt_lo_u32_b32 v1, -1, 0
	v_lshrrev_b32_e32 v2, 3, v0
	v_cmp_eq_u32_e32 vcc_lo, 0x7f, v0
	v_cmp_lt_u32_e64 s0, 31, v0
	v_cmp_lt_u32_e64 s1, 63, v0
	v_xor_b32_e32 v1, 63, v1
	v_dual_mov_b32 v5, 0 :: v_dual_and_b32 v4, 12, v2
	v_cmp_lt_u32_e64 s2, 0x5f, v0
	v_add3_u32 v3, v27, 0, 0x400
	s_delay_alu instid0(VALU_DEP_4) | instskip(NEXT) | instid1(VALU_DEP_4)
	v_lshrrev_b64 v[1:2], v1, -1
	v_add_nc_u32_e32 v2, 0, v4
	v_mov_b32_e32 v4, 0
	s_mov_b32 s5, 0
	s_branch .LBB222_43
.LBB222_42:                             ;   in Loop: Header=BB222_43 Depth=1
	s_or_b32 exec_lo, exec_lo, s3
	s_waitcnt lgkmcnt(0)
	s_barrier
	buffer_gl0_inv
	ds_load_b32 v6, v4 offset:5132
	v_add_co_u32 v25, s3, 0x80, v25
	s_delay_alu instid0(VALU_DEP_1) | instskip(SKIP_3) | instid1(SALU_CYCLE_1)
	s_xor_b32 s3, s3, -1
	v_add_nc_u32_e32 v3, 0x800, v3
	v_add_nc_u32_e32 v26, 0x200, v26
	s_and_b32 s3, exec_lo, s3
	s_or_b32 s5, s3, s5
	s_waitcnt lgkmcnt(0)
	v_add_nc_u32_e32 v5, v6, v5
	s_and_not1_b32 exec_lo, exec_lo, s5
	s_cbranch_execz .LBB222_74
.LBB222_43:                             ; =>This Inner Loop Header: Depth=1
	ds_load_b32 v6, v26
	ds_load_2addr_b64 v[7:10], v3 offset1:1
	s_waitcnt lgkmcnt(1)
	v_cmp_gt_i32_e64 s3, s33, v6
	s_waitcnt lgkmcnt(0)
	scratch_store_b128 off, v[7:10], off
	s_waitcnt_vscnt null, 0x0
	s_barrier
	buffer_gl0_inv
	s_bcnt1_i32_b32 s6, s3
	s_delay_alu instid0(SALU_CYCLE_1) | instskip(NEXT) | instid1(VALU_DEP_1)
	v_dual_mov_b32 v8, s6 :: v_dual_and_b32 v7, s3, v1
	v_bcnt_u32_b32 v7, v7, 0
	ds_store_b32 v2, v8 offset:5120
	s_waitcnt lgkmcnt(0)
	s_barrier
	buffer_gl0_inv
	s_and_saveexec_b32 s6, s0
	s_cbranch_execnz .LBB222_48
; %bb.44:                               ;   in Loop: Header=BB222_43 Depth=1
	s_or_b32 exec_lo, exec_lo, s6
	s_and_saveexec_b32 s6, s1
	s_cbranch_execnz .LBB222_49
.LBB222_45:                             ;   in Loop: Header=BB222_43 Depth=1
	s_or_b32 exec_lo, exec_lo, s6
	s_and_saveexec_b32 s6, s2
	s_cbranch_execnz .LBB222_50
.LBB222_46:                             ;   in Loop: Header=BB222_43 Depth=1
	s_or_b32 exec_lo, exec_lo, s6
	s_and_saveexec_b32 s6, s3
	s_cbranch_execnz .LBB222_51
.LBB222_47:                             ;   in Loop: Header=BB222_43 Depth=1
	s_or_b32 exec_lo, exec_lo, s6
	s_and_saveexec_b32 s3, vcc_lo
	s_cbranch_execz .LBB222_42
	s_branch .LBB222_52
.LBB222_48:                             ;   in Loop: Header=BB222_43 Depth=1
	ds_load_b32 v8, v4 offset:5120
	s_waitcnt lgkmcnt(0)
	v_add_nc_u32_e32 v7, v8, v7
	s_or_b32 exec_lo, exec_lo, s6
	s_and_saveexec_b32 s6, s1
	s_cbranch_execz .LBB222_45
.LBB222_49:                             ;   in Loop: Header=BB222_43 Depth=1
	ds_load_b32 v8, v4 offset:5124
	s_waitcnt lgkmcnt(0)
	v_add_nc_u32_e32 v7, v8, v7
	s_or_b32 exec_lo, exec_lo, s6
	s_and_saveexec_b32 s6, s2
	s_cbranch_execz .LBB222_46
.LBB222_50:                             ;   in Loop: Header=BB222_43 Depth=1
	ds_load_b32 v8, v4 offset:5128
	s_waitcnt lgkmcnt(0)
	v_add_nc_u32_e32 v7, v8, v7
	s_or_b32 exec_lo, exec_lo, s6
	s_and_saveexec_b32 s6, s3
	s_cbranch_execz .LBB222_47
.LBB222_51:                             ;   in Loop: Header=BB222_43 Depth=1
	scratch_load_b128 v[8:11], off, off
	v_add3_u32 v12, v5, -1, v7
	s_delay_alu instid0(VALU_DEP_1)
	v_lshl_add_u32 v13, v12, 2, 0
	v_lshl_add_u32 v12, v12, 4, 0
	ds_store_b32 v13, v6
	s_waitcnt vmcnt(0)
	ds_store_2addr_b64 v12, v[8:9], v[10:11] offset0:128 offset1:129
	s_or_b32 exec_lo, exec_lo, s6
	s_and_saveexec_b32 s3, vcc_lo
	s_cbranch_execz .LBB222_42
.LBB222_52:                             ;   in Loop: Header=BB222_43 Depth=1
	ds_store_b32 v4, v7 offset:5132
	s_branch .LBB222_42
.LBB222_53:                             ;   in Loop: Header=BB222_54 Depth=1
	s_or_b32 exec_lo, exec_lo, s5
	v_add_co_u32 v5, vcc_lo, 0x80, v5
	v_add_co_ci_u32_e32 v6, vcc_lo, 0, v6, vcc_lo
	s_delay_alu instid0(VALU_DEP_1) | instskip(SKIP_1) | instid1(SALU_CYCLE_1)
	v_cmp_le_i64_e32 vcc_lo, s[2:3], v[5:6]
	s_or_b32 s4, vcc_lo, s4
	s_and_not1_b32 exec_lo, exec_lo, s4
	s_cbranch_execz .LBB222_39
.LBB222_54:                             ; =>This Loop Header: Depth=1
                                        ;     Child Loop BB222_56 Depth 2
                                        ;       Child Loop BB222_62 Depth 3
                                        ;       Child Loop BB222_64 Depth 3
	;; [unrolled: 1-line block ×4, first 2 shown]
	v_lshlrev_b64 v[7:8], 4, v[5:6]
	s_mov_b32 s5, 0
	s_delay_alu instid0(VALU_DEP_1) | instskip(NEXT) | instid1(VALU_DEP_2)
	v_add_co_u32 v7, vcc_lo, s8, v7
	v_add_co_ci_u32_e32 v8, vcc_lo, s9, v8, vcc_lo
	global_load_b128 v[9:12], v[7:8], off
	v_lshlrev_b64 v[7:8], 2, v[5:6]
	s_delay_alu instid0(VALU_DEP_1) | instskip(NEXT) | instid1(VALU_DEP_2)
	v_add_co_u32 v7, vcc_lo, s6, v7
	v_add_co_ci_u32_e32 v8, vcc_lo, s7, v8, vcc_lo
	global_load_b32 v13, v[7:8], off
	s_waitcnt vmcnt(1)
	v_mul_f64 v[7:8], v[11:12], -v[1:2]
	v_mul_f64 v[11:12], v[3:4], v[11:12]
	s_waitcnt vmcnt(0)
	v_subrev_nc_u32_e32 v13, s27, v13
	s_delay_alu instid0(VALU_DEP_3) | instskip(NEXT) | instid1(VALU_DEP_3)
	v_fma_f64 v[7:8], v[3:4], v[9:10], v[7:8]
	v_fma_f64 v[9:10], v[1:2], v[9:10], v[11:12]
	s_delay_alu instid0(VALU_DEP_3) | instskip(NEXT) | instid1(VALU_DEP_1)
	v_mul_lo_u32 v11, 0x89, v13
	v_and_b32_e32 v14, 0xff, v11
	s_branch .LBB222_56
.LBB222_55:                             ;   in Loop: Header=BB222_56 Depth=2
	s_or_b32 exec_lo, exec_lo, s15
	s_xor_b32 s15, s16, -1
	s_delay_alu instid0(SALU_CYCLE_1) | instskip(NEXT) | instid1(SALU_CYCLE_1)
	s_and_b32 s15, exec_lo, s15
	s_or_b32 s5, s15, s5
	s_delay_alu instid0(SALU_CYCLE_1)
	s_and_not1_b32 exec_lo, exec_lo, s5
	s_cbranch_execz .LBB222_53
.LBB222_56:                             ;   Parent Loop BB222_54 Depth=1
                                        ; =>  This Loop Header: Depth=2
                                        ;       Child Loop BB222_62 Depth 3
                                        ;       Child Loop BB222_64 Depth 3
	;; [unrolled: 1-line block ×4, first 2 shown]
	s_delay_alu instid0(VALU_DEP_1)
	v_lshl_add_u32 v11, v14, 2, 0
	s_mov_b32 s15, exec_lo
                                        ; implicit-def: $sgpr16
	ds_load_b32 v12, v11
	s_waitcnt lgkmcnt(0)
	v_cmpx_ne_u32_e64 v12, v13
	s_xor_b32 s15, exec_lo, s15
	s_cbranch_execz .LBB222_68
; %bb.57:                               ;   in Loop: Header=BB222_56 Depth=2
	s_mov_b32 s17, exec_lo
                                        ; implicit-def: $sgpr16
	v_cmpx_ne_u32_e64 s33, v12
	s_xor_b32 s17, exec_lo, s17
; %bb.58:                               ;   in Loop: Header=BB222_56 Depth=2
	v_add_nc_u32_e32 v11, 1, v14
	s_mov_b32 s16, -1
	s_delay_alu instid0(VALU_DEP_1)
	v_and_b32_e32 v14, 0xff, v11
                                        ; implicit-def: $vgpr11
; %bb.59:                               ;   in Loop: Header=BB222_56 Depth=2
	s_and_not1_saveexec_b32 s17, s17
	s_cbranch_execz .LBB222_67
; %bb.60:                               ;   in Loop: Header=BB222_56 Depth=2
	v_mov_b32_e32 v12, s33
	s_mov_b32 s19, -1
	s_mov_b32 s18, exec_lo
	ds_cmpstore_rtn_b32 v12, v11, v13, v12
	s_waitcnt lgkmcnt(0)
	v_cmpx_eq_u32_e64 s33, v12
	s_cbranch_execz .LBB222_66
; %bb.61:                               ;   in Loop: Header=BB222_56 Depth=2
	v_mul_lo_u32 v12, v14, 12
	s_mov_b32 s19, 0
	s_delay_alu instid0(VALU_DEP_1)
	v_add_nc_u32_e32 v15, v11, v12
	ds_load_b64 v[11:12], v15 offset:1024
.LBB222_62:                             ;   Parent Loop BB222_54 Depth=1
                                        ;     Parent Loop BB222_56 Depth=2
                                        ; =>    This Inner Loop Header: Depth=3
	s_waitcnt lgkmcnt(0)
	v_add_f64 v[16:17], v[11:12], v[7:8]
	ds_cmpstore_rtn_b64 v[16:17], v15, v[16:17], v[11:12] offset:1024
	s_waitcnt lgkmcnt(0)
	v_cmp_eq_u64_e32 vcc_lo, v[16:17], v[11:12]
	v_dual_mov_b32 v11, v16 :: v_dual_mov_b32 v12, v17
	s_or_b32 s19, vcc_lo, s19
	s_delay_alu instid0(SALU_CYCLE_1)
	s_and_not1_b32 exec_lo, exec_lo, s19
	s_cbranch_execnz .LBB222_62
; %bb.63:                               ;   in Loop: Header=BB222_56 Depth=2
	s_or_b32 exec_lo, exec_lo, s19
	ds_load_b64 v[11:12], v15 offset:1032
	s_mov_b32 s19, 0
.LBB222_64:                             ;   Parent Loop BB222_54 Depth=1
                                        ;     Parent Loop BB222_56 Depth=2
                                        ; =>    This Inner Loop Header: Depth=3
	s_waitcnt lgkmcnt(0)
	v_add_f64 v[16:17], v[11:12], v[9:10]
	ds_cmpstore_rtn_b64 v[16:17], v15, v[16:17], v[11:12] offset:1032
	s_waitcnt lgkmcnt(0)
	v_cmp_eq_u64_e32 vcc_lo, v[16:17], v[11:12]
	v_dual_mov_b32 v11, v16 :: v_dual_mov_b32 v12, v17
	s_or_b32 s19, vcc_lo, s19
	s_delay_alu instid0(SALU_CYCLE_1)
	s_and_not1_b32 exec_lo, exec_lo, s19
	s_cbranch_execnz .LBB222_64
; %bb.65:                               ;   in Loop: Header=BB222_56 Depth=2
	s_or_b32 exec_lo, exec_lo, s19
	s_delay_alu instid0(SALU_CYCLE_1)
	s_xor_b32 s19, exec_lo, -1
.LBB222_66:                             ;   in Loop: Header=BB222_56 Depth=2
	s_or_b32 exec_lo, exec_lo, s18
	s_delay_alu instid0(SALU_CYCLE_1) | instskip(SKIP_1) | instid1(SALU_CYCLE_1)
	s_and_not1_b32 s16, s16, exec_lo
	s_and_b32 s18, s19, exec_lo
	s_or_b32 s16, s16, s18
.LBB222_67:                             ;   in Loop: Header=BB222_56 Depth=2
	s_or_b32 exec_lo, exec_lo, s17
	s_delay_alu instid0(SALU_CYCLE_1)
	s_and_b32 s16, s16, exec_lo
                                        ; implicit-def: $vgpr11
.LBB222_68:                             ;   in Loop: Header=BB222_56 Depth=2
	s_and_not1_saveexec_b32 s15, s15
	s_cbranch_execz .LBB222_55
; %bb.69:                               ;   in Loop: Header=BB222_56 Depth=2
	v_mul_lo_u32 v12, v14, 12
	s_mov_b32 s17, 0
	s_delay_alu instid0(VALU_DEP_1)
	v_add_nc_u32_e32 v15, v11, v12
	ds_load_b64 v[11:12], v15 offset:1024
.LBB222_70:                             ;   Parent Loop BB222_54 Depth=1
                                        ;     Parent Loop BB222_56 Depth=2
                                        ; =>    This Inner Loop Header: Depth=3
	s_waitcnt lgkmcnt(0)
	v_add_f64 v[16:17], v[11:12], v[7:8]
	ds_cmpstore_rtn_b64 v[16:17], v15, v[16:17], v[11:12] offset:1024
	s_waitcnt lgkmcnt(0)
	v_cmp_eq_u64_e32 vcc_lo, v[16:17], v[11:12]
	v_dual_mov_b32 v11, v16 :: v_dual_mov_b32 v12, v17
	s_or_b32 s17, vcc_lo, s17
	s_delay_alu instid0(SALU_CYCLE_1)
	s_and_not1_b32 exec_lo, exec_lo, s17
	s_cbranch_execnz .LBB222_70
; %bb.71:                               ;   in Loop: Header=BB222_56 Depth=2
	s_or_b32 exec_lo, exec_lo, s17
	ds_load_b64 v[11:12], v15 offset:1032
	s_mov_b32 s17, 0
.LBB222_72:                             ;   Parent Loop BB222_54 Depth=1
                                        ;     Parent Loop BB222_56 Depth=2
                                        ; =>    This Inner Loop Header: Depth=3
	s_waitcnt lgkmcnt(0)
	v_add_f64 v[16:17], v[11:12], v[9:10]
	ds_cmpstore_rtn_b64 v[16:17], v15, v[16:17], v[11:12] offset:1032
	s_waitcnt lgkmcnt(0)
	v_cmp_eq_u64_e32 vcc_lo, v[16:17], v[11:12]
	v_dual_mov_b32 v11, v16 :: v_dual_mov_b32 v12, v17
	s_or_b32 s17, vcc_lo, s17
	s_delay_alu instid0(SALU_CYCLE_1)
	s_and_not1_b32 exec_lo, exec_lo, s17
	s_cbranch_execnz .LBB222_72
; %bb.73:                               ;   in Loop: Header=BB222_56 Depth=2
	s_or_b32 exec_lo, exec_lo, s17
	s_delay_alu instid0(SALU_CYCLE_1)
	s_and_not1_b32 s16, s16, exec_lo
	s_branch .LBB222_55
.LBB222_74:
	s_or_b32 exec_lo, exec_lo, s4
	s_ashr_i32 s15, s14, 31
	s_mov_b32 s4, exec_lo
	s_lshl_b64 s[0:1], s[14:15], 3
	s_delay_alu instid0(SALU_CYCLE_1) | instskip(SKIP_4) | instid1(SALU_CYCLE_1)
	s_add_u32 s0, s10, s0
	s_addc_u32 s1, s11, s1
	s_load_b128 s[0:3], s[0:1], 0x0
	s_waitcnt lgkmcnt(0)
	s_sub_i32 s3, s2, s0
	v_cmpx_gt_i32_e64 s3, v0
	s_cbranch_execz .LBB222_84
; %bb.75:
	s_sub_u32 s4, s0, s26
	s_subb_u32 s5, s1, 0
	s_sub_i32 s0, s0, s2
	s_and_b32 s1, s3, 7
	s_cmp_lt_u32 s0, -7
	s_mov_b32 s8, 0
	s_cselect_b32 s2, -1, 0
	s_and_b32 s6, s3, -8
	s_cmp_lg_u32 s1, 0
	s_cselect_b32 s7, -1, 0
	s_branch .LBB222_77
.LBB222_76:                             ;   in Loop: Header=BB222_77 Depth=1
	s_waitcnt lgkmcnt(0)
	v_mad_u64_u32 v[4:5], null, v0, 12, v[1:2]
	v_lshlrev_b64 v[1:2], 4, v[2:3]
	v_add_nc_u32_e32 v0, 0x80, v0
	s_delay_alu instid0(VALU_DEP_1) | instskip(SKIP_2) | instid1(VALU_DEP_1)
	v_cmp_le_i32_e32 vcc_lo, s3, v0
	ds_load_2addr_b64 v[4:7], v4 offset0:128 offset1:129
	v_add_co_u32 v1, s0, s12, v1
	v_add_co_ci_u32_e64 v2, s0, s13, v2, s0
	s_or_b32 s8, vcc_lo, s8
	s_waitcnt lgkmcnt(0)
	global_store_b128 v[1:2], v[4:7], off
	s_and_not1_b32 exec_lo, exec_lo, s8
	s_cbranch_execz .LBB222_84
.LBB222_77:                             ; =>This Loop Header: Depth=1
                                        ;     Child Loop BB222_79 Depth 2
                                        ;     Child Loop BB222_83 Depth 2
	v_lshl_add_u32 v1, v0, 2, 0
	v_dual_mov_b32 v2, s4 :: v_dual_mov_b32 v3, s5
	s_and_not1_b32 vcc_lo, exec_lo, s2
	s_mov_b32 s0, 0
	ds_load_b32 v4, v1
	s_cbranch_vccnz .LBB222_81
; %bb.78:                               ;   in Loop: Header=BB222_77 Depth=1
	v_dual_mov_b32 v2, s4 :: v_dual_mov_b32 v3, s5
	s_mov_b32 s9, 0
	s_mov_b32 s10, 0
.LBB222_79:                             ;   Parent Loop BB222_77 Depth=1
                                        ; =>  This Inner Loop Header: Depth=2
	s_delay_alu instid0(SALU_CYCLE_1)
	v_mov_b32_e32 v11, s10
	s_add_i32 s9, s9, 8
	s_add_i32 s10, s10, 32
	s_cmp_eq_u32 s6, s9
	ds_load_2addr_b32 v[5:6], v11 offset1:1
	ds_load_2addr_b32 v[7:8], v11 offset0:2 offset1:3
	ds_load_2addr_b32 v[9:10], v11 offset0:4 offset1:5
	ds_load_2addr_b32 v[11:12], v11 offset0:6 offset1:7
	s_waitcnt lgkmcnt(3)
	v_cmp_gt_i32_e32 vcc_lo, v4, v5
	v_cndmask_b32_e64 v5, 0, 1, vcc_lo
	v_cmp_gt_i32_e32 vcc_lo, v4, v6
	v_cndmask_b32_e64 v6, 0, 1, vcc_lo
	s_waitcnt lgkmcnt(2)
	v_cmp_gt_i32_e32 vcc_lo, v4, v7
	v_cndmask_b32_e64 v7, 0, 1, vcc_lo
	v_cmp_gt_i32_e32 vcc_lo, v4, v8
	v_cndmask_b32_e64 v8, 0, 1, vcc_lo
	s_waitcnt lgkmcnt(1)
	v_cmp_gt_i32_e32 vcc_lo, v4, v9
	v_cndmask_b32_e64 v9, 0, 1, vcc_lo
	v_add_co_u32 v2, vcc_lo, v2, v5
	v_add_co_ci_u32_e32 v3, vcc_lo, 0, v3, vcc_lo
	v_cmp_gt_i32_e32 vcc_lo, v4, v10
	s_delay_alu instid0(VALU_DEP_3) | instskip(NEXT) | instid1(VALU_DEP_1)
	v_add_co_u32 v2, s0, v2, v6
	v_add_co_ci_u32_e64 v3, s0, 0, v3, s0
	v_cndmask_b32_e64 v5, 0, 1, vcc_lo
	s_delay_alu instid0(VALU_DEP_3) | instskip(NEXT) | instid1(VALU_DEP_3)
	v_add_co_u32 v2, vcc_lo, v2, v7
	v_add_co_ci_u32_e32 v3, vcc_lo, 0, v3, vcc_lo
	s_waitcnt lgkmcnt(0)
	v_cmp_gt_i32_e32 vcc_lo, v4, v11
	s_delay_alu instid0(VALU_DEP_3) | instskip(NEXT) | instid1(VALU_DEP_1)
	v_add_co_u32 v2, s0, v2, v8
	v_add_co_ci_u32_e64 v3, s0, 0, v3, s0
	v_cndmask_b32_e64 v6, 0, 1, vcc_lo
	s_delay_alu instid0(VALU_DEP_3) | instskip(NEXT) | instid1(VALU_DEP_3)
	v_add_co_u32 v2, vcc_lo, v2, v9
	v_add_co_ci_u32_e32 v3, vcc_lo, 0, v3, vcc_lo
	v_cmp_gt_i32_e32 vcc_lo, v4, v12
	s_delay_alu instid0(VALU_DEP_3) | instskip(NEXT) | instid1(VALU_DEP_1)
	v_add_co_u32 v2, s0, v2, v5
	v_add_co_ci_u32_e64 v3, s0, 0, v3, s0
	v_cndmask_b32_e64 v5, 0, 1, vcc_lo
	s_delay_alu instid0(VALU_DEP_3) | instskip(NEXT) | instid1(VALU_DEP_3)
	v_add_co_u32 v2, vcc_lo, v2, v6
	v_add_co_ci_u32_e32 v3, vcc_lo, 0, v3, vcc_lo
	s_delay_alu instid0(VALU_DEP_2) | instskip(NEXT) | instid1(VALU_DEP_2)
	v_add_co_u32 v2, vcc_lo, v2, v5
	v_add_co_ci_u32_e32 v3, vcc_lo, 0, v3, vcc_lo
	s_cbranch_scc0 .LBB222_79
; %bb.80:                               ;   in Loop: Header=BB222_77 Depth=1
	s_mov_b32 s0, s6
.LBB222_81:                             ;   in Loop: Header=BB222_77 Depth=1
	s_and_not1_b32 vcc_lo, exec_lo, s7
	s_cbranch_vccnz .LBB222_76
; %bb.82:                               ;   in Loop: Header=BB222_77 Depth=1
	s_lshl_b32 s0, s0, 2
	s_mov_b32 s9, s1
	s_add_i32 s0, s0, 0
.LBB222_83:                             ;   Parent Loop BB222_77 Depth=1
                                        ; =>  This Inner Loop Header: Depth=2
	s_delay_alu instid0(SALU_CYCLE_1)
	v_mov_b32_e32 v5, s0
	s_add_i32 s9, s9, -1
	s_add_i32 s0, s0, 4
	s_cmp_lg_u32 s9, 0
	ds_load_b32 v5, v5
	s_waitcnt lgkmcnt(0)
	v_cmp_gt_i32_e32 vcc_lo, v4, v5
	v_cndmask_b32_e64 v5, 0, 1, vcc_lo
	s_delay_alu instid0(VALU_DEP_1)
	v_add_co_u32 v2, vcc_lo, v2, v5
	v_add_co_ci_u32_e32 v3, vcc_lo, 0, v3, vcc_lo
	s_cbranch_scc1 .LBB222_83
	s_branch .LBB222_76
.LBB222_84:
	s_nop 0
	s_sendmsg sendmsg(MSG_DEALLOC_VGPRS)
	s_endpgm
	.section	.rodata,"a",@progbits
	.p2align	6, 0x0
	.amdhsa_kernel _ZN9rocsparseL41csrgemm_numeric_fill_block_per_row_kernelILj128ELj16ELj256ELj137ELj32Eli21rocsparse_complex_numIdEEEvT5_PKS3_S5_NS_24const_host_device_scalarIT6_EEPKT4_S5_PKS7_SB_S5_SD_S8_SB_S5_SD_SB_S5_PS7_21rocsparse_index_base_SF_SF_SF_bbb
		.amdhsa_group_segment_fixed_size 0
		.amdhsa_private_segment_fixed_size 40
		.amdhsa_kernarg_size 172
		.amdhsa_user_sgpr_count 15
		.amdhsa_user_sgpr_dispatch_ptr 0
		.amdhsa_user_sgpr_queue_ptr 0
		.amdhsa_user_sgpr_kernarg_segment_ptr 1
		.amdhsa_user_sgpr_dispatch_id 0
		.amdhsa_user_sgpr_private_segment_size 0
		.amdhsa_wavefront_size32 1
		.amdhsa_uses_dynamic_stack 0
		.amdhsa_enable_private_segment 1
		.amdhsa_system_sgpr_workgroup_id_x 1
		.amdhsa_system_sgpr_workgroup_id_y 0
		.amdhsa_system_sgpr_workgroup_id_z 0
		.amdhsa_system_sgpr_workgroup_info 0
		.amdhsa_system_vgpr_workitem_id 0
		.amdhsa_next_free_vgpr 35
		.amdhsa_next_free_sgpr 42
		.amdhsa_reserve_vcc 1
		.amdhsa_float_round_mode_32 0
		.amdhsa_float_round_mode_16_64 0
		.amdhsa_float_denorm_mode_32 3
		.amdhsa_float_denorm_mode_16_64 3
		.amdhsa_dx10_clamp 1
		.amdhsa_ieee_mode 1
		.amdhsa_fp16_overflow 0
		.amdhsa_workgroup_processor_mode 1
		.amdhsa_memory_ordered 1
		.amdhsa_forward_progress 0
		.amdhsa_shared_vgpr_count 0
		.amdhsa_exception_fp_ieee_invalid_op 0
		.amdhsa_exception_fp_denorm_src 0
		.amdhsa_exception_fp_ieee_div_zero 0
		.amdhsa_exception_fp_ieee_overflow 0
		.amdhsa_exception_fp_ieee_underflow 0
		.amdhsa_exception_fp_ieee_inexact 0
		.amdhsa_exception_int_div_zero 0
	.end_amdhsa_kernel
	.section	.text._ZN9rocsparseL41csrgemm_numeric_fill_block_per_row_kernelILj128ELj16ELj256ELj137ELj32Eli21rocsparse_complex_numIdEEEvT5_PKS3_S5_NS_24const_host_device_scalarIT6_EEPKT4_S5_PKS7_SB_S5_SD_S8_SB_S5_SD_SB_S5_PS7_21rocsparse_index_base_SF_SF_SF_bbb,"axG",@progbits,_ZN9rocsparseL41csrgemm_numeric_fill_block_per_row_kernelILj128ELj16ELj256ELj137ELj32Eli21rocsparse_complex_numIdEEEvT5_PKS3_S5_NS_24const_host_device_scalarIT6_EEPKT4_S5_PKS7_SB_S5_SD_S8_SB_S5_SD_SB_S5_PS7_21rocsparse_index_base_SF_SF_SF_bbb,comdat
.Lfunc_end222:
	.size	_ZN9rocsparseL41csrgemm_numeric_fill_block_per_row_kernelILj128ELj16ELj256ELj137ELj32Eli21rocsparse_complex_numIdEEEvT5_PKS3_S5_NS_24const_host_device_scalarIT6_EEPKT4_S5_PKS7_SB_S5_SD_S8_SB_S5_SD_SB_S5_PS7_21rocsparse_index_base_SF_SF_SF_bbb, .Lfunc_end222-_ZN9rocsparseL41csrgemm_numeric_fill_block_per_row_kernelILj128ELj16ELj256ELj137ELj32Eli21rocsparse_complex_numIdEEEvT5_PKS3_S5_NS_24const_host_device_scalarIT6_EEPKT4_S5_PKS7_SB_S5_SD_S8_SB_S5_SD_SB_S5_PS7_21rocsparse_index_base_SF_SF_SF_bbb
                                        ; -- End function
	.section	.AMDGPU.csdata,"",@progbits
; Kernel info:
; codeLenInByte = 3712
; NumSgprs: 44
; NumVgprs: 35
; ScratchSize: 40
; MemoryBound: 0
; FloatMode: 240
; IeeeMode: 1
; LDSByteSize: 0 bytes/workgroup (compile time only)
; SGPRBlocks: 5
; VGPRBlocks: 4
; NumSGPRsForWavesPerEU: 44
; NumVGPRsForWavesPerEU: 35
; Occupancy: 16
; WaveLimiterHint : 1
; COMPUTE_PGM_RSRC2:SCRATCH_EN: 1
; COMPUTE_PGM_RSRC2:USER_SGPR: 15
; COMPUTE_PGM_RSRC2:TRAP_HANDLER: 0
; COMPUTE_PGM_RSRC2:TGID_X_EN: 1
; COMPUTE_PGM_RSRC2:TGID_Y_EN: 0
; COMPUTE_PGM_RSRC2:TGID_Z_EN: 0
; COMPUTE_PGM_RSRC2:TIDIG_COMP_CNT: 0
	.section	.text._ZN9rocsparseL41csrgemm_numeric_fill_block_per_row_kernelILj128ELj16ELj256ELj137ELj64Eli21rocsparse_complex_numIdEEEvT5_PKS3_S5_NS_24const_host_device_scalarIT6_EEPKT4_S5_PKS7_SB_S5_SD_S8_SB_S5_SD_SB_S5_PS7_21rocsparse_index_base_SF_SF_SF_bbb,"axG",@progbits,_ZN9rocsparseL41csrgemm_numeric_fill_block_per_row_kernelILj128ELj16ELj256ELj137ELj64Eli21rocsparse_complex_numIdEEEvT5_PKS3_S5_NS_24const_host_device_scalarIT6_EEPKT4_S5_PKS7_SB_S5_SD_S8_SB_S5_SD_SB_S5_PS7_21rocsparse_index_base_SF_SF_SF_bbb,comdat
	.globl	_ZN9rocsparseL41csrgemm_numeric_fill_block_per_row_kernelILj128ELj16ELj256ELj137ELj64Eli21rocsparse_complex_numIdEEEvT5_PKS3_S5_NS_24const_host_device_scalarIT6_EEPKT4_S5_PKS7_SB_S5_SD_S8_SB_S5_SD_SB_S5_PS7_21rocsparse_index_base_SF_SF_SF_bbb ; -- Begin function _ZN9rocsparseL41csrgemm_numeric_fill_block_per_row_kernelILj128ELj16ELj256ELj137ELj64Eli21rocsparse_complex_numIdEEEvT5_PKS3_S5_NS_24const_host_device_scalarIT6_EEPKT4_S5_PKS7_SB_S5_SD_S8_SB_S5_SD_SB_S5_PS7_21rocsparse_index_base_SF_SF_SF_bbb
	.p2align	8
	.type	_ZN9rocsparseL41csrgemm_numeric_fill_block_per_row_kernelILj128ELj16ELj256ELj137ELj64Eli21rocsparse_complex_numIdEEEvT5_PKS3_S5_NS_24const_host_device_scalarIT6_EEPKT4_S5_PKS7_SB_S5_SD_S8_SB_S5_SD_SB_S5_PS7_21rocsparse_index_base_SF_SF_SF_bbb,@function
_ZN9rocsparseL41csrgemm_numeric_fill_block_per_row_kernelILj128ELj16ELj256ELj137ELj64Eli21rocsparse_complex_numIdEEEvT5_PKS3_S5_NS_24const_host_device_scalarIT6_EEPKT4_S5_PKS7_SB_S5_SD_S8_SB_S5_SD_SB_S5_PS7_21rocsparse_index_base_SF_SF_SF_bbb: ; @_ZN9rocsparseL41csrgemm_numeric_fill_block_per_row_kernelILj128ELj16ELj256ELj137ELj64Eli21rocsparse_complex_numIdEEEvT5_PKS3_S5_NS_24const_host_device_scalarIT6_EEPKT4_S5_PKS7_SB_S5_SD_S8_SB_S5_SD_SB_S5_PS7_21rocsparse_index_base_SF_SF_SF_bbb
; %bb.0:
	s_clause 0x2
	s_load_b32 s12, s[0:1], 0xa8
	s_load_b128 s[8:11], s[0:1], 0x18
	s_load_b128 s[4:7], s[0:1], 0x58
	v_mov_b32_e32 v1, 0
	v_mov_b32_e32 v2, 0
	s_waitcnt lgkmcnt(0)
	s_bitcmp1_b32 s12, 0
	v_mov_b32_e32 v3, s8
	s_cselect_b32 s14, -1, 0
	s_bitcmp1_b32 s12, 16
	v_dual_mov_b32 v6, v2 :: v_dual_mov_b32 v5, v1
	s_cselect_b32 s2, -1, 0
	v_mov_b32_e32 v4, s9
	s_xor_b32 s3, s2, -1
	v_dual_mov_b32 v10, s5 :: v_dual_mov_b32 v9, s4
	v_cndmask_b32_e64 v7, 0, 1, s3
	s_bitcmp0_b32 s12, 0
	s_clause 0x1
	scratch_store_b64 off, v[3:4], off offset:16
	scratch_store_b64 off, v[9:10], off offset:24
	v_cmp_ne_u32_e32 vcc_lo, 1, v7
	v_dual_mov_b32 v8, v2 :: v_dual_mov_b32 v7, v1
	s_cbranch_scc1 .LBB223_3
; %bb.1:
	s_mov_b64 s[16:17], src_private_base
	s_and_b32 s13, s2, exec_lo
	s_cselect_b32 s13, s17, s9
	s_delay_alu instid0(SALU_CYCLE_1) | instskip(SKIP_2) | instid1(VALU_DEP_2)
	v_dual_mov_b32 v3, 16 :: v_dual_mov_b32 v4, s13
	v_dual_mov_b32 v7, s10 :: v_dual_mov_b32 v8, s11
	s_and_b32 vcc_lo, exec_lo, vcc_lo
	v_cndmask_b32_e64 v3, s8, v3, s2
	flat_load_b64 v[5:6], v[3:4]
	s_cbranch_vccnz .LBB223_3
; %bb.2:
	v_dual_mov_b32 v3, s8 :: v_dual_mov_b32 v4, s9
	flat_load_b64 v[7:8], v[3:4] offset:8
.LBB223_3:
	s_load_b128 s[24:27], s[0:1], 0x98
	s_bitcmp1_b32 s12, 8
	v_dual_mov_b32 v4, v2 :: v_dual_mov_b32 v3, v1
	s_cselect_b32 s34, -1, 0
	s_bfe_u32 s8, s12, 0x10008
	s_delay_alu instid0(SALU_CYCLE_1)
	s_cmp_eq_u32 s8, 0
	s_cbranch_scc1 .LBB223_6
; %bb.4:
	s_mov_b64 s[8:9], src_private_base
	s_and_b32 s8, s2, exec_lo
	s_cselect_b32 s8, s9, s5
	s_delay_alu instid0(SALU_CYCLE_1) | instskip(SKIP_1) | instid1(VALU_DEP_1)
	v_dual_mov_b32 v1, 24 :: v_dual_mov_b32 v2, s8
	s_and_not1_b32 vcc_lo, exec_lo, s3
	v_cndmask_b32_e64 v1, s4, v1, s2
	flat_load_b64 v[3:4], v[1:2]
	v_dual_mov_b32 v1, s6 :: v_dual_mov_b32 v2, s7
	s_cbranch_vccnz .LBB223_6
; %bb.5:
	v_dual_mov_b32 v1, s4 :: v_dual_mov_b32 v2, s5
	flat_load_b64 v[1:2], v[1:2] offset:8
.LBB223_6:
	s_clause 0x5
	s_load_b64 s[12:13], s[0:1], 0x90
	s_load_b256 s[4:11], s[0:1], 0x68
	s_load_b128 s[28:31], s[0:1], 0x48
	s_load_b256 s[16:23], s[0:1], 0x28
	s_load_b128 s[36:39], s[0:1], 0x8
	s_load_b32 s33, s[0:1], 0x0
	v_cmp_gt_u32_e64 s0, 0x100, v0
	v_lshlrev_b32_e32 v27, 4, v0
	v_or_b32_e32 v25, 0xffffff80, v0
	v_lshl_add_u32 v26, v0, 2, 0
	s_delay_alu instid0(VALU_DEP_4)
	s_and_saveexec_b32 s1, s0
	s_cbranch_execz .LBB223_9
; %bb.7:
	s_mov_b32 s2, 0
	v_add3_u32 v13, v27, 0, 0x400
	s_mov_b32 s3, s2
	s_mov_b32 s40, s2
	;; [unrolled: 1-line block ×3, first 2 shown]
	v_dual_mov_b32 v10, s3 :: v_dual_mov_b32 v11, s40
	v_or_b32_e32 v14, 0xffffff80, v0
	v_lshl_add_u32 v15, v0, 2, 0
	s_waitcnt lgkmcnt(0)
	v_dual_mov_b32 v16, s33 :: v_dual_mov_b32 v9, s2
	v_mov_b32_e32 v12, s41
.LBB223_8:                              ; =>This Inner Loop Header: Depth=1
	v_add_co_u32 v14, s3, 0x80, v14
	s_delay_alu instid0(VALU_DEP_1)
	s_xor_b32 s3, s3, -1
	ds_store_b32 v15, v16
	ds_store_2addr_b64 v13, v[9:10], v[11:12] offset1:1
	v_add_nc_u32_e32 v13, 0x800, v13
	v_add_nc_u32_e32 v15, 0x200, v15
	s_and_b32 s3, exec_lo, s3
	s_delay_alu instid0(SALU_CYCLE_1) | instskip(NEXT) | instid1(SALU_CYCLE_1)
	s_or_b32 s2, s3, s2
	s_and_not1_b32 exec_lo, exec_lo, s2
	s_cbranch_execnz .LBB223_8
.LBB223_9:
	s_or_b32 exec_lo, exec_lo, s1
	s_waitcnt vmcnt(0) lgkmcnt(0)
	s_waitcnt_vscnt null, 0x0
	s_barrier
	buffer_gl0_inv
	s_load_b32 s1, s[36:37], 0x0
	s_mov_b32 s3, 0
	v_lshrrev_b32_e32 v28, 4, v0
	s_waitcnt lgkmcnt(0)
	s_add_i32 s2, s1, s15
	s_delay_alu instid0(SALU_CYCLE_1) | instskip(NEXT) | instid1(SALU_CYCLE_1)
	s_lshl_b64 s[2:3], s[2:3], 2
	s_add_u32 s2, s38, s2
	s_addc_u32 s3, s39, s3
	s_and_b32 vcc_lo, exec_lo, s14
	s_load_b32 s2, s[2:3], 0x0
	s_cbranch_vccz .LBB223_37
; %bb.10:
	s_waitcnt lgkmcnt(0)
	s_ashr_i32 s3, s2, 31
	v_sub_co_u32 v9, s1, v28, s24
	s_lshl_b64 s[14:15], s[2:3], 3
	v_sub_co_ci_u32_e64 v10, null, 0, 0, s1
	s_add_u32 s14, s16, s14
	s_addc_u32 s15, s17, s15
	s_mov_b32 s1, exec_lo
	s_load_b128 s[36:39], s[14:15], 0x0
	s_waitcnt lgkmcnt(0)
	v_add_co_u32 v9, vcc_lo, s36, v9
	v_add_co_ci_u32_e32 v10, vcc_lo, s37, v10, vcc_lo
	s_sub_u32 s14, s38, s24
	s_subb_u32 s15, s39, 0
	s_delay_alu instid0(VALU_DEP_1) | instid1(SALU_CYCLE_1)
	v_cmpx_gt_i64_e64 s[14:15], v[9:10]
	s_cbranch_execz .LBB223_36
; %bb.11:
	v_and_b32_e32 v11, 15, v0
	s_mov_b32 s16, s25
	s_delay_alu instid0(VALU_DEP_1) | instskip(NEXT) | instid1(VALU_DEP_1)
	v_sub_co_u32 v29, s3, v11, s25
	v_sub_co_ci_u32_e64 v30, null, 0, 0, s3
	s_mov_b32 s3, 0
	s_branch .LBB223_13
.LBB223_12:                             ;   in Loop: Header=BB223_13 Depth=1
	s_or_b32 exec_lo, exec_lo, s17
	v_add_co_u32 v9, vcc_lo, v9, 8
	v_add_co_ci_u32_e32 v10, vcc_lo, 0, v10, vcc_lo
	s_delay_alu instid0(VALU_DEP_1) | instskip(SKIP_1) | instid1(SALU_CYCLE_1)
	v_cmp_le_i64_e32 vcc_lo, s[14:15], v[9:10]
	s_or_b32 s3, vcc_lo, s3
	s_and_not1_b32 exec_lo, exec_lo, s3
	s_cbranch_execz .LBB223_36
.LBB223_13:                             ; =>This Loop Header: Depth=1
                                        ;     Child Loop BB223_16 Depth 2
                                        ;       Child Loop BB223_18 Depth 3
                                        ;         Child Loop BB223_24 Depth 4
                                        ;         Child Loop BB223_26 Depth 4
                                        ;         Child Loop BB223_32 Depth 4
                                        ;         Child Loop BB223_34 Depth 4
	v_lshlrev_b64 v[11:12], 2, v[9:10]
	s_mov_b32 s17, exec_lo
	s_delay_alu instid0(VALU_DEP_1) | instskip(NEXT) | instid1(VALU_DEP_2)
	v_add_co_u32 v11, vcc_lo, s18, v11
	v_add_co_ci_u32_e32 v12, vcc_lo, s19, v12, vcc_lo
	global_load_b32 v11, v[11:12], off
	s_waitcnt vmcnt(0)
	v_subrev_nc_u32_e32 v11, s24, v11
	s_delay_alu instid0(VALU_DEP_1) | instskip(NEXT) | instid1(VALU_DEP_1)
	v_ashrrev_i32_e32 v12, 31, v11
	v_lshlrev_b64 v[11:12], 3, v[11:12]
	s_delay_alu instid0(VALU_DEP_1) | instskip(NEXT) | instid1(VALU_DEP_2)
	v_add_co_u32 v11, vcc_lo, s22, v11
	v_add_co_ci_u32_e32 v12, vcc_lo, s23, v12, vcc_lo
	global_load_b128 v[13:16], v[11:12], off
	s_waitcnt vmcnt(0)
	v_sub_co_u32 v11, vcc_lo, v15, s16
	v_subrev_co_ci_u32_e32 v12, vcc_lo, 0, v16, vcc_lo
	v_add_co_u32 v13, vcc_lo, v13, v29
	v_add_co_ci_u32_e32 v14, vcc_lo, v14, v30, vcc_lo
	s_delay_alu instid0(VALU_DEP_1)
	v_cmpx_lt_i64_e64 v[13:14], v[11:12]
	s_cbranch_execz .LBB223_12
; %bb.14:                               ;   in Loop: Header=BB223_13 Depth=1
	v_lshlrev_b64 v[15:16], 4, v[9:10]
	s_mov_b32 s35, 0
	s_delay_alu instid0(VALU_DEP_1) | instskip(NEXT) | instid1(VALU_DEP_2)
	v_add_co_u32 v15, vcc_lo, s20, v15
	v_add_co_ci_u32_e32 v16, vcc_lo, s21, v16, vcc_lo
	global_load_b128 v[17:20], v[15:16], off
	s_waitcnt vmcnt(0)
	v_mul_f64 v[15:16], v[19:20], -v[7:8]
	v_mul_f64 v[19:20], v[5:6], v[19:20]
	s_delay_alu instid0(VALU_DEP_2) | instskip(NEXT) | instid1(VALU_DEP_2)
	v_fma_f64 v[15:16], v[5:6], v[17:18], v[15:16]
	v_fma_f64 v[17:18], v[7:8], v[17:18], v[19:20]
	s_branch .LBB223_16
.LBB223_15:                             ;   in Loop: Header=BB223_16 Depth=2
	s_or_b32 exec_lo, exec_lo, s36
	v_add_co_u32 v13, vcc_lo, v13, 16
	v_add_co_ci_u32_e32 v14, vcc_lo, 0, v14, vcc_lo
	s_delay_alu instid0(VALU_DEP_1) | instskip(SKIP_1) | instid1(SALU_CYCLE_1)
	v_cmp_ge_i64_e32 vcc_lo, v[13:14], v[11:12]
	s_or_b32 s35, vcc_lo, s35
	s_and_not1_b32 exec_lo, exec_lo, s35
	s_cbranch_execz .LBB223_12
.LBB223_16:                             ;   Parent Loop BB223_13 Depth=1
                                        ; =>  This Loop Header: Depth=2
                                        ;       Child Loop BB223_18 Depth 3
                                        ;         Child Loop BB223_24 Depth 4
                                        ;         Child Loop BB223_26 Depth 4
	;; [unrolled: 1-line block ×4, first 2 shown]
	v_lshlrev_b64 v[19:20], 4, v[13:14]
	s_mov_b32 s36, 0
	s_delay_alu instid0(VALU_DEP_1) | instskip(NEXT) | instid1(VALU_DEP_2)
	v_add_co_u32 v19, vcc_lo, s30, v19
	v_add_co_ci_u32_e32 v20, vcc_lo, s31, v20, vcc_lo
	global_load_b128 v[21:24], v[19:20], off
	v_lshlrev_b64 v[19:20], 2, v[13:14]
	s_delay_alu instid0(VALU_DEP_1) | instskip(NEXT) | instid1(VALU_DEP_2)
	v_add_co_u32 v19, vcc_lo, s28, v19
	v_add_co_ci_u32_e32 v20, vcc_lo, s29, v20, vcc_lo
	global_load_b32 v31, v[19:20], off
	s_waitcnt vmcnt(1)
	v_mul_f64 v[19:20], v[23:24], -v[17:18]
	v_mul_f64 v[23:24], v[15:16], v[23:24]
	s_waitcnt vmcnt(0)
	v_subrev_nc_u32_e32 v31, s25, v31
	s_delay_alu instid0(VALU_DEP_3) | instskip(NEXT) | instid1(VALU_DEP_3)
	v_fma_f64 v[19:20], v[15:16], v[21:22], v[19:20]
	v_fma_f64 v[21:22], v[17:18], v[21:22], v[23:24]
	s_delay_alu instid0(VALU_DEP_3) | instskip(NEXT) | instid1(VALU_DEP_1)
	v_mul_lo_u32 v23, 0x89, v31
	v_and_b32_e32 v32, 0xff, v23
	s_branch .LBB223_18
.LBB223_17:                             ;   in Loop: Header=BB223_18 Depth=3
	s_or_b32 exec_lo, exec_lo, s37
	s_xor_b32 s37, s38, -1
	s_delay_alu instid0(SALU_CYCLE_1) | instskip(NEXT) | instid1(SALU_CYCLE_1)
	s_and_b32 s37, exec_lo, s37
	s_or_b32 s36, s37, s36
	s_delay_alu instid0(SALU_CYCLE_1)
	s_and_not1_b32 exec_lo, exec_lo, s36
	s_cbranch_execz .LBB223_15
.LBB223_18:                             ;   Parent Loop BB223_13 Depth=1
                                        ;     Parent Loop BB223_16 Depth=2
                                        ; =>    This Loop Header: Depth=3
                                        ;         Child Loop BB223_24 Depth 4
                                        ;         Child Loop BB223_26 Depth 4
	;; [unrolled: 1-line block ×4, first 2 shown]
	s_delay_alu instid0(VALU_DEP_1)
	v_lshl_add_u32 v23, v32, 2, 0
	s_mov_b32 s37, exec_lo
                                        ; implicit-def: $sgpr38
	ds_load_b32 v24, v23
	s_waitcnt lgkmcnt(0)
	v_cmpx_ne_u32_e64 v24, v31
	s_xor_b32 s37, exec_lo, s37
	s_cbranch_execz .LBB223_30
; %bb.19:                               ;   in Loop: Header=BB223_18 Depth=3
	s_mov_b32 s39, exec_lo
                                        ; implicit-def: $sgpr38
	v_cmpx_ne_u32_e64 s33, v24
	s_xor_b32 s39, exec_lo, s39
; %bb.20:                               ;   in Loop: Header=BB223_18 Depth=3
	v_add_nc_u32_e32 v23, 1, v32
	s_mov_b32 s38, -1
	s_delay_alu instid0(VALU_DEP_1)
	v_and_b32_e32 v32, 0xff, v23
                                        ; implicit-def: $vgpr23
; %bb.21:                               ;   in Loop: Header=BB223_18 Depth=3
	s_and_not1_saveexec_b32 s39, s39
	s_cbranch_execz .LBB223_29
; %bb.22:                               ;   in Loop: Header=BB223_18 Depth=3
	v_mov_b32_e32 v24, s33
	s_mov_b32 s41, -1
	s_mov_b32 s40, exec_lo
	ds_cmpstore_rtn_b32 v24, v23, v31, v24
	s_waitcnt lgkmcnt(0)
	v_cmpx_eq_u32_e64 s33, v24
	s_cbranch_execz .LBB223_28
; %bb.23:                               ;   in Loop: Header=BB223_18 Depth=3
	v_mul_lo_u32 v24, v32, 12
	s_mov_b32 s41, 0
	s_delay_alu instid0(VALU_DEP_1)
	v_add_nc_u32_e32 v33, v23, v24
	ds_load_b64 v[23:24], v33 offset:1024
.LBB223_24:                             ;   Parent Loop BB223_13 Depth=1
                                        ;     Parent Loop BB223_16 Depth=2
                                        ;       Parent Loop BB223_18 Depth=3
                                        ; =>      This Inner Loop Header: Depth=4
	s_waitcnt lgkmcnt(0)
	v_add_f64 v[34:35], v[23:24], v[19:20]
	ds_cmpstore_rtn_b64 v[34:35], v33, v[34:35], v[23:24] offset:1024
	s_waitcnt lgkmcnt(0)
	v_cmp_eq_u64_e32 vcc_lo, v[34:35], v[23:24]
	v_dual_mov_b32 v23, v34 :: v_dual_mov_b32 v24, v35
	s_or_b32 s41, vcc_lo, s41
	s_delay_alu instid0(SALU_CYCLE_1)
	s_and_not1_b32 exec_lo, exec_lo, s41
	s_cbranch_execnz .LBB223_24
; %bb.25:                               ;   in Loop: Header=BB223_18 Depth=3
	s_or_b32 exec_lo, exec_lo, s41
	ds_load_b64 v[23:24], v33 offset:1032
	s_mov_b32 s41, 0
.LBB223_26:                             ;   Parent Loop BB223_13 Depth=1
                                        ;     Parent Loop BB223_16 Depth=2
                                        ;       Parent Loop BB223_18 Depth=3
                                        ; =>      This Inner Loop Header: Depth=4
	s_waitcnt lgkmcnt(0)
	v_add_f64 v[34:35], v[23:24], v[21:22]
	ds_cmpstore_rtn_b64 v[34:35], v33, v[34:35], v[23:24] offset:1032
	s_waitcnt lgkmcnt(0)
	v_cmp_eq_u64_e32 vcc_lo, v[34:35], v[23:24]
	v_dual_mov_b32 v23, v34 :: v_dual_mov_b32 v24, v35
	s_or_b32 s41, vcc_lo, s41
	s_delay_alu instid0(SALU_CYCLE_1)
	s_and_not1_b32 exec_lo, exec_lo, s41
	s_cbranch_execnz .LBB223_26
; %bb.27:                               ;   in Loop: Header=BB223_18 Depth=3
	s_or_b32 exec_lo, exec_lo, s41
	s_delay_alu instid0(SALU_CYCLE_1)
	s_xor_b32 s41, exec_lo, -1
.LBB223_28:                             ;   in Loop: Header=BB223_18 Depth=3
	s_or_b32 exec_lo, exec_lo, s40
	s_delay_alu instid0(SALU_CYCLE_1) | instskip(SKIP_1) | instid1(SALU_CYCLE_1)
	s_and_not1_b32 s38, s38, exec_lo
	s_and_b32 s40, s41, exec_lo
	s_or_b32 s38, s38, s40
.LBB223_29:                             ;   in Loop: Header=BB223_18 Depth=3
	s_or_b32 exec_lo, exec_lo, s39
	s_delay_alu instid0(SALU_CYCLE_1)
	s_and_b32 s38, s38, exec_lo
                                        ; implicit-def: $vgpr23
.LBB223_30:                             ;   in Loop: Header=BB223_18 Depth=3
	s_and_not1_saveexec_b32 s37, s37
	s_cbranch_execz .LBB223_17
; %bb.31:                               ;   in Loop: Header=BB223_18 Depth=3
	v_mul_lo_u32 v24, v32, 12
	s_mov_b32 s39, 0
	s_delay_alu instid0(VALU_DEP_1)
	v_add_nc_u32_e32 v33, v23, v24
	ds_load_b64 v[23:24], v33 offset:1024
.LBB223_32:                             ;   Parent Loop BB223_13 Depth=1
                                        ;     Parent Loop BB223_16 Depth=2
                                        ;       Parent Loop BB223_18 Depth=3
                                        ; =>      This Inner Loop Header: Depth=4
	s_waitcnt lgkmcnt(0)
	v_add_f64 v[34:35], v[23:24], v[19:20]
	ds_cmpstore_rtn_b64 v[34:35], v33, v[34:35], v[23:24] offset:1024
	s_waitcnt lgkmcnt(0)
	v_cmp_eq_u64_e32 vcc_lo, v[34:35], v[23:24]
	v_dual_mov_b32 v23, v34 :: v_dual_mov_b32 v24, v35
	s_or_b32 s39, vcc_lo, s39
	s_delay_alu instid0(SALU_CYCLE_1)
	s_and_not1_b32 exec_lo, exec_lo, s39
	s_cbranch_execnz .LBB223_32
; %bb.33:                               ;   in Loop: Header=BB223_18 Depth=3
	s_or_b32 exec_lo, exec_lo, s39
	ds_load_b64 v[23:24], v33 offset:1032
	s_mov_b32 s39, 0
.LBB223_34:                             ;   Parent Loop BB223_13 Depth=1
                                        ;     Parent Loop BB223_16 Depth=2
                                        ;       Parent Loop BB223_18 Depth=3
                                        ; =>      This Inner Loop Header: Depth=4
	s_waitcnt lgkmcnt(0)
	v_add_f64 v[34:35], v[23:24], v[21:22]
	ds_cmpstore_rtn_b64 v[34:35], v33, v[34:35], v[23:24] offset:1032
	s_waitcnt lgkmcnt(0)
	v_cmp_eq_u64_e32 vcc_lo, v[34:35], v[23:24]
	v_dual_mov_b32 v23, v34 :: v_dual_mov_b32 v24, v35
	s_or_b32 s39, vcc_lo, s39
	s_delay_alu instid0(SALU_CYCLE_1)
	s_and_not1_b32 exec_lo, exec_lo, s39
	s_cbranch_execnz .LBB223_34
; %bb.35:                               ;   in Loop: Header=BB223_18 Depth=3
	s_or_b32 exec_lo, exec_lo, s39
	s_delay_alu instid0(SALU_CYCLE_1)
	s_and_not1_b32 s38, s38, exec_lo
	s_branch .LBB223_17
.LBB223_36:
	s_or_b32 exec_lo, exec_lo, s1
.LBB223_37:
	s_delay_alu instid0(SALU_CYCLE_1)
	s_and_not1_b32 vcc_lo, exec_lo, s34
	s_cbranch_vccnz .LBB223_40
; %bb.38:
	s_waitcnt lgkmcnt(0)
	s_ashr_i32 s3, s2, 31
	v_sub_co_u32 v5, s1, v0, s27
	s_lshl_b64 s[14:15], s[2:3], 3
	v_sub_co_ci_u32_e64 v6, null, 0, 0, s1
	s_add_u32 s4, s4, s14
	s_addc_u32 s5, s5, s15
	s_mov_b32 s3, 0
	s_load_b128 s[16:19], s[4:5], 0x0
	s_mov_b32 s1, exec_lo
	s_waitcnt lgkmcnt(0)
	v_add_co_u32 v5, vcc_lo, s16, v5
	v_add_co_ci_u32_e32 v6, vcc_lo, s17, v6, vcc_lo
	s_sub_u32 s4, s18, s27
	s_subb_u32 s5, s19, 0
	s_delay_alu instid0(VALU_DEP_1) | instid1(SALU_CYCLE_1)
	v_cmpx_gt_i64_e64 s[4:5], v[5:6]
	s_cbranch_execnz .LBB223_50
.LBB223_39:
	s_or_b32 exec_lo, exec_lo, s1
.LBB223_40:
	s_waitcnt lgkmcnt(0)
	s_barrier
	buffer_gl0_inv
	s_and_saveexec_b32 s3, s0
	s_cbranch_execz .LBB223_70
; %bb.41:
	v_mbcnt_lo_u32_b32 v1, -1, 0
	v_dual_mov_b32 v5, 0 :: v_dual_and_b32 v2, 4, v28
	v_cmp_lt_u32_e32 vcc_lo, 63, v0
	v_cmp_eq_u32_e64 s0, 0x7f, v0
	s_delay_alu instid0(VALU_DEP_4) | instskip(NEXT) | instid1(VALU_DEP_4)
	v_xor_b32_e32 v1, 63, v1
	v_add_nc_u32_e32 v4, 0, v2
	v_add3_u32 v3, v27, 0, 0x400
	s_mov_b32 s4, 0
	s_delay_alu instid0(VALU_DEP_3)
	v_lshrrev_b64 v[1:2], v1, -1
	v_mov_b32_e32 v2, 0
	s_branch .LBB223_43
.LBB223_42:                             ;   in Loop: Header=BB223_43 Depth=1
	s_or_b32 exec_lo, exec_lo, s1
	s_waitcnt lgkmcnt(0)
	s_barrier
	buffer_gl0_inv
	ds_load_b32 v6, v2 offset:5124
	v_add_co_u32 v25, s1, 0x80, v25
	s_delay_alu instid0(VALU_DEP_1) | instskip(SKIP_3) | instid1(SALU_CYCLE_1)
	s_xor_b32 s1, s1, -1
	v_add_nc_u32_e32 v3, 0x800, v3
	v_add_nc_u32_e32 v26, 0x200, v26
	s_and_b32 s1, exec_lo, s1
	s_or_b32 s4, s1, s4
	s_waitcnt lgkmcnt(0)
	v_add_nc_u32_e32 v5, v6, v5
	s_and_not1_b32 exec_lo, exec_lo, s4
	s_cbranch_execz .LBB223_70
.LBB223_43:                             ; =>This Inner Loop Header: Depth=1
	ds_load_b32 v6, v26
	ds_load_2addr_b64 v[7:10], v3 offset1:1
	s_waitcnt lgkmcnt(1)
	v_cmp_gt_i32_e64 s1, s33, v6
	s_waitcnt lgkmcnt(0)
	scratch_store_b128 off, v[7:10], off
	s_waitcnt_vscnt null, 0x0
	s_barrier
	buffer_gl0_inv
	s_bcnt1_i32_b32 s5, s1
	s_delay_alu instid0(SALU_CYCLE_1) | instskip(NEXT) | instid1(VALU_DEP_1)
	v_dual_mov_b32 v8, s5 :: v_dual_and_b32 v7, s1, v1
	v_bcnt_u32_b32 v7, v7, 0
	ds_store_b32 v4, v8 offset:5120
	s_waitcnt lgkmcnt(0)
	s_barrier
	buffer_gl0_inv
	s_and_saveexec_b32 s5, vcc_lo
	s_cbranch_execnz .LBB223_46
; %bb.44:                               ;   in Loop: Header=BB223_43 Depth=1
	s_or_b32 exec_lo, exec_lo, s5
	s_and_saveexec_b32 s5, s1
	s_cbranch_execnz .LBB223_47
.LBB223_45:                             ;   in Loop: Header=BB223_43 Depth=1
	s_or_b32 exec_lo, exec_lo, s5
	s_and_saveexec_b32 s1, s0
	s_cbranch_execz .LBB223_42
	s_branch .LBB223_48
.LBB223_46:                             ;   in Loop: Header=BB223_43 Depth=1
	ds_load_b32 v8, v2 offset:5120
	s_waitcnt lgkmcnt(0)
	v_add_nc_u32_e32 v7, v8, v7
	s_or_b32 exec_lo, exec_lo, s5
	s_and_saveexec_b32 s5, s1
	s_cbranch_execz .LBB223_45
.LBB223_47:                             ;   in Loop: Header=BB223_43 Depth=1
	scratch_load_b128 v[8:11], off, off
	v_add3_u32 v12, v5, -1, v7
	s_delay_alu instid0(VALU_DEP_1)
	v_lshl_add_u32 v13, v12, 2, 0
	v_lshl_add_u32 v12, v12, 4, 0
	ds_store_b32 v13, v6
	s_waitcnt vmcnt(0)
	ds_store_2addr_b64 v12, v[8:9], v[10:11] offset0:128 offset1:129
	s_or_b32 exec_lo, exec_lo, s5
	s_and_saveexec_b32 s1, s0
	s_cbranch_execz .LBB223_42
.LBB223_48:                             ;   in Loop: Header=BB223_43 Depth=1
	ds_store_b32 v2, v7 offset:5124
	s_branch .LBB223_42
.LBB223_49:                             ;   in Loop: Header=BB223_50 Depth=1
	s_or_b32 exec_lo, exec_lo, s14
	v_add_co_u32 v5, vcc_lo, 0x80, v5
	v_add_co_ci_u32_e32 v6, vcc_lo, 0, v6, vcc_lo
	s_delay_alu instid0(VALU_DEP_1) | instskip(SKIP_1) | instid1(SALU_CYCLE_1)
	v_cmp_le_i64_e32 vcc_lo, s[4:5], v[5:6]
	s_or_b32 s3, vcc_lo, s3
	s_and_not1_b32 exec_lo, exec_lo, s3
	s_cbranch_execz .LBB223_39
.LBB223_50:                             ; =>This Loop Header: Depth=1
                                        ;     Child Loop BB223_52 Depth 2
                                        ;       Child Loop BB223_58 Depth 3
                                        ;       Child Loop BB223_60 Depth 3
	;; [unrolled: 1-line block ×4, first 2 shown]
	v_lshlrev_b64 v[7:8], 4, v[5:6]
	s_mov_b32 s14, 0
	s_delay_alu instid0(VALU_DEP_1) | instskip(NEXT) | instid1(VALU_DEP_2)
	v_add_co_u32 v7, vcc_lo, s8, v7
	v_add_co_ci_u32_e32 v8, vcc_lo, s9, v8, vcc_lo
	global_load_b128 v[9:12], v[7:8], off
	v_lshlrev_b64 v[7:8], 2, v[5:6]
	s_delay_alu instid0(VALU_DEP_1) | instskip(NEXT) | instid1(VALU_DEP_2)
	v_add_co_u32 v7, vcc_lo, s6, v7
	v_add_co_ci_u32_e32 v8, vcc_lo, s7, v8, vcc_lo
	global_load_b32 v13, v[7:8], off
	s_waitcnt vmcnt(1)
	v_mul_f64 v[7:8], v[11:12], -v[1:2]
	v_mul_f64 v[11:12], v[3:4], v[11:12]
	s_waitcnt vmcnt(0)
	v_subrev_nc_u32_e32 v13, s27, v13
	s_delay_alu instid0(VALU_DEP_3) | instskip(NEXT) | instid1(VALU_DEP_3)
	v_fma_f64 v[7:8], v[3:4], v[9:10], v[7:8]
	v_fma_f64 v[9:10], v[1:2], v[9:10], v[11:12]
	s_delay_alu instid0(VALU_DEP_3) | instskip(NEXT) | instid1(VALU_DEP_1)
	v_mul_lo_u32 v11, 0x89, v13
	v_and_b32_e32 v14, 0xff, v11
	s_branch .LBB223_52
.LBB223_51:                             ;   in Loop: Header=BB223_52 Depth=2
	s_or_b32 exec_lo, exec_lo, s15
	s_xor_b32 s15, s16, -1
	s_delay_alu instid0(SALU_CYCLE_1) | instskip(NEXT) | instid1(SALU_CYCLE_1)
	s_and_b32 s15, exec_lo, s15
	s_or_b32 s14, s15, s14
	s_delay_alu instid0(SALU_CYCLE_1)
	s_and_not1_b32 exec_lo, exec_lo, s14
	s_cbranch_execz .LBB223_49
.LBB223_52:                             ;   Parent Loop BB223_50 Depth=1
                                        ; =>  This Loop Header: Depth=2
                                        ;       Child Loop BB223_58 Depth 3
                                        ;       Child Loop BB223_60 Depth 3
	;; [unrolled: 1-line block ×4, first 2 shown]
	s_delay_alu instid0(VALU_DEP_1)
	v_lshl_add_u32 v11, v14, 2, 0
	s_mov_b32 s15, exec_lo
                                        ; implicit-def: $sgpr16
	ds_load_b32 v12, v11
	s_waitcnt lgkmcnt(0)
	v_cmpx_ne_u32_e64 v12, v13
	s_xor_b32 s15, exec_lo, s15
	s_cbranch_execz .LBB223_64
; %bb.53:                               ;   in Loop: Header=BB223_52 Depth=2
	s_mov_b32 s17, exec_lo
                                        ; implicit-def: $sgpr16
	v_cmpx_ne_u32_e64 s33, v12
	s_xor_b32 s17, exec_lo, s17
; %bb.54:                               ;   in Loop: Header=BB223_52 Depth=2
	v_add_nc_u32_e32 v11, 1, v14
	s_mov_b32 s16, -1
	s_delay_alu instid0(VALU_DEP_1)
	v_and_b32_e32 v14, 0xff, v11
                                        ; implicit-def: $vgpr11
; %bb.55:                               ;   in Loop: Header=BB223_52 Depth=2
	s_and_not1_saveexec_b32 s17, s17
	s_cbranch_execz .LBB223_63
; %bb.56:                               ;   in Loop: Header=BB223_52 Depth=2
	v_mov_b32_e32 v12, s33
	s_mov_b32 s19, -1
	s_mov_b32 s18, exec_lo
	ds_cmpstore_rtn_b32 v12, v11, v13, v12
	s_waitcnt lgkmcnt(0)
	v_cmpx_eq_u32_e64 s33, v12
	s_cbranch_execz .LBB223_62
; %bb.57:                               ;   in Loop: Header=BB223_52 Depth=2
	v_mul_lo_u32 v12, v14, 12
	s_mov_b32 s19, 0
	s_delay_alu instid0(VALU_DEP_1)
	v_add_nc_u32_e32 v15, v11, v12
	ds_load_b64 v[11:12], v15 offset:1024
.LBB223_58:                             ;   Parent Loop BB223_50 Depth=1
                                        ;     Parent Loop BB223_52 Depth=2
                                        ; =>    This Inner Loop Header: Depth=3
	s_waitcnt lgkmcnt(0)
	v_add_f64 v[16:17], v[11:12], v[7:8]
	ds_cmpstore_rtn_b64 v[16:17], v15, v[16:17], v[11:12] offset:1024
	s_waitcnt lgkmcnt(0)
	v_cmp_eq_u64_e32 vcc_lo, v[16:17], v[11:12]
	v_dual_mov_b32 v11, v16 :: v_dual_mov_b32 v12, v17
	s_or_b32 s19, vcc_lo, s19
	s_delay_alu instid0(SALU_CYCLE_1)
	s_and_not1_b32 exec_lo, exec_lo, s19
	s_cbranch_execnz .LBB223_58
; %bb.59:                               ;   in Loop: Header=BB223_52 Depth=2
	s_or_b32 exec_lo, exec_lo, s19
	ds_load_b64 v[11:12], v15 offset:1032
	s_mov_b32 s19, 0
.LBB223_60:                             ;   Parent Loop BB223_50 Depth=1
                                        ;     Parent Loop BB223_52 Depth=2
                                        ; =>    This Inner Loop Header: Depth=3
	s_waitcnt lgkmcnt(0)
	v_add_f64 v[16:17], v[11:12], v[9:10]
	ds_cmpstore_rtn_b64 v[16:17], v15, v[16:17], v[11:12] offset:1032
	s_waitcnt lgkmcnt(0)
	v_cmp_eq_u64_e32 vcc_lo, v[16:17], v[11:12]
	v_dual_mov_b32 v11, v16 :: v_dual_mov_b32 v12, v17
	s_or_b32 s19, vcc_lo, s19
	s_delay_alu instid0(SALU_CYCLE_1)
	s_and_not1_b32 exec_lo, exec_lo, s19
	s_cbranch_execnz .LBB223_60
; %bb.61:                               ;   in Loop: Header=BB223_52 Depth=2
	s_or_b32 exec_lo, exec_lo, s19
	s_delay_alu instid0(SALU_CYCLE_1)
	s_xor_b32 s19, exec_lo, -1
.LBB223_62:                             ;   in Loop: Header=BB223_52 Depth=2
	s_or_b32 exec_lo, exec_lo, s18
	s_delay_alu instid0(SALU_CYCLE_1) | instskip(SKIP_1) | instid1(SALU_CYCLE_1)
	s_and_not1_b32 s16, s16, exec_lo
	s_and_b32 s18, s19, exec_lo
	s_or_b32 s16, s16, s18
.LBB223_63:                             ;   in Loop: Header=BB223_52 Depth=2
	s_or_b32 exec_lo, exec_lo, s17
	s_delay_alu instid0(SALU_CYCLE_1)
	s_and_b32 s16, s16, exec_lo
                                        ; implicit-def: $vgpr11
.LBB223_64:                             ;   in Loop: Header=BB223_52 Depth=2
	s_and_not1_saveexec_b32 s15, s15
	s_cbranch_execz .LBB223_51
; %bb.65:                               ;   in Loop: Header=BB223_52 Depth=2
	v_mul_lo_u32 v12, v14, 12
	s_mov_b32 s17, 0
	s_delay_alu instid0(VALU_DEP_1)
	v_add_nc_u32_e32 v15, v11, v12
	ds_load_b64 v[11:12], v15 offset:1024
.LBB223_66:                             ;   Parent Loop BB223_50 Depth=1
                                        ;     Parent Loop BB223_52 Depth=2
                                        ; =>    This Inner Loop Header: Depth=3
	s_waitcnt lgkmcnt(0)
	v_add_f64 v[16:17], v[11:12], v[7:8]
	ds_cmpstore_rtn_b64 v[16:17], v15, v[16:17], v[11:12] offset:1024
	s_waitcnt lgkmcnt(0)
	v_cmp_eq_u64_e32 vcc_lo, v[16:17], v[11:12]
	v_dual_mov_b32 v11, v16 :: v_dual_mov_b32 v12, v17
	s_or_b32 s17, vcc_lo, s17
	s_delay_alu instid0(SALU_CYCLE_1)
	s_and_not1_b32 exec_lo, exec_lo, s17
	s_cbranch_execnz .LBB223_66
; %bb.67:                               ;   in Loop: Header=BB223_52 Depth=2
	s_or_b32 exec_lo, exec_lo, s17
	ds_load_b64 v[11:12], v15 offset:1032
	s_mov_b32 s17, 0
.LBB223_68:                             ;   Parent Loop BB223_50 Depth=1
                                        ;     Parent Loop BB223_52 Depth=2
                                        ; =>    This Inner Loop Header: Depth=3
	s_waitcnt lgkmcnt(0)
	v_add_f64 v[16:17], v[11:12], v[9:10]
	ds_cmpstore_rtn_b64 v[16:17], v15, v[16:17], v[11:12] offset:1032
	s_waitcnt lgkmcnt(0)
	v_cmp_eq_u64_e32 vcc_lo, v[16:17], v[11:12]
	v_dual_mov_b32 v11, v16 :: v_dual_mov_b32 v12, v17
	s_or_b32 s17, vcc_lo, s17
	s_delay_alu instid0(SALU_CYCLE_1)
	s_and_not1_b32 exec_lo, exec_lo, s17
	s_cbranch_execnz .LBB223_68
; %bb.69:                               ;   in Loop: Header=BB223_52 Depth=2
	s_or_b32 exec_lo, exec_lo, s17
	s_delay_alu instid0(SALU_CYCLE_1)
	s_and_not1_b32 s16, s16, exec_lo
	s_branch .LBB223_51
.LBB223_70:
	s_or_b32 exec_lo, exec_lo, s3
	s_ashr_i32 s3, s2, 31
	s_mov_b32 s4, exec_lo
	s_lshl_b64 s[0:1], s[2:3], 3
	s_delay_alu instid0(SALU_CYCLE_1) | instskip(SKIP_4) | instid1(SALU_CYCLE_1)
	s_add_u32 s0, s10, s0
	s_addc_u32 s1, s11, s1
	s_load_b128 s[0:3], s[0:1], 0x0
	s_waitcnt lgkmcnt(0)
	s_sub_i32 s3, s2, s0
	v_cmpx_gt_i32_e64 s3, v0
	s_cbranch_execz .LBB223_80
; %bb.71:
	s_sub_u32 s4, s0, s26
	s_subb_u32 s5, s1, 0
	s_sub_i32 s0, s0, s2
	s_and_b32 s1, s3, 7
	s_cmp_lt_u32 s0, -7
	s_mov_b32 s8, 0
	s_cselect_b32 s2, -1, 0
	s_and_b32 s6, s3, -8
	s_cmp_lg_u32 s1, 0
	s_cselect_b32 s7, -1, 0
	s_branch .LBB223_73
.LBB223_72:                             ;   in Loop: Header=BB223_73 Depth=1
	s_waitcnt lgkmcnt(0)
	v_mad_u64_u32 v[4:5], null, v0, 12, v[1:2]
	v_lshlrev_b64 v[1:2], 4, v[2:3]
	v_add_nc_u32_e32 v0, 0x80, v0
	s_delay_alu instid0(VALU_DEP_1) | instskip(SKIP_2) | instid1(VALU_DEP_1)
	v_cmp_le_i32_e32 vcc_lo, s3, v0
	ds_load_2addr_b64 v[4:7], v4 offset0:128 offset1:129
	v_add_co_u32 v1, s0, s12, v1
	v_add_co_ci_u32_e64 v2, s0, s13, v2, s0
	s_or_b32 s8, vcc_lo, s8
	s_waitcnt lgkmcnt(0)
	global_store_b128 v[1:2], v[4:7], off
	s_and_not1_b32 exec_lo, exec_lo, s8
	s_cbranch_execz .LBB223_80
.LBB223_73:                             ; =>This Loop Header: Depth=1
                                        ;     Child Loop BB223_75 Depth 2
                                        ;     Child Loop BB223_79 Depth 2
	v_lshl_add_u32 v1, v0, 2, 0
	v_dual_mov_b32 v2, s4 :: v_dual_mov_b32 v3, s5
	s_and_not1_b32 vcc_lo, exec_lo, s2
	s_mov_b32 s0, 0
	ds_load_b32 v4, v1
	s_cbranch_vccnz .LBB223_77
; %bb.74:                               ;   in Loop: Header=BB223_73 Depth=1
	v_dual_mov_b32 v2, s4 :: v_dual_mov_b32 v3, s5
	s_mov_b32 s9, 0
	s_mov_b32 s10, 0
.LBB223_75:                             ;   Parent Loop BB223_73 Depth=1
                                        ; =>  This Inner Loop Header: Depth=2
	s_delay_alu instid0(SALU_CYCLE_1)
	v_mov_b32_e32 v11, s10
	s_add_i32 s9, s9, 8
	s_add_i32 s10, s10, 32
	s_cmp_eq_u32 s6, s9
	ds_load_2addr_b32 v[5:6], v11 offset1:1
	ds_load_2addr_b32 v[7:8], v11 offset0:2 offset1:3
	ds_load_2addr_b32 v[9:10], v11 offset0:4 offset1:5
	ds_load_2addr_b32 v[11:12], v11 offset0:6 offset1:7
	s_waitcnt lgkmcnt(3)
	v_cmp_gt_i32_e32 vcc_lo, v4, v5
	v_cndmask_b32_e64 v5, 0, 1, vcc_lo
	v_cmp_gt_i32_e32 vcc_lo, v4, v6
	v_cndmask_b32_e64 v6, 0, 1, vcc_lo
	s_waitcnt lgkmcnt(2)
	v_cmp_gt_i32_e32 vcc_lo, v4, v7
	v_cndmask_b32_e64 v7, 0, 1, vcc_lo
	v_cmp_gt_i32_e32 vcc_lo, v4, v8
	v_cndmask_b32_e64 v8, 0, 1, vcc_lo
	s_waitcnt lgkmcnt(1)
	v_cmp_gt_i32_e32 vcc_lo, v4, v9
	v_cndmask_b32_e64 v9, 0, 1, vcc_lo
	v_add_co_u32 v2, vcc_lo, v2, v5
	v_add_co_ci_u32_e32 v3, vcc_lo, 0, v3, vcc_lo
	v_cmp_gt_i32_e32 vcc_lo, v4, v10
	s_delay_alu instid0(VALU_DEP_3) | instskip(NEXT) | instid1(VALU_DEP_1)
	v_add_co_u32 v2, s0, v2, v6
	v_add_co_ci_u32_e64 v3, s0, 0, v3, s0
	v_cndmask_b32_e64 v5, 0, 1, vcc_lo
	s_delay_alu instid0(VALU_DEP_3) | instskip(NEXT) | instid1(VALU_DEP_3)
	v_add_co_u32 v2, vcc_lo, v2, v7
	v_add_co_ci_u32_e32 v3, vcc_lo, 0, v3, vcc_lo
	s_waitcnt lgkmcnt(0)
	v_cmp_gt_i32_e32 vcc_lo, v4, v11
	s_delay_alu instid0(VALU_DEP_3) | instskip(NEXT) | instid1(VALU_DEP_1)
	v_add_co_u32 v2, s0, v2, v8
	v_add_co_ci_u32_e64 v3, s0, 0, v3, s0
	v_cndmask_b32_e64 v6, 0, 1, vcc_lo
	s_delay_alu instid0(VALU_DEP_3) | instskip(NEXT) | instid1(VALU_DEP_3)
	v_add_co_u32 v2, vcc_lo, v2, v9
	v_add_co_ci_u32_e32 v3, vcc_lo, 0, v3, vcc_lo
	v_cmp_gt_i32_e32 vcc_lo, v4, v12
	s_delay_alu instid0(VALU_DEP_3) | instskip(NEXT) | instid1(VALU_DEP_1)
	v_add_co_u32 v2, s0, v2, v5
	v_add_co_ci_u32_e64 v3, s0, 0, v3, s0
	v_cndmask_b32_e64 v5, 0, 1, vcc_lo
	s_delay_alu instid0(VALU_DEP_3) | instskip(NEXT) | instid1(VALU_DEP_3)
	v_add_co_u32 v2, vcc_lo, v2, v6
	v_add_co_ci_u32_e32 v3, vcc_lo, 0, v3, vcc_lo
	s_delay_alu instid0(VALU_DEP_2) | instskip(NEXT) | instid1(VALU_DEP_2)
	v_add_co_u32 v2, vcc_lo, v2, v5
	v_add_co_ci_u32_e32 v3, vcc_lo, 0, v3, vcc_lo
	s_cbranch_scc0 .LBB223_75
; %bb.76:                               ;   in Loop: Header=BB223_73 Depth=1
	s_mov_b32 s0, s6
.LBB223_77:                             ;   in Loop: Header=BB223_73 Depth=1
	s_and_not1_b32 vcc_lo, exec_lo, s7
	s_cbranch_vccnz .LBB223_72
; %bb.78:                               ;   in Loop: Header=BB223_73 Depth=1
	s_lshl_b32 s0, s0, 2
	s_mov_b32 s9, s1
	s_add_i32 s0, s0, 0
.LBB223_79:                             ;   Parent Loop BB223_73 Depth=1
                                        ; =>  This Inner Loop Header: Depth=2
	s_delay_alu instid0(SALU_CYCLE_1)
	v_mov_b32_e32 v5, s0
	s_add_i32 s9, s9, -1
	s_add_i32 s0, s0, 4
	s_cmp_lg_u32 s9, 0
	ds_load_b32 v5, v5
	s_waitcnt lgkmcnt(0)
	v_cmp_gt_i32_e32 vcc_lo, v4, v5
	v_cndmask_b32_e64 v5, 0, 1, vcc_lo
	s_delay_alu instid0(VALU_DEP_1)
	v_add_co_u32 v2, vcc_lo, v2, v5
	v_add_co_ci_u32_e32 v3, vcc_lo, 0, v3, vcc_lo
	s_cbranch_scc1 .LBB223_79
	s_branch .LBB223_72
.LBB223_80:
	s_nop 0
	s_sendmsg sendmsg(MSG_DEALLOC_VGPRS)
	s_endpgm
	.section	.rodata,"a",@progbits
	.p2align	6, 0x0
	.amdhsa_kernel _ZN9rocsparseL41csrgemm_numeric_fill_block_per_row_kernelILj128ELj16ELj256ELj137ELj64Eli21rocsparse_complex_numIdEEEvT5_PKS3_S5_NS_24const_host_device_scalarIT6_EEPKT4_S5_PKS7_SB_S5_SD_S8_SB_S5_SD_SB_S5_PS7_21rocsparse_index_base_SF_SF_SF_bbb
		.amdhsa_group_segment_fixed_size 0
		.amdhsa_private_segment_fixed_size 40
		.amdhsa_kernarg_size 172
		.amdhsa_user_sgpr_count 15
		.amdhsa_user_sgpr_dispatch_ptr 0
		.amdhsa_user_sgpr_queue_ptr 0
		.amdhsa_user_sgpr_kernarg_segment_ptr 1
		.amdhsa_user_sgpr_dispatch_id 0
		.amdhsa_user_sgpr_private_segment_size 0
		.amdhsa_wavefront_size32 1
		.amdhsa_uses_dynamic_stack 0
		.amdhsa_enable_private_segment 1
		.amdhsa_system_sgpr_workgroup_id_x 1
		.amdhsa_system_sgpr_workgroup_id_y 0
		.amdhsa_system_sgpr_workgroup_id_z 0
		.amdhsa_system_sgpr_workgroup_info 0
		.amdhsa_system_vgpr_workitem_id 0
		.amdhsa_next_free_vgpr 36
		.amdhsa_next_free_sgpr 42
		.amdhsa_reserve_vcc 1
		.amdhsa_float_round_mode_32 0
		.amdhsa_float_round_mode_16_64 0
		.amdhsa_float_denorm_mode_32 3
		.amdhsa_float_denorm_mode_16_64 3
		.amdhsa_dx10_clamp 1
		.amdhsa_ieee_mode 1
		.amdhsa_fp16_overflow 0
		.amdhsa_workgroup_processor_mode 1
		.amdhsa_memory_ordered 1
		.amdhsa_forward_progress 0
		.amdhsa_shared_vgpr_count 0
		.amdhsa_exception_fp_ieee_invalid_op 0
		.amdhsa_exception_fp_denorm_src 0
		.amdhsa_exception_fp_ieee_div_zero 0
		.amdhsa_exception_fp_ieee_overflow 0
		.amdhsa_exception_fp_ieee_underflow 0
		.amdhsa_exception_fp_ieee_inexact 0
		.amdhsa_exception_int_div_zero 0
	.end_amdhsa_kernel
	.section	.text._ZN9rocsparseL41csrgemm_numeric_fill_block_per_row_kernelILj128ELj16ELj256ELj137ELj64Eli21rocsparse_complex_numIdEEEvT5_PKS3_S5_NS_24const_host_device_scalarIT6_EEPKT4_S5_PKS7_SB_S5_SD_S8_SB_S5_SD_SB_S5_PS7_21rocsparse_index_base_SF_SF_SF_bbb,"axG",@progbits,_ZN9rocsparseL41csrgemm_numeric_fill_block_per_row_kernelILj128ELj16ELj256ELj137ELj64Eli21rocsparse_complex_numIdEEEvT5_PKS3_S5_NS_24const_host_device_scalarIT6_EEPKT4_S5_PKS7_SB_S5_SD_S8_SB_S5_SD_SB_S5_PS7_21rocsparse_index_base_SF_SF_SF_bbb,comdat
.Lfunc_end223:
	.size	_ZN9rocsparseL41csrgemm_numeric_fill_block_per_row_kernelILj128ELj16ELj256ELj137ELj64Eli21rocsparse_complex_numIdEEEvT5_PKS3_S5_NS_24const_host_device_scalarIT6_EEPKT4_S5_PKS7_SB_S5_SD_S8_SB_S5_SD_SB_S5_PS7_21rocsparse_index_base_SF_SF_SF_bbb, .Lfunc_end223-_ZN9rocsparseL41csrgemm_numeric_fill_block_per_row_kernelILj128ELj16ELj256ELj137ELj64Eli21rocsparse_complex_numIdEEEvT5_PKS3_S5_NS_24const_host_device_scalarIT6_EEPKT4_S5_PKS7_SB_S5_SD_S8_SB_S5_SD_SB_S5_PS7_21rocsparse_index_base_SF_SF_SF_bbb
                                        ; -- End function
	.section	.AMDGPU.csdata,"",@progbits
; Kernel info:
; codeLenInByte = 3604
; NumSgprs: 44
; NumVgprs: 36
; ScratchSize: 40
; MemoryBound: 0
; FloatMode: 240
; IeeeMode: 1
; LDSByteSize: 0 bytes/workgroup (compile time only)
; SGPRBlocks: 5
; VGPRBlocks: 4
; NumSGPRsForWavesPerEU: 44
; NumVGPRsForWavesPerEU: 36
; Occupancy: 16
; WaveLimiterHint : 1
; COMPUTE_PGM_RSRC2:SCRATCH_EN: 1
; COMPUTE_PGM_RSRC2:USER_SGPR: 15
; COMPUTE_PGM_RSRC2:TRAP_HANDLER: 0
; COMPUTE_PGM_RSRC2:TGID_X_EN: 1
; COMPUTE_PGM_RSRC2:TGID_Y_EN: 0
; COMPUTE_PGM_RSRC2:TGID_Z_EN: 0
; COMPUTE_PGM_RSRC2:TIDIG_COMP_CNT: 0
	.section	.text._ZN9rocsparseL41csrgemm_numeric_fill_block_per_row_kernelILj256ELj32ELj512ELj137ELj32Eli21rocsparse_complex_numIdEEEvT5_PKS3_S5_NS_24const_host_device_scalarIT6_EEPKT4_S5_PKS7_SB_S5_SD_S8_SB_S5_SD_SB_S5_PS7_21rocsparse_index_base_SF_SF_SF_bbb,"axG",@progbits,_ZN9rocsparseL41csrgemm_numeric_fill_block_per_row_kernelILj256ELj32ELj512ELj137ELj32Eli21rocsparse_complex_numIdEEEvT5_PKS3_S5_NS_24const_host_device_scalarIT6_EEPKT4_S5_PKS7_SB_S5_SD_S8_SB_S5_SD_SB_S5_PS7_21rocsparse_index_base_SF_SF_SF_bbb,comdat
	.globl	_ZN9rocsparseL41csrgemm_numeric_fill_block_per_row_kernelILj256ELj32ELj512ELj137ELj32Eli21rocsparse_complex_numIdEEEvT5_PKS3_S5_NS_24const_host_device_scalarIT6_EEPKT4_S5_PKS7_SB_S5_SD_S8_SB_S5_SD_SB_S5_PS7_21rocsparse_index_base_SF_SF_SF_bbb ; -- Begin function _ZN9rocsparseL41csrgemm_numeric_fill_block_per_row_kernelILj256ELj32ELj512ELj137ELj32Eli21rocsparse_complex_numIdEEEvT5_PKS3_S5_NS_24const_host_device_scalarIT6_EEPKT4_S5_PKS7_SB_S5_SD_S8_SB_S5_SD_SB_S5_PS7_21rocsparse_index_base_SF_SF_SF_bbb
	.p2align	8
	.type	_ZN9rocsparseL41csrgemm_numeric_fill_block_per_row_kernelILj256ELj32ELj512ELj137ELj32Eli21rocsparse_complex_numIdEEEvT5_PKS3_S5_NS_24const_host_device_scalarIT6_EEPKT4_S5_PKS7_SB_S5_SD_S8_SB_S5_SD_SB_S5_PS7_21rocsparse_index_base_SF_SF_SF_bbb,@function
_ZN9rocsparseL41csrgemm_numeric_fill_block_per_row_kernelILj256ELj32ELj512ELj137ELj32Eli21rocsparse_complex_numIdEEEvT5_PKS3_S5_NS_24const_host_device_scalarIT6_EEPKT4_S5_PKS7_SB_S5_SD_S8_SB_S5_SD_SB_S5_PS7_21rocsparse_index_base_SF_SF_SF_bbb: ; @_ZN9rocsparseL41csrgemm_numeric_fill_block_per_row_kernelILj256ELj32ELj512ELj137ELj32Eli21rocsparse_complex_numIdEEEvT5_PKS3_S5_NS_24const_host_device_scalarIT6_EEPKT4_S5_PKS7_SB_S5_SD_S8_SB_S5_SD_SB_S5_PS7_21rocsparse_index_base_SF_SF_SF_bbb
; %bb.0:
	s_clause 0x2
	s_load_b32 s12, s[0:1], 0xa8
	s_load_b128 s[8:11], s[0:1], 0x18
	s_load_b128 s[4:7], s[0:1], 0x58
	v_mov_b32_e32 v1, 0
	v_mov_b32_e32 v2, 0
	s_waitcnt lgkmcnt(0)
	s_bitcmp1_b32 s12, 0
	v_mov_b32_e32 v3, s8
	s_cselect_b32 s35, -1, 0
	s_bitcmp1_b32 s12, 16
	v_dual_mov_b32 v6, v2 :: v_dual_mov_b32 v5, v1
	s_cselect_b32 s2, -1, 0
	v_mov_b32_e32 v4, s9
	s_xor_b32 s3, s2, -1
	v_dual_mov_b32 v10, s5 :: v_dual_mov_b32 v9, s4
	v_cndmask_b32_e64 v7, 0, 1, s3
	s_bitcmp0_b32 s12, 0
	s_clause 0x1
	scratch_store_b64 off, v[3:4], off offset:16
	scratch_store_b64 off, v[9:10], off offset:24
	v_cmp_ne_u32_e32 vcc_lo, 1, v7
	v_dual_mov_b32 v8, v2 :: v_dual_mov_b32 v7, v1
	s_cbranch_scc1 .LBB224_3
; %bb.1:
	s_mov_b64 s[16:17], src_private_base
	s_and_b32 s13, s2, exec_lo
	s_cselect_b32 s13, s17, s9
	s_delay_alu instid0(SALU_CYCLE_1) | instskip(SKIP_2) | instid1(VALU_DEP_2)
	v_dual_mov_b32 v3, 16 :: v_dual_mov_b32 v4, s13
	v_dual_mov_b32 v7, s10 :: v_dual_mov_b32 v8, s11
	s_and_b32 vcc_lo, exec_lo, vcc_lo
	v_cndmask_b32_e64 v3, s8, v3, s2
	flat_load_b64 v[5:6], v[3:4]
	s_cbranch_vccnz .LBB224_3
; %bb.2:
	v_dual_mov_b32 v3, s8 :: v_dual_mov_b32 v4, s9
	flat_load_b64 v[7:8], v[3:4] offset:8
.LBB224_3:
	s_load_b128 s[24:27], s[0:1], 0x98
	s_bitcmp1_b32 s12, 8
	v_dual_mov_b32 v4, v2 :: v_dual_mov_b32 v3, v1
	s_cselect_b32 s34, -1, 0
	s_bfe_u32 s8, s12, 0x10008
	s_delay_alu instid0(SALU_CYCLE_1)
	s_cmp_eq_u32 s8, 0
	s_cbranch_scc1 .LBB224_6
; %bb.4:
	s_mov_b64 s[8:9], src_private_base
	s_and_b32 s8, s2, exec_lo
	s_cselect_b32 s8, s9, s5
	s_delay_alu instid0(SALU_CYCLE_1) | instskip(SKIP_1) | instid1(VALU_DEP_1)
	v_dual_mov_b32 v1, 24 :: v_dual_mov_b32 v2, s8
	s_and_not1_b32 vcc_lo, exec_lo, s3
	v_cndmask_b32_e64 v1, s4, v1, s2
	flat_load_b64 v[3:4], v[1:2]
	v_dual_mov_b32 v1, s6 :: v_dual_mov_b32 v2, s7
	s_cbranch_vccnz .LBB224_6
; %bb.5:
	v_dual_mov_b32 v1, s4 :: v_dual_mov_b32 v2, s5
	flat_load_b64 v[1:2], v[1:2] offset:8
.LBB224_6:
	s_clause 0x5
	s_load_b64 s[12:13], s[0:1], 0x90
	s_load_b256 s[4:11], s[0:1], 0x68
	s_load_b128 s[28:31], s[0:1], 0x48
	s_load_b256 s[16:23], s[0:1], 0x28
	s_load_b128 s[36:39], s[0:1], 0x8
	s_load_b32 s33, s[0:1], 0x0
	v_cmp_gt_u32_e64 s0, 0x200, v0
	v_lshlrev_b32_e32 v27, 4, v0
	v_or_b32_e32 v25, 0xffffff00, v0
	v_lshl_add_u32 v26, v0, 2, 0
	s_delay_alu instid0(VALU_DEP_4)
	s_and_saveexec_b32 s1, s0
	s_cbranch_execz .LBB224_9
; %bb.7:
	s_mov_b32 s2, 0
	v_add3_u32 v13, v27, 0, 0x800
	s_mov_b32 s3, s2
	s_mov_b32 s40, s2
	;; [unrolled: 1-line block ×3, first 2 shown]
	v_dual_mov_b32 v10, s3 :: v_dual_mov_b32 v11, s40
	v_or_b32_e32 v14, 0xffffff00, v0
	v_lshl_add_u32 v15, v0, 2, 0
	s_waitcnt lgkmcnt(0)
	v_dual_mov_b32 v16, s33 :: v_dual_mov_b32 v9, s2
	v_mov_b32_e32 v12, s41
.LBB224_8:                              ; =>This Inner Loop Header: Depth=1
	v_add_co_u32 v14, s3, 0x100, v14
	s_delay_alu instid0(VALU_DEP_1)
	s_xor_b32 s3, s3, -1
	ds_store_b32 v15, v16
	ds_store_2addr_b64 v13, v[9:10], v[11:12] offset1:1
	v_add_nc_u32_e32 v13, 0x1000, v13
	v_add_nc_u32_e32 v15, 0x400, v15
	s_and_b32 s3, exec_lo, s3
	s_delay_alu instid0(SALU_CYCLE_1) | instskip(NEXT) | instid1(SALU_CYCLE_1)
	s_or_b32 s2, s3, s2
	s_and_not1_b32 exec_lo, exec_lo, s2
	s_cbranch_execnz .LBB224_8
.LBB224_9:
	s_or_b32 exec_lo, exec_lo, s1
	s_waitcnt vmcnt(0) lgkmcnt(0)
	s_waitcnt_vscnt null, 0x0
	s_barrier
	buffer_gl0_inv
	s_load_b32 s1, s[36:37], 0x0
	s_mov_b32 s3, 0
	v_lshrrev_b32_e32 v28, 5, v0
	s_waitcnt lgkmcnt(0)
	s_add_i32 s2, s1, s15
	s_delay_alu instid0(SALU_CYCLE_1) | instskip(NEXT) | instid1(SALU_CYCLE_1)
	s_lshl_b64 s[2:3], s[2:3], 2
	s_add_u32 s2, s38, s2
	s_addc_u32 s3, s39, s3
	s_and_b32 vcc_lo, exec_lo, s35
	s_load_b32 s14, s[2:3], 0x0
	s_cbranch_vccz .LBB224_37
; %bb.10:
	s_waitcnt lgkmcnt(0)
	s_ashr_i32 s15, s14, 31
	v_sub_co_u32 v9, s1, v28, s24
	s_lshl_b64 s[2:3], s[14:15], 3
	v_sub_co_ci_u32_e64 v10, null, 0, 0, s1
	s_add_u32 s2, s16, s2
	s_addc_u32 s3, s17, s3
	s_mov_b32 s1, exec_lo
	s_load_b128 s[36:39], s[2:3], 0x0
	s_waitcnt lgkmcnt(0)
	v_add_co_u32 v9, vcc_lo, s36, v9
	v_add_co_ci_u32_e32 v10, vcc_lo, s37, v10, vcc_lo
	s_sub_u32 s2, s38, s24
	s_subb_u32 s3, s39, 0
	s_delay_alu instid0(VALU_DEP_1) | instid1(SALU_CYCLE_1)
	v_cmpx_gt_i64_e64 s[2:3], v[9:10]
	s_cbranch_execz .LBB224_36
; %bb.11:
	v_and_b32_e32 v11, 31, v0
	s_mov_b32 s16, s25
	s_delay_alu instid0(VALU_DEP_1) | instskip(NEXT) | instid1(VALU_DEP_1)
	v_sub_co_u32 v29, s15, v11, s25
	v_sub_co_ci_u32_e64 v30, null, 0, 0, s15
	s_mov_b32 s15, 0
	s_branch .LBB224_13
.LBB224_12:                             ;   in Loop: Header=BB224_13 Depth=1
	s_or_b32 exec_lo, exec_lo, s17
	v_add_co_u32 v9, vcc_lo, v9, 8
	v_add_co_ci_u32_e32 v10, vcc_lo, 0, v10, vcc_lo
	s_delay_alu instid0(VALU_DEP_1) | instskip(SKIP_1) | instid1(SALU_CYCLE_1)
	v_cmp_le_i64_e32 vcc_lo, s[2:3], v[9:10]
	s_or_b32 s15, vcc_lo, s15
	s_and_not1_b32 exec_lo, exec_lo, s15
	s_cbranch_execz .LBB224_36
.LBB224_13:                             ; =>This Loop Header: Depth=1
                                        ;     Child Loop BB224_16 Depth 2
                                        ;       Child Loop BB224_18 Depth 3
                                        ;         Child Loop BB224_24 Depth 4
                                        ;         Child Loop BB224_26 Depth 4
	;; [unrolled: 1-line block ×4, first 2 shown]
	v_lshlrev_b64 v[11:12], 2, v[9:10]
	s_mov_b32 s17, exec_lo
	s_delay_alu instid0(VALU_DEP_1) | instskip(NEXT) | instid1(VALU_DEP_2)
	v_add_co_u32 v11, vcc_lo, s18, v11
	v_add_co_ci_u32_e32 v12, vcc_lo, s19, v12, vcc_lo
	global_load_b32 v11, v[11:12], off
	s_waitcnt vmcnt(0)
	v_subrev_nc_u32_e32 v11, s24, v11
	s_delay_alu instid0(VALU_DEP_1) | instskip(NEXT) | instid1(VALU_DEP_1)
	v_ashrrev_i32_e32 v12, 31, v11
	v_lshlrev_b64 v[11:12], 3, v[11:12]
	s_delay_alu instid0(VALU_DEP_1) | instskip(NEXT) | instid1(VALU_DEP_2)
	v_add_co_u32 v11, vcc_lo, s22, v11
	v_add_co_ci_u32_e32 v12, vcc_lo, s23, v12, vcc_lo
	global_load_b128 v[13:16], v[11:12], off
	s_waitcnt vmcnt(0)
	v_sub_co_u32 v11, vcc_lo, v15, s16
	v_subrev_co_ci_u32_e32 v12, vcc_lo, 0, v16, vcc_lo
	v_add_co_u32 v13, vcc_lo, v13, v29
	v_add_co_ci_u32_e32 v14, vcc_lo, v14, v30, vcc_lo
	s_delay_alu instid0(VALU_DEP_1)
	v_cmpx_lt_i64_e64 v[13:14], v[11:12]
	s_cbranch_execz .LBB224_12
; %bb.14:                               ;   in Loop: Header=BB224_13 Depth=1
	v_lshlrev_b64 v[15:16], 4, v[9:10]
	s_mov_b32 s35, 0
	s_delay_alu instid0(VALU_DEP_1) | instskip(NEXT) | instid1(VALU_DEP_2)
	v_add_co_u32 v15, vcc_lo, s20, v15
	v_add_co_ci_u32_e32 v16, vcc_lo, s21, v16, vcc_lo
	global_load_b128 v[17:20], v[15:16], off
	s_waitcnt vmcnt(0)
	v_mul_f64 v[15:16], v[19:20], -v[7:8]
	v_mul_f64 v[19:20], v[5:6], v[19:20]
	s_delay_alu instid0(VALU_DEP_2) | instskip(NEXT) | instid1(VALU_DEP_2)
	v_fma_f64 v[15:16], v[5:6], v[17:18], v[15:16]
	v_fma_f64 v[17:18], v[7:8], v[17:18], v[19:20]
	s_branch .LBB224_16
.LBB224_15:                             ;   in Loop: Header=BB224_16 Depth=2
	s_or_b32 exec_lo, exec_lo, s36
	v_add_co_u32 v13, vcc_lo, v13, 32
	v_add_co_ci_u32_e32 v14, vcc_lo, 0, v14, vcc_lo
	s_delay_alu instid0(VALU_DEP_1) | instskip(SKIP_1) | instid1(SALU_CYCLE_1)
	v_cmp_ge_i64_e32 vcc_lo, v[13:14], v[11:12]
	s_or_b32 s35, vcc_lo, s35
	s_and_not1_b32 exec_lo, exec_lo, s35
	s_cbranch_execz .LBB224_12
.LBB224_16:                             ;   Parent Loop BB224_13 Depth=1
                                        ; =>  This Loop Header: Depth=2
                                        ;       Child Loop BB224_18 Depth 3
                                        ;         Child Loop BB224_24 Depth 4
                                        ;         Child Loop BB224_26 Depth 4
                                        ;         Child Loop BB224_32 Depth 4
                                        ;         Child Loop BB224_34 Depth 4
	v_lshlrev_b64 v[19:20], 4, v[13:14]
	s_mov_b32 s36, 0
	s_delay_alu instid0(VALU_DEP_1) | instskip(NEXT) | instid1(VALU_DEP_2)
	v_add_co_u32 v19, vcc_lo, s30, v19
	v_add_co_ci_u32_e32 v20, vcc_lo, s31, v20, vcc_lo
	global_load_b128 v[21:24], v[19:20], off
	v_lshlrev_b64 v[19:20], 2, v[13:14]
	s_delay_alu instid0(VALU_DEP_1) | instskip(NEXT) | instid1(VALU_DEP_2)
	v_add_co_u32 v19, vcc_lo, s28, v19
	v_add_co_ci_u32_e32 v20, vcc_lo, s29, v20, vcc_lo
	global_load_b32 v31, v[19:20], off
	s_waitcnt vmcnt(1)
	v_mul_f64 v[19:20], v[23:24], -v[17:18]
	v_mul_f64 v[23:24], v[15:16], v[23:24]
	s_waitcnt vmcnt(0)
	v_subrev_nc_u32_e32 v31, s25, v31
	s_delay_alu instid0(VALU_DEP_3) | instskip(NEXT) | instid1(VALU_DEP_3)
	v_fma_f64 v[19:20], v[15:16], v[21:22], v[19:20]
	v_fma_f64 v[21:22], v[17:18], v[21:22], v[23:24]
	s_delay_alu instid0(VALU_DEP_3) | instskip(NEXT) | instid1(VALU_DEP_1)
	v_mul_lo_u32 v23, 0x89, v31
	v_and_b32_e32 v32, 0x1ff, v23
	s_branch .LBB224_18
.LBB224_17:                             ;   in Loop: Header=BB224_18 Depth=3
	s_or_b32 exec_lo, exec_lo, s37
	s_xor_b32 s37, s38, -1
	s_delay_alu instid0(SALU_CYCLE_1) | instskip(NEXT) | instid1(SALU_CYCLE_1)
	s_and_b32 s37, exec_lo, s37
	s_or_b32 s36, s37, s36
	s_delay_alu instid0(SALU_CYCLE_1)
	s_and_not1_b32 exec_lo, exec_lo, s36
	s_cbranch_execz .LBB224_15
.LBB224_18:                             ;   Parent Loop BB224_13 Depth=1
                                        ;     Parent Loop BB224_16 Depth=2
                                        ; =>    This Loop Header: Depth=3
                                        ;         Child Loop BB224_24 Depth 4
                                        ;         Child Loop BB224_26 Depth 4
	;; [unrolled: 1-line block ×4, first 2 shown]
	s_delay_alu instid0(VALU_DEP_1)
	v_lshl_add_u32 v23, v32, 2, 0
	s_mov_b32 s37, exec_lo
                                        ; implicit-def: $sgpr38
	ds_load_b32 v24, v23
	s_waitcnt lgkmcnt(0)
	v_cmpx_ne_u32_e64 v24, v31
	s_xor_b32 s37, exec_lo, s37
	s_cbranch_execz .LBB224_30
; %bb.19:                               ;   in Loop: Header=BB224_18 Depth=3
	s_mov_b32 s39, exec_lo
                                        ; implicit-def: $sgpr38
	v_cmpx_ne_u32_e64 s33, v24
	s_xor_b32 s39, exec_lo, s39
; %bb.20:                               ;   in Loop: Header=BB224_18 Depth=3
	v_add_nc_u32_e32 v23, 1, v32
	s_mov_b32 s38, -1
	s_delay_alu instid0(VALU_DEP_1)
	v_and_b32_e32 v32, 0x1ff, v23
                                        ; implicit-def: $vgpr23
; %bb.21:                               ;   in Loop: Header=BB224_18 Depth=3
	s_and_not1_saveexec_b32 s39, s39
	s_cbranch_execz .LBB224_29
; %bb.22:                               ;   in Loop: Header=BB224_18 Depth=3
	v_mov_b32_e32 v24, s33
	s_mov_b32 s41, -1
	s_mov_b32 s40, exec_lo
	ds_cmpstore_rtn_b32 v24, v23, v31, v24
	s_waitcnt lgkmcnt(0)
	v_cmpx_eq_u32_e64 s33, v24
	s_cbranch_execz .LBB224_28
; %bb.23:                               ;   in Loop: Header=BB224_18 Depth=3
	v_mul_lo_u32 v24, v32, 12
	s_mov_b32 s41, 0
	s_delay_alu instid0(VALU_DEP_1)
	v_add_nc_u32_e32 v33, v23, v24
	ds_load_b64 v[23:24], v33 offset:2048
.LBB224_24:                             ;   Parent Loop BB224_13 Depth=1
                                        ;     Parent Loop BB224_16 Depth=2
                                        ;       Parent Loop BB224_18 Depth=3
                                        ; =>      This Inner Loop Header: Depth=4
	s_waitcnt lgkmcnt(0)
	v_add_f64 v[34:35], v[23:24], v[19:20]
	ds_cmpstore_rtn_b64 v[34:35], v33, v[34:35], v[23:24] offset:2048
	s_waitcnt lgkmcnt(0)
	v_cmp_eq_u64_e32 vcc_lo, v[34:35], v[23:24]
	v_dual_mov_b32 v23, v34 :: v_dual_mov_b32 v24, v35
	s_or_b32 s41, vcc_lo, s41
	s_delay_alu instid0(SALU_CYCLE_1)
	s_and_not1_b32 exec_lo, exec_lo, s41
	s_cbranch_execnz .LBB224_24
; %bb.25:                               ;   in Loop: Header=BB224_18 Depth=3
	s_or_b32 exec_lo, exec_lo, s41
	ds_load_b64 v[23:24], v33 offset:2056
	s_mov_b32 s41, 0
.LBB224_26:                             ;   Parent Loop BB224_13 Depth=1
                                        ;     Parent Loop BB224_16 Depth=2
                                        ;       Parent Loop BB224_18 Depth=3
                                        ; =>      This Inner Loop Header: Depth=4
	s_waitcnt lgkmcnt(0)
	v_add_f64 v[34:35], v[23:24], v[21:22]
	ds_cmpstore_rtn_b64 v[34:35], v33, v[34:35], v[23:24] offset:2056
	s_waitcnt lgkmcnt(0)
	v_cmp_eq_u64_e32 vcc_lo, v[34:35], v[23:24]
	v_dual_mov_b32 v23, v34 :: v_dual_mov_b32 v24, v35
	s_or_b32 s41, vcc_lo, s41
	s_delay_alu instid0(SALU_CYCLE_1)
	s_and_not1_b32 exec_lo, exec_lo, s41
	s_cbranch_execnz .LBB224_26
; %bb.27:                               ;   in Loop: Header=BB224_18 Depth=3
	s_or_b32 exec_lo, exec_lo, s41
	s_delay_alu instid0(SALU_CYCLE_1)
	s_xor_b32 s41, exec_lo, -1
.LBB224_28:                             ;   in Loop: Header=BB224_18 Depth=3
	s_or_b32 exec_lo, exec_lo, s40
	s_delay_alu instid0(SALU_CYCLE_1) | instskip(SKIP_1) | instid1(SALU_CYCLE_1)
	s_and_not1_b32 s38, s38, exec_lo
	s_and_b32 s40, s41, exec_lo
	s_or_b32 s38, s38, s40
.LBB224_29:                             ;   in Loop: Header=BB224_18 Depth=3
	s_or_b32 exec_lo, exec_lo, s39
	s_delay_alu instid0(SALU_CYCLE_1)
	s_and_b32 s38, s38, exec_lo
                                        ; implicit-def: $vgpr23
.LBB224_30:                             ;   in Loop: Header=BB224_18 Depth=3
	s_and_not1_saveexec_b32 s37, s37
	s_cbranch_execz .LBB224_17
; %bb.31:                               ;   in Loop: Header=BB224_18 Depth=3
	v_mul_lo_u32 v24, v32, 12
	s_mov_b32 s39, 0
	s_delay_alu instid0(VALU_DEP_1)
	v_add_nc_u32_e32 v33, v23, v24
	ds_load_b64 v[23:24], v33 offset:2048
.LBB224_32:                             ;   Parent Loop BB224_13 Depth=1
                                        ;     Parent Loop BB224_16 Depth=2
                                        ;       Parent Loop BB224_18 Depth=3
                                        ; =>      This Inner Loop Header: Depth=4
	s_waitcnt lgkmcnt(0)
	v_add_f64 v[34:35], v[23:24], v[19:20]
	ds_cmpstore_rtn_b64 v[34:35], v33, v[34:35], v[23:24] offset:2048
	s_waitcnt lgkmcnt(0)
	v_cmp_eq_u64_e32 vcc_lo, v[34:35], v[23:24]
	v_dual_mov_b32 v23, v34 :: v_dual_mov_b32 v24, v35
	s_or_b32 s39, vcc_lo, s39
	s_delay_alu instid0(SALU_CYCLE_1)
	s_and_not1_b32 exec_lo, exec_lo, s39
	s_cbranch_execnz .LBB224_32
; %bb.33:                               ;   in Loop: Header=BB224_18 Depth=3
	s_or_b32 exec_lo, exec_lo, s39
	ds_load_b64 v[23:24], v33 offset:2056
	s_mov_b32 s39, 0
.LBB224_34:                             ;   Parent Loop BB224_13 Depth=1
                                        ;     Parent Loop BB224_16 Depth=2
                                        ;       Parent Loop BB224_18 Depth=3
                                        ; =>      This Inner Loop Header: Depth=4
	s_waitcnt lgkmcnt(0)
	v_add_f64 v[34:35], v[23:24], v[21:22]
	ds_cmpstore_rtn_b64 v[34:35], v33, v[34:35], v[23:24] offset:2056
	s_waitcnt lgkmcnt(0)
	v_cmp_eq_u64_e32 vcc_lo, v[34:35], v[23:24]
	v_dual_mov_b32 v23, v34 :: v_dual_mov_b32 v24, v35
	s_or_b32 s39, vcc_lo, s39
	s_delay_alu instid0(SALU_CYCLE_1)
	s_and_not1_b32 exec_lo, exec_lo, s39
	s_cbranch_execnz .LBB224_34
; %bb.35:                               ;   in Loop: Header=BB224_18 Depth=3
	s_or_b32 exec_lo, exec_lo, s39
	s_delay_alu instid0(SALU_CYCLE_1)
	s_and_not1_b32 s38, s38, exec_lo
	s_branch .LBB224_17
.LBB224_36:
	s_or_b32 exec_lo, exec_lo, s1
.LBB224_37:
	s_delay_alu instid0(SALU_CYCLE_1)
	s_and_not1_b32 vcc_lo, exec_lo, s34
	s_cbranch_vccnz .LBB224_40
; %bb.38:
	s_waitcnt lgkmcnt(0)
	s_ashr_i32 s15, s14, 31
	v_sub_co_u32 v5, s1, v0, s27
	s_lshl_b64 s[2:3], s[14:15], 3
	v_sub_co_ci_u32_e64 v6, null, 0, 0, s1
	s_add_u32 s2, s4, s2
	s_addc_u32 s3, s5, s3
	s_mov_b32 s4, 0
	s_load_b128 s[16:19], s[2:3], 0x0
	s_mov_b32 s1, exec_lo
	s_waitcnt lgkmcnt(0)
	v_add_co_u32 v5, vcc_lo, s16, v5
	v_add_co_ci_u32_e32 v6, vcc_lo, s17, v6, vcc_lo
	s_sub_u32 s2, s18, s27
	s_subb_u32 s3, s19, 0
	s_delay_alu instid0(VALU_DEP_1) | instid1(SALU_CYCLE_1)
	v_cmpx_gt_i64_e64 s[2:3], v[5:6]
	s_cbranch_execnz .LBB224_62
.LBB224_39:
	s_or_b32 exec_lo, exec_lo, s1
.LBB224_40:
	s_waitcnt lgkmcnt(0)
	s_barrier
	buffer_gl0_inv
	s_and_saveexec_b32 s8, s0
	s_cbranch_execz .LBB224_82
; %bb.41:
	v_mbcnt_lo_u32_b32 v1, -1, 0
	v_lshl_add_u32 v3, v28, 2, 0
	v_cmp_eq_u32_e32 vcc_lo, 0xff, v0
	v_cmp_lt_u32_e64 s0, 31, v0
	v_cmp_lt_u32_e64 s1, 63, v0
	v_xor_b32_e32 v1, 63, v1
	v_cmp_lt_u32_e64 s2, 0x5f, v0
	v_cmp_lt_u32_e64 s3, 0x7f, v0
	;; [unrolled: 1-line block ×4, first 2 shown]
	v_lshrrev_b64 v[1:2], v1, -1
	v_cmp_lt_u32_e64 s6, 0xdf, v0
	v_add3_u32 v2, v27, 0, 0x800
	v_dual_mov_b32 v4, 0 :: v_dual_mov_b32 v5, 0
	s_mov_b32 s9, 0
	s_branch .LBB224_43
.LBB224_42:                             ;   in Loop: Header=BB224_43 Depth=1
	s_or_b32 exec_lo, exec_lo, s7
	s_waitcnt lgkmcnt(0)
	s_barrier
	buffer_gl0_inv
	ds_load_b32 v6, v4 offset:10268
	v_add_co_u32 v25, s7, 0x100, v25
	s_delay_alu instid0(VALU_DEP_1) | instskip(SKIP_3) | instid1(SALU_CYCLE_1)
	s_xor_b32 s7, s7, -1
	v_add_nc_u32_e32 v2, 0x1000, v2
	v_add_nc_u32_e32 v26, 0x400, v26
	s_and_b32 s7, exec_lo, s7
	s_or_b32 s9, s7, s9
	s_waitcnt lgkmcnt(0)
	v_add_nc_u32_e32 v5, v6, v5
	s_and_not1_b32 exec_lo, exec_lo, s9
	s_cbranch_execz .LBB224_82
.LBB224_43:                             ; =>This Inner Loop Header: Depth=1
	ds_load_b32 v6, v26
	ds_load_2addr_b64 v[7:10], v2 offset1:1
	s_waitcnt lgkmcnt(1)
	v_cmp_gt_i32_e64 s7, s33, v6
	s_waitcnt lgkmcnt(0)
	scratch_store_b128 off, v[7:10], off
	s_waitcnt_vscnt null, 0x0
	s_barrier
	buffer_gl0_inv
	s_bcnt1_i32_b32 s15, s7
	s_delay_alu instid0(SALU_CYCLE_1) | instskip(NEXT) | instid1(VALU_DEP_1)
	v_dual_mov_b32 v8, s15 :: v_dual_and_b32 v7, s7, v1
	v_bcnt_u32_b32 v7, v7, 0
	ds_store_b32 v3, v8 offset:10240
	s_waitcnt lgkmcnt(0)
	s_barrier
	buffer_gl0_inv
	s_and_saveexec_b32 s15, s0
	s_cbranch_execnz .LBB224_52
; %bb.44:                               ;   in Loop: Header=BB224_43 Depth=1
	s_or_b32 exec_lo, exec_lo, s15
	s_and_saveexec_b32 s15, s1
	s_cbranch_execnz .LBB224_53
.LBB224_45:                             ;   in Loop: Header=BB224_43 Depth=1
	s_or_b32 exec_lo, exec_lo, s15
	s_and_saveexec_b32 s15, s2
	s_cbranch_execnz .LBB224_54
.LBB224_46:                             ;   in Loop: Header=BB224_43 Depth=1
	s_or_b32 exec_lo, exec_lo, s15
	s_and_saveexec_b32 s15, s3
	s_cbranch_execnz .LBB224_55
.LBB224_47:                             ;   in Loop: Header=BB224_43 Depth=1
	s_or_b32 exec_lo, exec_lo, s15
	s_and_saveexec_b32 s15, s4
	s_cbranch_execnz .LBB224_56
.LBB224_48:                             ;   in Loop: Header=BB224_43 Depth=1
	s_or_b32 exec_lo, exec_lo, s15
	s_and_saveexec_b32 s15, s5
	s_cbranch_execnz .LBB224_57
.LBB224_49:                             ;   in Loop: Header=BB224_43 Depth=1
	s_or_b32 exec_lo, exec_lo, s15
	s_and_saveexec_b32 s15, s6
	s_cbranch_execnz .LBB224_58
.LBB224_50:                             ;   in Loop: Header=BB224_43 Depth=1
	s_or_b32 exec_lo, exec_lo, s15
	s_and_saveexec_b32 s15, s7
	s_cbranch_execnz .LBB224_59
.LBB224_51:                             ;   in Loop: Header=BB224_43 Depth=1
	s_or_b32 exec_lo, exec_lo, s15
	s_and_saveexec_b32 s7, vcc_lo
	s_cbranch_execz .LBB224_42
	s_branch .LBB224_60
.LBB224_52:                             ;   in Loop: Header=BB224_43 Depth=1
	ds_load_b32 v8, v4 offset:10240
	s_waitcnt lgkmcnt(0)
	v_add_nc_u32_e32 v7, v8, v7
	s_or_b32 exec_lo, exec_lo, s15
	s_and_saveexec_b32 s15, s1
	s_cbranch_execz .LBB224_45
.LBB224_53:                             ;   in Loop: Header=BB224_43 Depth=1
	ds_load_b32 v8, v4 offset:10244
	s_waitcnt lgkmcnt(0)
	v_add_nc_u32_e32 v7, v8, v7
	s_or_b32 exec_lo, exec_lo, s15
	s_and_saveexec_b32 s15, s2
	s_cbranch_execz .LBB224_46
.LBB224_54:                             ;   in Loop: Header=BB224_43 Depth=1
	ds_load_b32 v8, v4 offset:10248
	s_waitcnt lgkmcnt(0)
	v_add_nc_u32_e32 v7, v8, v7
	s_or_b32 exec_lo, exec_lo, s15
	s_and_saveexec_b32 s15, s3
	s_cbranch_execz .LBB224_47
.LBB224_55:                             ;   in Loop: Header=BB224_43 Depth=1
	ds_load_b32 v8, v4 offset:10252
	s_waitcnt lgkmcnt(0)
	v_add_nc_u32_e32 v7, v8, v7
	s_or_b32 exec_lo, exec_lo, s15
	s_and_saveexec_b32 s15, s4
	s_cbranch_execz .LBB224_48
.LBB224_56:                             ;   in Loop: Header=BB224_43 Depth=1
	ds_load_b32 v8, v4 offset:10256
	s_waitcnt lgkmcnt(0)
	v_add_nc_u32_e32 v7, v8, v7
	s_or_b32 exec_lo, exec_lo, s15
	s_and_saveexec_b32 s15, s5
	s_cbranch_execz .LBB224_49
.LBB224_57:                             ;   in Loop: Header=BB224_43 Depth=1
	ds_load_b32 v8, v4 offset:10260
	s_waitcnt lgkmcnt(0)
	v_add_nc_u32_e32 v7, v8, v7
	s_or_b32 exec_lo, exec_lo, s15
	s_and_saveexec_b32 s15, s6
	s_cbranch_execz .LBB224_50
.LBB224_58:                             ;   in Loop: Header=BB224_43 Depth=1
	ds_load_b32 v8, v4 offset:10264
	s_waitcnt lgkmcnt(0)
	v_add_nc_u32_e32 v7, v8, v7
	s_or_b32 exec_lo, exec_lo, s15
	s_and_saveexec_b32 s15, s7
	s_cbranch_execz .LBB224_51
.LBB224_59:                             ;   in Loop: Header=BB224_43 Depth=1
	scratch_load_b128 v[8:11], off, off
	v_add3_u32 v12, v5, -1, v7
	s_delay_alu instid0(VALU_DEP_1) | instskip(SKIP_1) | instid1(VALU_DEP_2)
	v_lshlrev_b32_e32 v13, 4, v12
	v_lshl_add_u32 v12, v12, 2, 0
	v_add3_u32 v13, 0, v13, 0x800
	ds_store_b32 v12, v6
	s_waitcnt vmcnt(0)
	ds_store_2addr_b64 v13, v[8:9], v[10:11] offset1:1
	s_or_b32 exec_lo, exec_lo, s15
	s_and_saveexec_b32 s7, vcc_lo
	s_cbranch_execz .LBB224_42
.LBB224_60:                             ;   in Loop: Header=BB224_43 Depth=1
	ds_store_b32 v4, v7 offset:10268
	s_branch .LBB224_42
.LBB224_61:                             ;   in Loop: Header=BB224_62 Depth=1
	s_or_b32 exec_lo, exec_lo, s5
	v_add_co_u32 v5, vcc_lo, 0x100, v5
	v_add_co_ci_u32_e32 v6, vcc_lo, 0, v6, vcc_lo
	s_delay_alu instid0(VALU_DEP_1) | instskip(SKIP_1) | instid1(SALU_CYCLE_1)
	v_cmp_le_i64_e32 vcc_lo, s[2:3], v[5:6]
	s_or_b32 s4, vcc_lo, s4
	s_and_not1_b32 exec_lo, exec_lo, s4
	s_cbranch_execz .LBB224_39
.LBB224_62:                             ; =>This Loop Header: Depth=1
                                        ;     Child Loop BB224_64 Depth 2
                                        ;       Child Loop BB224_70 Depth 3
                                        ;       Child Loop BB224_72 Depth 3
	;; [unrolled: 1-line block ×4, first 2 shown]
	v_lshlrev_b64 v[7:8], 4, v[5:6]
	s_mov_b32 s5, 0
	s_delay_alu instid0(VALU_DEP_1) | instskip(NEXT) | instid1(VALU_DEP_2)
	v_add_co_u32 v7, vcc_lo, s8, v7
	v_add_co_ci_u32_e32 v8, vcc_lo, s9, v8, vcc_lo
	global_load_b128 v[9:12], v[7:8], off
	v_lshlrev_b64 v[7:8], 2, v[5:6]
	s_delay_alu instid0(VALU_DEP_1) | instskip(NEXT) | instid1(VALU_DEP_2)
	v_add_co_u32 v7, vcc_lo, s6, v7
	v_add_co_ci_u32_e32 v8, vcc_lo, s7, v8, vcc_lo
	global_load_b32 v13, v[7:8], off
	s_waitcnt vmcnt(1)
	v_mul_f64 v[7:8], v[11:12], -v[1:2]
	v_mul_f64 v[11:12], v[3:4], v[11:12]
	s_waitcnt vmcnt(0)
	v_subrev_nc_u32_e32 v13, s27, v13
	s_delay_alu instid0(VALU_DEP_3) | instskip(NEXT) | instid1(VALU_DEP_3)
	v_fma_f64 v[7:8], v[3:4], v[9:10], v[7:8]
	v_fma_f64 v[9:10], v[1:2], v[9:10], v[11:12]
	s_delay_alu instid0(VALU_DEP_3) | instskip(NEXT) | instid1(VALU_DEP_1)
	v_mul_lo_u32 v11, 0x89, v13
	v_and_b32_e32 v14, 0x1ff, v11
	s_branch .LBB224_64
.LBB224_63:                             ;   in Loop: Header=BB224_64 Depth=2
	s_or_b32 exec_lo, exec_lo, s15
	s_xor_b32 s15, s16, -1
	s_delay_alu instid0(SALU_CYCLE_1) | instskip(NEXT) | instid1(SALU_CYCLE_1)
	s_and_b32 s15, exec_lo, s15
	s_or_b32 s5, s15, s5
	s_delay_alu instid0(SALU_CYCLE_1)
	s_and_not1_b32 exec_lo, exec_lo, s5
	s_cbranch_execz .LBB224_61
.LBB224_64:                             ;   Parent Loop BB224_62 Depth=1
                                        ; =>  This Loop Header: Depth=2
                                        ;       Child Loop BB224_70 Depth 3
                                        ;       Child Loop BB224_72 Depth 3
	;; [unrolled: 1-line block ×4, first 2 shown]
	s_delay_alu instid0(VALU_DEP_1)
	v_lshl_add_u32 v11, v14, 2, 0
	s_mov_b32 s15, exec_lo
                                        ; implicit-def: $sgpr16
	ds_load_b32 v12, v11
	s_waitcnt lgkmcnt(0)
	v_cmpx_ne_u32_e64 v12, v13
	s_xor_b32 s15, exec_lo, s15
	s_cbranch_execz .LBB224_76
; %bb.65:                               ;   in Loop: Header=BB224_64 Depth=2
	s_mov_b32 s17, exec_lo
                                        ; implicit-def: $sgpr16
	v_cmpx_ne_u32_e64 s33, v12
	s_xor_b32 s17, exec_lo, s17
; %bb.66:                               ;   in Loop: Header=BB224_64 Depth=2
	v_add_nc_u32_e32 v11, 1, v14
	s_mov_b32 s16, -1
	s_delay_alu instid0(VALU_DEP_1)
	v_and_b32_e32 v14, 0x1ff, v11
                                        ; implicit-def: $vgpr11
; %bb.67:                               ;   in Loop: Header=BB224_64 Depth=2
	s_and_not1_saveexec_b32 s17, s17
	s_cbranch_execz .LBB224_75
; %bb.68:                               ;   in Loop: Header=BB224_64 Depth=2
	v_mov_b32_e32 v12, s33
	s_mov_b32 s19, -1
	s_mov_b32 s18, exec_lo
	ds_cmpstore_rtn_b32 v12, v11, v13, v12
	s_waitcnt lgkmcnt(0)
	v_cmpx_eq_u32_e64 s33, v12
	s_cbranch_execz .LBB224_74
; %bb.69:                               ;   in Loop: Header=BB224_64 Depth=2
	v_mul_lo_u32 v12, v14, 12
	s_mov_b32 s19, 0
	s_delay_alu instid0(VALU_DEP_1)
	v_add_nc_u32_e32 v15, v11, v12
	ds_load_b64 v[11:12], v15 offset:2048
.LBB224_70:                             ;   Parent Loop BB224_62 Depth=1
                                        ;     Parent Loop BB224_64 Depth=2
                                        ; =>    This Inner Loop Header: Depth=3
	s_waitcnt lgkmcnt(0)
	v_add_f64 v[16:17], v[11:12], v[7:8]
	ds_cmpstore_rtn_b64 v[16:17], v15, v[16:17], v[11:12] offset:2048
	s_waitcnt lgkmcnt(0)
	v_cmp_eq_u64_e32 vcc_lo, v[16:17], v[11:12]
	v_dual_mov_b32 v11, v16 :: v_dual_mov_b32 v12, v17
	s_or_b32 s19, vcc_lo, s19
	s_delay_alu instid0(SALU_CYCLE_1)
	s_and_not1_b32 exec_lo, exec_lo, s19
	s_cbranch_execnz .LBB224_70
; %bb.71:                               ;   in Loop: Header=BB224_64 Depth=2
	s_or_b32 exec_lo, exec_lo, s19
	ds_load_b64 v[11:12], v15 offset:2056
	s_mov_b32 s19, 0
.LBB224_72:                             ;   Parent Loop BB224_62 Depth=1
                                        ;     Parent Loop BB224_64 Depth=2
                                        ; =>    This Inner Loop Header: Depth=3
	s_waitcnt lgkmcnt(0)
	v_add_f64 v[16:17], v[11:12], v[9:10]
	ds_cmpstore_rtn_b64 v[16:17], v15, v[16:17], v[11:12] offset:2056
	s_waitcnt lgkmcnt(0)
	v_cmp_eq_u64_e32 vcc_lo, v[16:17], v[11:12]
	v_dual_mov_b32 v11, v16 :: v_dual_mov_b32 v12, v17
	s_or_b32 s19, vcc_lo, s19
	s_delay_alu instid0(SALU_CYCLE_1)
	s_and_not1_b32 exec_lo, exec_lo, s19
	s_cbranch_execnz .LBB224_72
; %bb.73:                               ;   in Loop: Header=BB224_64 Depth=2
	s_or_b32 exec_lo, exec_lo, s19
	s_delay_alu instid0(SALU_CYCLE_1)
	s_xor_b32 s19, exec_lo, -1
.LBB224_74:                             ;   in Loop: Header=BB224_64 Depth=2
	s_or_b32 exec_lo, exec_lo, s18
	s_delay_alu instid0(SALU_CYCLE_1) | instskip(SKIP_1) | instid1(SALU_CYCLE_1)
	s_and_not1_b32 s16, s16, exec_lo
	s_and_b32 s18, s19, exec_lo
	s_or_b32 s16, s16, s18
.LBB224_75:                             ;   in Loop: Header=BB224_64 Depth=2
	s_or_b32 exec_lo, exec_lo, s17
	s_delay_alu instid0(SALU_CYCLE_1)
	s_and_b32 s16, s16, exec_lo
                                        ; implicit-def: $vgpr11
.LBB224_76:                             ;   in Loop: Header=BB224_64 Depth=2
	s_and_not1_saveexec_b32 s15, s15
	s_cbranch_execz .LBB224_63
; %bb.77:                               ;   in Loop: Header=BB224_64 Depth=2
	v_mul_lo_u32 v12, v14, 12
	s_mov_b32 s17, 0
	s_delay_alu instid0(VALU_DEP_1)
	v_add_nc_u32_e32 v15, v11, v12
	ds_load_b64 v[11:12], v15 offset:2048
.LBB224_78:                             ;   Parent Loop BB224_62 Depth=1
                                        ;     Parent Loop BB224_64 Depth=2
                                        ; =>    This Inner Loop Header: Depth=3
	s_waitcnt lgkmcnt(0)
	v_add_f64 v[16:17], v[11:12], v[7:8]
	ds_cmpstore_rtn_b64 v[16:17], v15, v[16:17], v[11:12] offset:2048
	s_waitcnt lgkmcnt(0)
	v_cmp_eq_u64_e32 vcc_lo, v[16:17], v[11:12]
	v_dual_mov_b32 v11, v16 :: v_dual_mov_b32 v12, v17
	s_or_b32 s17, vcc_lo, s17
	s_delay_alu instid0(SALU_CYCLE_1)
	s_and_not1_b32 exec_lo, exec_lo, s17
	s_cbranch_execnz .LBB224_78
; %bb.79:                               ;   in Loop: Header=BB224_64 Depth=2
	s_or_b32 exec_lo, exec_lo, s17
	ds_load_b64 v[11:12], v15 offset:2056
	s_mov_b32 s17, 0
.LBB224_80:                             ;   Parent Loop BB224_62 Depth=1
                                        ;     Parent Loop BB224_64 Depth=2
                                        ; =>    This Inner Loop Header: Depth=3
	s_waitcnt lgkmcnt(0)
	v_add_f64 v[16:17], v[11:12], v[9:10]
	ds_cmpstore_rtn_b64 v[16:17], v15, v[16:17], v[11:12] offset:2056
	s_waitcnt lgkmcnt(0)
	v_cmp_eq_u64_e32 vcc_lo, v[16:17], v[11:12]
	v_dual_mov_b32 v11, v16 :: v_dual_mov_b32 v12, v17
	s_or_b32 s17, vcc_lo, s17
	s_delay_alu instid0(SALU_CYCLE_1)
	s_and_not1_b32 exec_lo, exec_lo, s17
	s_cbranch_execnz .LBB224_80
; %bb.81:                               ;   in Loop: Header=BB224_64 Depth=2
	s_or_b32 exec_lo, exec_lo, s17
	s_delay_alu instid0(SALU_CYCLE_1)
	s_and_not1_b32 s16, s16, exec_lo
	s_branch .LBB224_63
.LBB224_82:
	s_or_b32 exec_lo, exec_lo, s8
	s_ashr_i32 s15, s14, 31
	s_mov_b32 s4, exec_lo
	s_lshl_b64 s[0:1], s[14:15], 3
	s_delay_alu instid0(SALU_CYCLE_1) | instskip(SKIP_4) | instid1(SALU_CYCLE_1)
	s_add_u32 s0, s10, s0
	s_addc_u32 s1, s11, s1
	s_load_b128 s[0:3], s[0:1], 0x0
	s_waitcnt lgkmcnt(0)
	s_sub_i32 s3, s2, s0
	v_cmpx_gt_i32_e64 s3, v0
	s_cbranch_execz .LBB224_92
; %bb.83:
	s_sub_u32 s4, s0, s26
	s_subb_u32 s5, s1, 0
	s_sub_i32 s0, s0, s2
	s_and_b32 s1, s3, 7
	s_cmp_lt_u32 s0, -7
	s_mov_b32 s8, 0
	s_cselect_b32 s2, -1, 0
	s_and_b32 s6, s3, -8
	s_cmp_lg_u32 s1, 0
	s_cselect_b32 s7, -1, 0
	s_branch .LBB224_85
.LBB224_84:                             ;   in Loop: Header=BB224_85 Depth=1
	s_waitcnt lgkmcnt(0)
	v_mul_lo_u32 v4, v0, 12
	v_lshlrev_b64 v[1:2], 4, v[1:2]
	v_add_nc_u32_e32 v0, 0x100, v0
	s_delay_alu instid0(VALU_DEP_1) | instskip(NEXT) | instid1(VALU_DEP_4)
	v_cmp_le_i32_e32 vcc_lo, s3, v0
	v_add3_u32 v3, v3, v4, 0x800
	s_delay_alu instid0(VALU_DEP_4) | instskip(NEXT) | instid1(VALU_DEP_1)
	v_add_co_u32 v1, s0, s12, v1
	v_add_co_ci_u32_e64 v2, s0, s13, v2, s0
	ds_load_2addr_b64 v[3:6], v3 offset1:1
	s_or_b32 s8, vcc_lo, s8
	s_waitcnt lgkmcnt(0)
	global_store_b128 v[1:2], v[3:6], off
	s_and_not1_b32 exec_lo, exec_lo, s8
	s_cbranch_execz .LBB224_92
.LBB224_85:                             ; =>This Loop Header: Depth=1
                                        ;     Child Loop BB224_87 Depth 2
                                        ;     Child Loop BB224_91 Depth 2
	v_lshl_add_u32 v3, v0, 2, 0
	v_dual_mov_b32 v1, s4 :: v_dual_mov_b32 v2, s5
	s_and_not1_b32 vcc_lo, exec_lo, s2
	s_mov_b32 s0, 0
	ds_load_b32 v4, v3
	s_cbranch_vccnz .LBB224_89
; %bb.86:                               ;   in Loop: Header=BB224_85 Depth=1
	v_dual_mov_b32 v1, s4 :: v_dual_mov_b32 v2, s5
	s_mov_b32 s9, 0
	s_mov_b32 s10, 0
.LBB224_87:                             ;   Parent Loop BB224_85 Depth=1
                                        ; =>  This Inner Loop Header: Depth=2
	s_delay_alu instid0(SALU_CYCLE_1)
	v_mov_b32_e32 v11, s10
	s_add_i32 s9, s9, 8
	s_add_i32 s10, s10, 32
	s_cmp_eq_u32 s6, s9
	ds_load_2addr_b32 v[5:6], v11 offset1:1
	ds_load_2addr_b32 v[7:8], v11 offset0:2 offset1:3
	ds_load_2addr_b32 v[9:10], v11 offset0:4 offset1:5
	;; [unrolled: 1-line block ×3, first 2 shown]
	s_waitcnt lgkmcnt(3)
	v_cmp_gt_i32_e32 vcc_lo, v4, v5
	v_cndmask_b32_e64 v5, 0, 1, vcc_lo
	v_cmp_gt_i32_e32 vcc_lo, v4, v6
	v_cndmask_b32_e64 v6, 0, 1, vcc_lo
	s_waitcnt lgkmcnt(2)
	v_cmp_gt_i32_e32 vcc_lo, v4, v7
	v_cndmask_b32_e64 v7, 0, 1, vcc_lo
	v_cmp_gt_i32_e32 vcc_lo, v4, v8
	v_cndmask_b32_e64 v8, 0, 1, vcc_lo
	s_waitcnt lgkmcnt(1)
	v_cmp_gt_i32_e32 vcc_lo, v4, v9
	v_cndmask_b32_e64 v9, 0, 1, vcc_lo
	v_add_co_u32 v1, vcc_lo, v1, v5
	v_add_co_ci_u32_e32 v2, vcc_lo, 0, v2, vcc_lo
	v_cmp_gt_i32_e32 vcc_lo, v4, v10
	s_delay_alu instid0(VALU_DEP_3) | instskip(NEXT) | instid1(VALU_DEP_1)
	v_add_co_u32 v1, s0, v1, v6
	v_add_co_ci_u32_e64 v2, s0, 0, v2, s0
	v_cndmask_b32_e64 v5, 0, 1, vcc_lo
	s_delay_alu instid0(VALU_DEP_3) | instskip(NEXT) | instid1(VALU_DEP_3)
	v_add_co_u32 v1, vcc_lo, v1, v7
	v_add_co_ci_u32_e32 v2, vcc_lo, 0, v2, vcc_lo
	s_waitcnt lgkmcnt(0)
	v_cmp_gt_i32_e32 vcc_lo, v4, v11
	s_delay_alu instid0(VALU_DEP_3) | instskip(NEXT) | instid1(VALU_DEP_1)
	v_add_co_u32 v1, s0, v1, v8
	v_add_co_ci_u32_e64 v2, s0, 0, v2, s0
	v_cndmask_b32_e64 v6, 0, 1, vcc_lo
	s_delay_alu instid0(VALU_DEP_3) | instskip(NEXT) | instid1(VALU_DEP_3)
	v_add_co_u32 v1, vcc_lo, v1, v9
	v_add_co_ci_u32_e32 v2, vcc_lo, 0, v2, vcc_lo
	v_cmp_gt_i32_e32 vcc_lo, v4, v12
	s_delay_alu instid0(VALU_DEP_3) | instskip(NEXT) | instid1(VALU_DEP_1)
	v_add_co_u32 v1, s0, v1, v5
	v_add_co_ci_u32_e64 v2, s0, 0, v2, s0
	v_cndmask_b32_e64 v5, 0, 1, vcc_lo
	s_delay_alu instid0(VALU_DEP_3) | instskip(NEXT) | instid1(VALU_DEP_3)
	v_add_co_u32 v1, vcc_lo, v1, v6
	v_add_co_ci_u32_e32 v2, vcc_lo, 0, v2, vcc_lo
	s_delay_alu instid0(VALU_DEP_2) | instskip(NEXT) | instid1(VALU_DEP_2)
	v_add_co_u32 v1, vcc_lo, v1, v5
	v_add_co_ci_u32_e32 v2, vcc_lo, 0, v2, vcc_lo
	s_cbranch_scc0 .LBB224_87
; %bb.88:                               ;   in Loop: Header=BB224_85 Depth=1
	s_mov_b32 s0, s6
.LBB224_89:                             ;   in Loop: Header=BB224_85 Depth=1
	s_and_not1_b32 vcc_lo, exec_lo, s7
	s_cbranch_vccnz .LBB224_84
; %bb.90:                               ;   in Loop: Header=BB224_85 Depth=1
	s_lshl_b32 s0, s0, 2
	s_mov_b32 s9, s1
	s_add_i32 s0, s0, 0
.LBB224_91:                             ;   Parent Loop BB224_85 Depth=1
                                        ; =>  This Inner Loop Header: Depth=2
	s_delay_alu instid0(SALU_CYCLE_1)
	v_mov_b32_e32 v5, s0
	s_add_i32 s9, s9, -1
	s_add_i32 s0, s0, 4
	s_cmp_lg_u32 s9, 0
	ds_load_b32 v5, v5
	s_waitcnt lgkmcnt(0)
	v_cmp_gt_i32_e32 vcc_lo, v4, v5
	v_cndmask_b32_e64 v5, 0, 1, vcc_lo
	s_delay_alu instid0(VALU_DEP_1)
	v_add_co_u32 v1, vcc_lo, v1, v5
	v_add_co_ci_u32_e32 v2, vcc_lo, 0, v2, vcc_lo
	s_cbranch_scc1 .LBB224_91
	s_branch .LBB224_84
.LBB224_92:
	s_nop 0
	s_sendmsg sendmsg(MSG_DEALLOC_VGPRS)
	s_endpgm
	.section	.rodata,"a",@progbits
	.p2align	6, 0x0
	.amdhsa_kernel _ZN9rocsparseL41csrgemm_numeric_fill_block_per_row_kernelILj256ELj32ELj512ELj137ELj32Eli21rocsparse_complex_numIdEEEvT5_PKS3_S5_NS_24const_host_device_scalarIT6_EEPKT4_S5_PKS7_SB_S5_SD_S8_SB_S5_SD_SB_S5_PS7_21rocsparse_index_base_SF_SF_SF_bbb
		.amdhsa_group_segment_fixed_size 0
		.amdhsa_private_segment_fixed_size 40
		.amdhsa_kernarg_size 172
		.amdhsa_user_sgpr_count 15
		.amdhsa_user_sgpr_dispatch_ptr 0
		.amdhsa_user_sgpr_queue_ptr 0
		.amdhsa_user_sgpr_kernarg_segment_ptr 1
		.amdhsa_user_sgpr_dispatch_id 0
		.amdhsa_user_sgpr_private_segment_size 0
		.amdhsa_wavefront_size32 1
		.amdhsa_uses_dynamic_stack 0
		.amdhsa_enable_private_segment 1
		.amdhsa_system_sgpr_workgroup_id_x 1
		.amdhsa_system_sgpr_workgroup_id_y 0
		.amdhsa_system_sgpr_workgroup_id_z 0
		.amdhsa_system_sgpr_workgroup_info 0
		.amdhsa_system_vgpr_workitem_id 0
		.amdhsa_next_free_vgpr 36
		.amdhsa_next_free_sgpr 42
		.amdhsa_reserve_vcc 1
		.amdhsa_float_round_mode_32 0
		.amdhsa_float_round_mode_16_64 0
		.amdhsa_float_denorm_mode_32 3
		.amdhsa_float_denorm_mode_16_64 3
		.amdhsa_dx10_clamp 1
		.amdhsa_ieee_mode 1
		.amdhsa_fp16_overflow 0
		.amdhsa_workgroup_processor_mode 1
		.amdhsa_memory_ordered 1
		.amdhsa_forward_progress 0
		.amdhsa_shared_vgpr_count 0
		.amdhsa_exception_fp_ieee_invalid_op 0
		.amdhsa_exception_fp_denorm_src 0
		.amdhsa_exception_fp_ieee_div_zero 0
		.amdhsa_exception_fp_ieee_overflow 0
		.amdhsa_exception_fp_ieee_underflow 0
		.amdhsa_exception_fp_ieee_inexact 0
		.amdhsa_exception_int_div_zero 0
	.end_amdhsa_kernel
	.section	.text._ZN9rocsparseL41csrgemm_numeric_fill_block_per_row_kernelILj256ELj32ELj512ELj137ELj32Eli21rocsparse_complex_numIdEEEvT5_PKS3_S5_NS_24const_host_device_scalarIT6_EEPKT4_S5_PKS7_SB_S5_SD_S8_SB_S5_SD_SB_S5_PS7_21rocsparse_index_base_SF_SF_SF_bbb,"axG",@progbits,_ZN9rocsparseL41csrgemm_numeric_fill_block_per_row_kernelILj256ELj32ELj512ELj137ELj32Eli21rocsparse_complex_numIdEEEvT5_PKS3_S5_NS_24const_host_device_scalarIT6_EEPKT4_S5_PKS7_SB_S5_SD_S8_SB_S5_SD_SB_S5_PS7_21rocsparse_index_base_SF_SF_SF_bbb,comdat
.Lfunc_end224:
	.size	_ZN9rocsparseL41csrgemm_numeric_fill_block_per_row_kernelILj256ELj32ELj512ELj137ELj32Eli21rocsparse_complex_numIdEEEvT5_PKS3_S5_NS_24const_host_device_scalarIT6_EEPKT4_S5_PKS7_SB_S5_SD_S8_SB_S5_SD_SB_S5_PS7_21rocsparse_index_base_SF_SF_SF_bbb, .Lfunc_end224-_ZN9rocsparseL41csrgemm_numeric_fill_block_per_row_kernelILj256ELj32ELj512ELj137ELj32Eli21rocsparse_complex_numIdEEEvT5_PKS3_S5_NS_24const_host_device_scalarIT6_EEPKT4_S5_PKS7_SB_S5_SD_S8_SB_S5_SD_SB_S5_PS7_21rocsparse_index_base_SF_SF_SF_bbb
                                        ; -- End function
	.section	.AMDGPU.csdata,"",@progbits
; Kernel info:
; codeLenInByte = 3928
; NumSgprs: 44
; NumVgprs: 36
; ScratchSize: 40
; MemoryBound: 0
; FloatMode: 240
; IeeeMode: 1
; LDSByteSize: 0 bytes/workgroup (compile time only)
; SGPRBlocks: 5
; VGPRBlocks: 4
; NumSGPRsForWavesPerEU: 44
; NumVGPRsForWavesPerEU: 36
; Occupancy: 16
; WaveLimiterHint : 1
; COMPUTE_PGM_RSRC2:SCRATCH_EN: 1
; COMPUTE_PGM_RSRC2:USER_SGPR: 15
; COMPUTE_PGM_RSRC2:TRAP_HANDLER: 0
; COMPUTE_PGM_RSRC2:TGID_X_EN: 1
; COMPUTE_PGM_RSRC2:TGID_Y_EN: 0
; COMPUTE_PGM_RSRC2:TGID_Z_EN: 0
; COMPUTE_PGM_RSRC2:TIDIG_COMP_CNT: 0
	.section	.text._ZN9rocsparseL41csrgemm_numeric_fill_block_per_row_kernelILj256ELj32ELj512ELj137ELj64Eli21rocsparse_complex_numIdEEEvT5_PKS3_S5_NS_24const_host_device_scalarIT6_EEPKT4_S5_PKS7_SB_S5_SD_S8_SB_S5_SD_SB_S5_PS7_21rocsparse_index_base_SF_SF_SF_bbb,"axG",@progbits,_ZN9rocsparseL41csrgemm_numeric_fill_block_per_row_kernelILj256ELj32ELj512ELj137ELj64Eli21rocsparse_complex_numIdEEEvT5_PKS3_S5_NS_24const_host_device_scalarIT6_EEPKT4_S5_PKS7_SB_S5_SD_S8_SB_S5_SD_SB_S5_PS7_21rocsparse_index_base_SF_SF_SF_bbb,comdat
	.globl	_ZN9rocsparseL41csrgemm_numeric_fill_block_per_row_kernelILj256ELj32ELj512ELj137ELj64Eli21rocsparse_complex_numIdEEEvT5_PKS3_S5_NS_24const_host_device_scalarIT6_EEPKT4_S5_PKS7_SB_S5_SD_S8_SB_S5_SD_SB_S5_PS7_21rocsparse_index_base_SF_SF_SF_bbb ; -- Begin function _ZN9rocsparseL41csrgemm_numeric_fill_block_per_row_kernelILj256ELj32ELj512ELj137ELj64Eli21rocsparse_complex_numIdEEEvT5_PKS3_S5_NS_24const_host_device_scalarIT6_EEPKT4_S5_PKS7_SB_S5_SD_S8_SB_S5_SD_SB_S5_PS7_21rocsparse_index_base_SF_SF_SF_bbb
	.p2align	8
	.type	_ZN9rocsparseL41csrgemm_numeric_fill_block_per_row_kernelILj256ELj32ELj512ELj137ELj64Eli21rocsparse_complex_numIdEEEvT5_PKS3_S5_NS_24const_host_device_scalarIT6_EEPKT4_S5_PKS7_SB_S5_SD_S8_SB_S5_SD_SB_S5_PS7_21rocsparse_index_base_SF_SF_SF_bbb,@function
_ZN9rocsparseL41csrgemm_numeric_fill_block_per_row_kernelILj256ELj32ELj512ELj137ELj64Eli21rocsparse_complex_numIdEEEvT5_PKS3_S5_NS_24const_host_device_scalarIT6_EEPKT4_S5_PKS7_SB_S5_SD_S8_SB_S5_SD_SB_S5_PS7_21rocsparse_index_base_SF_SF_SF_bbb: ; @_ZN9rocsparseL41csrgemm_numeric_fill_block_per_row_kernelILj256ELj32ELj512ELj137ELj64Eli21rocsparse_complex_numIdEEEvT5_PKS3_S5_NS_24const_host_device_scalarIT6_EEPKT4_S5_PKS7_SB_S5_SD_S8_SB_S5_SD_SB_S5_PS7_21rocsparse_index_base_SF_SF_SF_bbb
; %bb.0:
	s_clause 0x2
	s_load_b32 s12, s[0:1], 0xa8
	s_load_b128 s[8:11], s[0:1], 0x18
	s_load_b128 s[4:7], s[0:1], 0x58
	v_mov_b32_e32 v1, 0
	v_mov_b32_e32 v2, 0
	s_waitcnt lgkmcnt(0)
	s_bitcmp1_b32 s12, 0
	v_mov_b32_e32 v3, s8
	s_cselect_b32 s35, -1, 0
	s_bitcmp1_b32 s12, 16
	v_dual_mov_b32 v6, v2 :: v_dual_mov_b32 v5, v1
	s_cselect_b32 s2, -1, 0
	v_mov_b32_e32 v4, s9
	s_xor_b32 s3, s2, -1
	v_dual_mov_b32 v10, s5 :: v_dual_mov_b32 v9, s4
	v_cndmask_b32_e64 v7, 0, 1, s3
	s_bitcmp0_b32 s12, 0
	s_clause 0x1
	scratch_store_b64 off, v[3:4], off offset:16
	scratch_store_b64 off, v[9:10], off offset:24
	v_cmp_ne_u32_e32 vcc_lo, 1, v7
	v_dual_mov_b32 v8, v2 :: v_dual_mov_b32 v7, v1
	s_cbranch_scc1 .LBB225_3
; %bb.1:
	s_mov_b64 s[16:17], src_private_base
	s_and_b32 s13, s2, exec_lo
	s_cselect_b32 s13, s17, s9
	s_delay_alu instid0(SALU_CYCLE_1) | instskip(SKIP_2) | instid1(VALU_DEP_2)
	v_dual_mov_b32 v3, 16 :: v_dual_mov_b32 v4, s13
	v_dual_mov_b32 v7, s10 :: v_dual_mov_b32 v8, s11
	s_and_b32 vcc_lo, exec_lo, vcc_lo
	v_cndmask_b32_e64 v3, s8, v3, s2
	flat_load_b64 v[5:6], v[3:4]
	s_cbranch_vccnz .LBB225_3
; %bb.2:
	v_dual_mov_b32 v3, s8 :: v_dual_mov_b32 v4, s9
	flat_load_b64 v[7:8], v[3:4] offset:8
.LBB225_3:
	s_load_b128 s[24:27], s[0:1], 0x98
	s_bitcmp1_b32 s12, 8
	v_dual_mov_b32 v4, v2 :: v_dual_mov_b32 v3, v1
	s_cselect_b32 s34, -1, 0
	s_bfe_u32 s8, s12, 0x10008
	s_delay_alu instid0(SALU_CYCLE_1)
	s_cmp_eq_u32 s8, 0
	s_cbranch_scc1 .LBB225_6
; %bb.4:
	s_mov_b64 s[8:9], src_private_base
	s_and_b32 s8, s2, exec_lo
	s_cselect_b32 s8, s9, s5
	s_delay_alu instid0(SALU_CYCLE_1) | instskip(SKIP_1) | instid1(VALU_DEP_1)
	v_dual_mov_b32 v1, 24 :: v_dual_mov_b32 v2, s8
	s_and_not1_b32 vcc_lo, exec_lo, s3
	v_cndmask_b32_e64 v1, s4, v1, s2
	flat_load_b64 v[3:4], v[1:2]
	v_dual_mov_b32 v1, s6 :: v_dual_mov_b32 v2, s7
	s_cbranch_vccnz .LBB225_6
; %bb.5:
	v_dual_mov_b32 v1, s4 :: v_dual_mov_b32 v2, s5
	flat_load_b64 v[1:2], v[1:2] offset:8
.LBB225_6:
	s_clause 0x5
	s_load_b64 s[12:13], s[0:1], 0x90
	s_load_b256 s[4:11], s[0:1], 0x68
	s_load_b128 s[28:31], s[0:1], 0x48
	s_load_b256 s[16:23], s[0:1], 0x28
	s_load_b128 s[36:39], s[0:1], 0x8
	s_load_b32 s33, s[0:1], 0x0
	v_cmp_gt_u32_e64 s0, 0x200, v0
	v_lshlrev_b32_e32 v27, 4, v0
	v_or_b32_e32 v25, 0xffffff00, v0
	v_lshl_add_u32 v26, v0, 2, 0
	s_delay_alu instid0(VALU_DEP_4)
	s_and_saveexec_b32 s1, s0
	s_cbranch_execz .LBB225_9
; %bb.7:
	s_mov_b32 s2, 0
	v_add3_u32 v13, v27, 0, 0x800
	s_mov_b32 s3, s2
	s_mov_b32 s40, s2
	;; [unrolled: 1-line block ×3, first 2 shown]
	v_dual_mov_b32 v10, s3 :: v_dual_mov_b32 v11, s40
	v_or_b32_e32 v14, 0xffffff00, v0
	v_lshl_add_u32 v15, v0, 2, 0
	s_waitcnt lgkmcnt(0)
	v_dual_mov_b32 v16, s33 :: v_dual_mov_b32 v9, s2
	v_mov_b32_e32 v12, s41
.LBB225_8:                              ; =>This Inner Loop Header: Depth=1
	v_add_co_u32 v14, s3, 0x100, v14
	s_delay_alu instid0(VALU_DEP_1)
	s_xor_b32 s3, s3, -1
	ds_store_b32 v15, v16
	ds_store_2addr_b64 v13, v[9:10], v[11:12] offset1:1
	v_add_nc_u32_e32 v13, 0x1000, v13
	v_add_nc_u32_e32 v15, 0x400, v15
	s_and_b32 s3, exec_lo, s3
	s_delay_alu instid0(SALU_CYCLE_1) | instskip(NEXT) | instid1(SALU_CYCLE_1)
	s_or_b32 s2, s3, s2
	s_and_not1_b32 exec_lo, exec_lo, s2
	s_cbranch_execnz .LBB225_8
.LBB225_9:
	s_or_b32 exec_lo, exec_lo, s1
	s_waitcnt vmcnt(0) lgkmcnt(0)
	s_waitcnt_vscnt null, 0x0
	s_barrier
	buffer_gl0_inv
	s_load_b32 s1, s[36:37], 0x0
	s_mov_b32 s3, 0
	s_waitcnt lgkmcnt(0)
	s_add_i32 s2, s1, s15
	s_delay_alu instid0(SALU_CYCLE_1) | instskip(NEXT) | instid1(SALU_CYCLE_1)
	s_lshl_b64 s[2:3], s[2:3], 2
	s_add_u32 s2, s38, s2
	s_addc_u32 s3, s39, s3
	s_and_b32 vcc_lo, exec_lo, s35
	s_load_b32 s14, s[2:3], 0x0
	s_cbranch_vccz .LBB225_37
; %bb.10:
	s_waitcnt lgkmcnt(0)
	s_ashr_i32 s15, s14, 31
	v_lshrrev_b32_e32 v9, 5, v0
	s_lshl_b64 s[2:3], s[14:15], 3
	s_delay_alu instid0(SALU_CYCLE_1) | instskip(SKIP_1) | instid1(VALU_DEP_1)
	s_add_u32 s2, s16, s2
	s_addc_u32 s3, s17, s3
	v_sub_co_u32 v9, s1, v9, s24
	s_load_b128 s[36:39], s[2:3], 0x0
	v_sub_co_ci_u32_e64 v10, null, 0, 0, s1
	s_mov_b32 s1, exec_lo
	s_waitcnt lgkmcnt(0)
	v_add_co_u32 v9, vcc_lo, s36, v9
	s_delay_alu instid0(VALU_DEP_2)
	v_add_co_ci_u32_e32 v10, vcc_lo, s37, v10, vcc_lo
	s_sub_u32 s2, s38, s24
	s_subb_u32 s3, s39, 0
	s_delay_alu instid0(VALU_DEP_1) | instid1(SALU_CYCLE_1)
	v_cmpx_gt_i64_e64 s[2:3], v[9:10]
	s_cbranch_execz .LBB225_36
; %bb.11:
	v_and_b32_e32 v11, 31, v0
	s_mov_b32 s16, s25
	s_delay_alu instid0(VALU_DEP_1) | instskip(NEXT) | instid1(VALU_DEP_1)
	v_sub_co_u32 v28, s15, v11, s25
	v_sub_co_ci_u32_e64 v29, null, 0, 0, s15
	s_mov_b32 s15, 0
	s_branch .LBB225_13
.LBB225_12:                             ;   in Loop: Header=BB225_13 Depth=1
	s_or_b32 exec_lo, exec_lo, s17
	v_add_co_u32 v9, vcc_lo, v9, 8
	v_add_co_ci_u32_e32 v10, vcc_lo, 0, v10, vcc_lo
	s_delay_alu instid0(VALU_DEP_1) | instskip(SKIP_1) | instid1(SALU_CYCLE_1)
	v_cmp_le_i64_e32 vcc_lo, s[2:3], v[9:10]
	s_or_b32 s15, vcc_lo, s15
	s_and_not1_b32 exec_lo, exec_lo, s15
	s_cbranch_execz .LBB225_36
.LBB225_13:                             ; =>This Loop Header: Depth=1
                                        ;     Child Loop BB225_16 Depth 2
                                        ;       Child Loop BB225_18 Depth 3
                                        ;         Child Loop BB225_24 Depth 4
                                        ;         Child Loop BB225_26 Depth 4
	;; [unrolled: 1-line block ×4, first 2 shown]
	v_lshlrev_b64 v[11:12], 2, v[9:10]
	s_mov_b32 s17, exec_lo
	s_delay_alu instid0(VALU_DEP_1) | instskip(NEXT) | instid1(VALU_DEP_2)
	v_add_co_u32 v11, vcc_lo, s18, v11
	v_add_co_ci_u32_e32 v12, vcc_lo, s19, v12, vcc_lo
	global_load_b32 v11, v[11:12], off
	s_waitcnt vmcnt(0)
	v_subrev_nc_u32_e32 v11, s24, v11
	s_delay_alu instid0(VALU_DEP_1) | instskip(NEXT) | instid1(VALU_DEP_1)
	v_ashrrev_i32_e32 v12, 31, v11
	v_lshlrev_b64 v[11:12], 3, v[11:12]
	s_delay_alu instid0(VALU_DEP_1) | instskip(NEXT) | instid1(VALU_DEP_2)
	v_add_co_u32 v11, vcc_lo, s22, v11
	v_add_co_ci_u32_e32 v12, vcc_lo, s23, v12, vcc_lo
	global_load_b128 v[13:16], v[11:12], off
	s_waitcnt vmcnt(0)
	v_sub_co_u32 v11, vcc_lo, v15, s16
	v_subrev_co_ci_u32_e32 v12, vcc_lo, 0, v16, vcc_lo
	v_add_co_u32 v13, vcc_lo, v13, v28
	v_add_co_ci_u32_e32 v14, vcc_lo, v14, v29, vcc_lo
	s_delay_alu instid0(VALU_DEP_1)
	v_cmpx_lt_i64_e64 v[13:14], v[11:12]
	s_cbranch_execz .LBB225_12
; %bb.14:                               ;   in Loop: Header=BB225_13 Depth=1
	v_lshlrev_b64 v[15:16], 4, v[9:10]
	s_mov_b32 s35, 0
	s_delay_alu instid0(VALU_DEP_1) | instskip(NEXT) | instid1(VALU_DEP_2)
	v_add_co_u32 v15, vcc_lo, s20, v15
	v_add_co_ci_u32_e32 v16, vcc_lo, s21, v16, vcc_lo
	global_load_b128 v[17:20], v[15:16], off
	s_waitcnt vmcnt(0)
	v_mul_f64 v[15:16], v[19:20], -v[7:8]
	v_mul_f64 v[19:20], v[5:6], v[19:20]
	s_delay_alu instid0(VALU_DEP_2) | instskip(NEXT) | instid1(VALU_DEP_2)
	v_fma_f64 v[15:16], v[5:6], v[17:18], v[15:16]
	v_fma_f64 v[17:18], v[7:8], v[17:18], v[19:20]
	s_branch .LBB225_16
.LBB225_15:                             ;   in Loop: Header=BB225_16 Depth=2
	s_or_b32 exec_lo, exec_lo, s36
	v_add_co_u32 v13, vcc_lo, v13, 32
	v_add_co_ci_u32_e32 v14, vcc_lo, 0, v14, vcc_lo
	s_delay_alu instid0(VALU_DEP_1) | instskip(SKIP_1) | instid1(SALU_CYCLE_1)
	v_cmp_ge_i64_e32 vcc_lo, v[13:14], v[11:12]
	s_or_b32 s35, vcc_lo, s35
	s_and_not1_b32 exec_lo, exec_lo, s35
	s_cbranch_execz .LBB225_12
.LBB225_16:                             ;   Parent Loop BB225_13 Depth=1
                                        ; =>  This Loop Header: Depth=2
                                        ;       Child Loop BB225_18 Depth 3
                                        ;         Child Loop BB225_24 Depth 4
                                        ;         Child Loop BB225_26 Depth 4
	;; [unrolled: 1-line block ×4, first 2 shown]
	v_lshlrev_b64 v[19:20], 4, v[13:14]
	s_mov_b32 s36, 0
	s_delay_alu instid0(VALU_DEP_1) | instskip(NEXT) | instid1(VALU_DEP_2)
	v_add_co_u32 v19, vcc_lo, s30, v19
	v_add_co_ci_u32_e32 v20, vcc_lo, s31, v20, vcc_lo
	global_load_b128 v[21:24], v[19:20], off
	v_lshlrev_b64 v[19:20], 2, v[13:14]
	s_delay_alu instid0(VALU_DEP_1) | instskip(NEXT) | instid1(VALU_DEP_2)
	v_add_co_u32 v19, vcc_lo, s28, v19
	v_add_co_ci_u32_e32 v20, vcc_lo, s29, v20, vcc_lo
	global_load_b32 v30, v[19:20], off
	s_waitcnt vmcnt(1)
	v_mul_f64 v[19:20], v[23:24], -v[17:18]
	v_mul_f64 v[23:24], v[15:16], v[23:24]
	s_waitcnt vmcnt(0)
	v_subrev_nc_u32_e32 v30, s25, v30
	s_delay_alu instid0(VALU_DEP_3) | instskip(NEXT) | instid1(VALU_DEP_3)
	v_fma_f64 v[19:20], v[15:16], v[21:22], v[19:20]
	v_fma_f64 v[21:22], v[17:18], v[21:22], v[23:24]
	s_delay_alu instid0(VALU_DEP_3) | instskip(NEXT) | instid1(VALU_DEP_1)
	v_mul_lo_u32 v23, 0x89, v30
	v_and_b32_e32 v31, 0x1ff, v23
	s_branch .LBB225_18
.LBB225_17:                             ;   in Loop: Header=BB225_18 Depth=3
	s_or_b32 exec_lo, exec_lo, s37
	s_xor_b32 s37, s38, -1
	s_delay_alu instid0(SALU_CYCLE_1) | instskip(NEXT) | instid1(SALU_CYCLE_1)
	s_and_b32 s37, exec_lo, s37
	s_or_b32 s36, s37, s36
	s_delay_alu instid0(SALU_CYCLE_1)
	s_and_not1_b32 exec_lo, exec_lo, s36
	s_cbranch_execz .LBB225_15
.LBB225_18:                             ;   Parent Loop BB225_13 Depth=1
                                        ;     Parent Loop BB225_16 Depth=2
                                        ; =>    This Loop Header: Depth=3
                                        ;         Child Loop BB225_24 Depth 4
                                        ;         Child Loop BB225_26 Depth 4
	;; [unrolled: 1-line block ×4, first 2 shown]
	s_delay_alu instid0(VALU_DEP_1)
	v_lshl_add_u32 v23, v31, 2, 0
	s_mov_b32 s37, exec_lo
                                        ; implicit-def: $sgpr38
	ds_load_b32 v24, v23
	s_waitcnt lgkmcnt(0)
	v_cmpx_ne_u32_e64 v24, v30
	s_xor_b32 s37, exec_lo, s37
	s_cbranch_execz .LBB225_30
; %bb.19:                               ;   in Loop: Header=BB225_18 Depth=3
	s_mov_b32 s39, exec_lo
                                        ; implicit-def: $sgpr38
	v_cmpx_ne_u32_e64 s33, v24
	s_xor_b32 s39, exec_lo, s39
; %bb.20:                               ;   in Loop: Header=BB225_18 Depth=3
	v_add_nc_u32_e32 v23, 1, v31
	s_mov_b32 s38, -1
	s_delay_alu instid0(VALU_DEP_1)
	v_and_b32_e32 v31, 0x1ff, v23
                                        ; implicit-def: $vgpr23
; %bb.21:                               ;   in Loop: Header=BB225_18 Depth=3
	s_and_not1_saveexec_b32 s39, s39
	s_cbranch_execz .LBB225_29
; %bb.22:                               ;   in Loop: Header=BB225_18 Depth=3
	v_mov_b32_e32 v24, s33
	s_mov_b32 s41, -1
	s_mov_b32 s40, exec_lo
	ds_cmpstore_rtn_b32 v24, v23, v30, v24
	s_waitcnt lgkmcnt(0)
	v_cmpx_eq_u32_e64 s33, v24
	s_cbranch_execz .LBB225_28
; %bb.23:                               ;   in Loop: Header=BB225_18 Depth=3
	v_mul_lo_u32 v24, v31, 12
	s_mov_b32 s41, 0
	s_delay_alu instid0(VALU_DEP_1)
	v_add_nc_u32_e32 v32, v23, v24
	ds_load_b64 v[23:24], v32 offset:2048
.LBB225_24:                             ;   Parent Loop BB225_13 Depth=1
                                        ;     Parent Loop BB225_16 Depth=2
                                        ;       Parent Loop BB225_18 Depth=3
                                        ; =>      This Inner Loop Header: Depth=4
	s_waitcnt lgkmcnt(0)
	v_add_f64 v[33:34], v[23:24], v[19:20]
	ds_cmpstore_rtn_b64 v[33:34], v32, v[33:34], v[23:24] offset:2048
	s_waitcnt lgkmcnt(0)
	v_cmp_eq_u64_e32 vcc_lo, v[33:34], v[23:24]
	v_dual_mov_b32 v23, v33 :: v_dual_mov_b32 v24, v34
	s_or_b32 s41, vcc_lo, s41
	s_delay_alu instid0(SALU_CYCLE_1)
	s_and_not1_b32 exec_lo, exec_lo, s41
	s_cbranch_execnz .LBB225_24
; %bb.25:                               ;   in Loop: Header=BB225_18 Depth=3
	s_or_b32 exec_lo, exec_lo, s41
	ds_load_b64 v[23:24], v32 offset:2056
	s_mov_b32 s41, 0
.LBB225_26:                             ;   Parent Loop BB225_13 Depth=1
                                        ;     Parent Loop BB225_16 Depth=2
                                        ;       Parent Loop BB225_18 Depth=3
                                        ; =>      This Inner Loop Header: Depth=4
	s_waitcnt lgkmcnt(0)
	v_add_f64 v[33:34], v[23:24], v[21:22]
	ds_cmpstore_rtn_b64 v[33:34], v32, v[33:34], v[23:24] offset:2056
	s_waitcnt lgkmcnt(0)
	v_cmp_eq_u64_e32 vcc_lo, v[33:34], v[23:24]
	v_dual_mov_b32 v23, v33 :: v_dual_mov_b32 v24, v34
	s_or_b32 s41, vcc_lo, s41
	s_delay_alu instid0(SALU_CYCLE_1)
	s_and_not1_b32 exec_lo, exec_lo, s41
	s_cbranch_execnz .LBB225_26
; %bb.27:                               ;   in Loop: Header=BB225_18 Depth=3
	s_or_b32 exec_lo, exec_lo, s41
	s_delay_alu instid0(SALU_CYCLE_1)
	s_xor_b32 s41, exec_lo, -1
.LBB225_28:                             ;   in Loop: Header=BB225_18 Depth=3
	s_or_b32 exec_lo, exec_lo, s40
	s_delay_alu instid0(SALU_CYCLE_1) | instskip(SKIP_1) | instid1(SALU_CYCLE_1)
	s_and_not1_b32 s38, s38, exec_lo
	s_and_b32 s40, s41, exec_lo
	s_or_b32 s38, s38, s40
.LBB225_29:                             ;   in Loop: Header=BB225_18 Depth=3
	s_or_b32 exec_lo, exec_lo, s39
	s_delay_alu instid0(SALU_CYCLE_1)
	s_and_b32 s38, s38, exec_lo
                                        ; implicit-def: $vgpr23
.LBB225_30:                             ;   in Loop: Header=BB225_18 Depth=3
	s_and_not1_saveexec_b32 s37, s37
	s_cbranch_execz .LBB225_17
; %bb.31:                               ;   in Loop: Header=BB225_18 Depth=3
	v_mul_lo_u32 v24, v31, 12
	s_mov_b32 s39, 0
	s_delay_alu instid0(VALU_DEP_1)
	v_add_nc_u32_e32 v32, v23, v24
	ds_load_b64 v[23:24], v32 offset:2048
.LBB225_32:                             ;   Parent Loop BB225_13 Depth=1
                                        ;     Parent Loop BB225_16 Depth=2
                                        ;       Parent Loop BB225_18 Depth=3
                                        ; =>      This Inner Loop Header: Depth=4
	s_waitcnt lgkmcnt(0)
	v_add_f64 v[33:34], v[23:24], v[19:20]
	ds_cmpstore_rtn_b64 v[33:34], v32, v[33:34], v[23:24] offset:2048
	s_waitcnt lgkmcnt(0)
	v_cmp_eq_u64_e32 vcc_lo, v[33:34], v[23:24]
	v_dual_mov_b32 v23, v33 :: v_dual_mov_b32 v24, v34
	s_or_b32 s39, vcc_lo, s39
	s_delay_alu instid0(SALU_CYCLE_1)
	s_and_not1_b32 exec_lo, exec_lo, s39
	s_cbranch_execnz .LBB225_32
; %bb.33:                               ;   in Loop: Header=BB225_18 Depth=3
	s_or_b32 exec_lo, exec_lo, s39
	ds_load_b64 v[23:24], v32 offset:2056
	s_mov_b32 s39, 0
.LBB225_34:                             ;   Parent Loop BB225_13 Depth=1
                                        ;     Parent Loop BB225_16 Depth=2
                                        ;       Parent Loop BB225_18 Depth=3
                                        ; =>      This Inner Loop Header: Depth=4
	s_waitcnt lgkmcnt(0)
	v_add_f64 v[33:34], v[23:24], v[21:22]
	ds_cmpstore_rtn_b64 v[33:34], v32, v[33:34], v[23:24] offset:2056
	s_waitcnt lgkmcnt(0)
	v_cmp_eq_u64_e32 vcc_lo, v[33:34], v[23:24]
	v_dual_mov_b32 v23, v33 :: v_dual_mov_b32 v24, v34
	s_or_b32 s39, vcc_lo, s39
	s_delay_alu instid0(SALU_CYCLE_1)
	s_and_not1_b32 exec_lo, exec_lo, s39
	s_cbranch_execnz .LBB225_34
; %bb.35:                               ;   in Loop: Header=BB225_18 Depth=3
	s_or_b32 exec_lo, exec_lo, s39
	s_delay_alu instid0(SALU_CYCLE_1)
	s_and_not1_b32 s38, s38, exec_lo
	s_branch .LBB225_17
.LBB225_36:
	s_or_b32 exec_lo, exec_lo, s1
.LBB225_37:
	s_delay_alu instid0(SALU_CYCLE_1)
	s_and_not1_b32 vcc_lo, exec_lo, s34
	s_cbranch_vccnz .LBB225_40
; %bb.38:
	s_waitcnt lgkmcnt(0)
	s_ashr_i32 s15, s14, 31
	v_sub_co_u32 v5, s1, v0, s27
	s_lshl_b64 s[2:3], s[14:15], 3
	v_sub_co_ci_u32_e64 v6, null, 0, 0, s1
	s_add_u32 s2, s4, s2
	s_addc_u32 s3, s5, s3
	s_mov_b32 s4, 0
	s_load_b128 s[16:19], s[2:3], 0x0
	s_mov_b32 s1, exec_lo
	s_waitcnt lgkmcnt(0)
	v_add_co_u32 v5, vcc_lo, s16, v5
	v_add_co_ci_u32_e32 v6, vcc_lo, s17, v6, vcc_lo
	s_sub_u32 s2, s18, s27
	s_subb_u32 s3, s19, 0
	s_delay_alu instid0(VALU_DEP_1) | instid1(SALU_CYCLE_1)
	v_cmpx_gt_i64_e64 s[2:3], v[5:6]
	s_cbranch_execnz .LBB225_54
.LBB225_39:
	s_or_b32 exec_lo, exec_lo, s1
.LBB225_40:
	s_waitcnt lgkmcnt(0)
	s_barrier
	buffer_gl0_inv
	s_and_saveexec_b32 s4, s0
	s_cbranch_execz .LBB225_74
; %bb.41:
	v_mbcnt_lo_u32_b32 v1, -1, 0
	v_lshrrev_b32_e32 v2, 4, v0
	v_cmp_eq_u32_e32 vcc_lo, 0xff, v0
	v_cmp_lt_u32_e64 s0, 63, v0
	v_cmp_lt_u32_e64 s1, 0x7f, v0
	v_xor_b32_e32 v1, 63, v1
	v_dual_mov_b32 v5, 0 :: v_dual_and_b32 v4, 12, v2
	v_cmp_lt_u32_e64 s2, 0xbf, v0
	v_add3_u32 v3, v27, 0, 0x800
	s_delay_alu instid0(VALU_DEP_4) | instskip(NEXT) | instid1(VALU_DEP_4)
	v_lshrrev_b64 v[1:2], v1, -1
	v_add_nc_u32_e32 v2, 0, v4
	v_mov_b32_e32 v4, 0
	s_mov_b32 s5, 0
	s_branch .LBB225_43
.LBB225_42:                             ;   in Loop: Header=BB225_43 Depth=1
	s_or_b32 exec_lo, exec_lo, s3
	s_waitcnt lgkmcnt(0)
	s_barrier
	buffer_gl0_inv
	ds_load_b32 v6, v4 offset:10252
	v_add_co_u32 v25, s3, 0x100, v25
	s_delay_alu instid0(VALU_DEP_1) | instskip(SKIP_3) | instid1(SALU_CYCLE_1)
	s_xor_b32 s3, s3, -1
	v_add_nc_u32_e32 v3, 0x1000, v3
	v_add_nc_u32_e32 v26, 0x400, v26
	s_and_b32 s3, exec_lo, s3
	s_or_b32 s5, s3, s5
	s_waitcnt lgkmcnt(0)
	v_add_nc_u32_e32 v5, v6, v5
	s_and_not1_b32 exec_lo, exec_lo, s5
	s_cbranch_execz .LBB225_74
.LBB225_43:                             ; =>This Inner Loop Header: Depth=1
	ds_load_b32 v6, v26
	ds_load_2addr_b64 v[7:10], v3 offset1:1
	s_waitcnt lgkmcnt(1)
	v_cmp_gt_i32_e64 s3, s33, v6
	s_waitcnt lgkmcnt(0)
	scratch_store_b128 off, v[7:10], off
	s_waitcnt_vscnt null, 0x0
	s_barrier
	buffer_gl0_inv
	s_bcnt1_i32_b32 s6, s3
	s_delay_alu instid0(SALU_CYCLE_1) | instskip(NEXT) | instid1(VALU_DEP_1)
	v_dual_mov_b32 v8, s6 :: v_dual_and_b32 v7, s3, v1
	v_bcnt_u32_b32 v7, v7, 0
	ds_store_b32 v2, v8 offset:10240
	s_waitcnt lgkmcnt(0)
	s_barrier
	buffer_gl0_inv
	s_and_saveexec_b32 s6, s0
	s_cbranch_execnz .LBB225_48
; %bb.44:                               ;   in Loop: Header=BB225_43 Depth=1
	s_or_b32 exec_lo, exec_lo, s6
	s_and_saveexec_b32 s6, s1
	s_cbranch_execnz .LBB225_49
.LBB225_45:                             ;   in Loop: Header=BB225_43 Depth=1
	s_or_b32 exec_lo, exec_lo, s6
	s_and_saveexec_b32 s6, s2
	s_cbranch_execnz .LBB225_50
.LBB225_46:                             ;   in Loop: Header=BB225_43 Depth=1
	s_or_b32 exec_lo, exec_lo, s6
	s_and_saveexec_b32 s6, s3
	s_cbranch_execnz .LBB225_51
.LBB225_47:                             ;   in Loop: Header=BB225_43 Depth=1
	s_or_b32 exec_lo, exec_lo, s6
	s_and_saveexec_b32 s3, vcc_lo
	s_cbranch_execz .LBB225_42
	s_branch .LBB225_52
.LBB225_48:                             ;   in Loop: Header=BB225_43 Depth=1
	ds_load_b32 v8, v4 offset:10240
	s_waitcnt lgkmcnt(0)
	v_add_nc_u32_e32 v7, v8, v7
	s_or_b32 exec_lo, exec_lo, s6
	s_and_saveexec_b32 s6, s1
	s_cbranch_execz .LBB225_45
.LBB225_49:                             ;   in Loop: Header=BB225_43 Depth=1
	ds_load_b32 v8, v4 offset:10244
	s_waitcnt lgkmcnt(0)
	v_add_nc_u32_e32 v7, v8, v7
	s_or_b32 exec_lo, exec_lo, s6
	s_and_saveexec_b32 s6, s2
	s_cbranch_execz .LBB225_46
.LBB225_50:                             ;   in Loop: Header=BB225_43 Depth=1
	ds_load_b32 v8, v4 offset:10248
	s_waitcnt lgkmcnt(0)
	v_add_nc_u32_e32 v7, v8, v7
	s_or_b32 exec_lo, exec_lo, s6
	s_and_saveexec_b32 s6, s3
	s_cbranch_execz .LBB225_47
.LBB225_51:                             ;   in Loop: Header=BB225_43 Depth=1
	scratch_load_b128 v[8:11], off, off
	v_add3_u32 v12, v5, -1, v7
	s_delay_alu instid0(VALU_DEP_1) | instskip(SKIP_1) | instid1(VALU_DEP_2)
	v_lshlrev_b32_e32 v13, 4, v12
	v_lshl_add_u32 v12, v12, 2, 0
	v_add3_u32 v13, 0, v13, 0x800
	ds_store_b32 v12, v6
	s_waitcnt vmcnt(0)
	ds_store_2addr_b64 v13, v[8:9], v[10:11] offset1:1
	s_or_b32 exec_lo, exec_lo, s6
	s_and_saveexec_b32 s3, vcc_lo
	s_cbranch_execz .LBB225_42
.LBB225_52:                             ;   in Loop: Header=BB225_43 Depth=1
	ds_store_b32 v4, v7 offset:10252
	s_branch .LBB225_42
.LBB225_53:                             ;   in Loop: Header=BB225_54 Depth=1
	s_or_b32 exec_lo, exec_lo, s5
	v_add_co_u32 v5, vcc_lo, 0x100, v5
	v_add_co_ci_u32_e32 v6, vcc_lo, 0, v6, vcc_lo
	s_delay_alu instid0(VALU_DEP_1) | instskip(SKIP_1) | instid1(SALU_CYCLE_1)
	v_cmp_le_i64_e32 vcc_lo, s[2:3], v[5:6]
	s_or_b32 s4, vcc_lo, s4
	s_and_not1_b32 exec_lo, exec_lo, s4
	s_cbranch_execz .LBB225_39
.LBB225_54:                             ; =>This Loop Header: Depth=1
                                        ;     Child Loop BB225_56 Depth 2
                                        ;       Child Loop BB225_62 Depth 3
                                        ;       Child Loop BB225_64 Depth 3
	;; [unrolled: 1-line block ×4, first 2 shown]
	v_lshlrev_b64 v[7:8], 4, v[5:6]
	s_mov_b32 s5, 0
	s_delay_alu instid0(VALU_DEP_1) | instskip(NEXT) | instid1(VALU_DEP_2)
	v_add_co_u32 v7, vcc_lo, s8, v7
	v_add_co_ci_u32_e32 v8, vcc_lo, s9, v8, vcc_lo
	global_load_b128 v[9:12], v[7:8], off
	v_lshlrev_b64 v[7:8], 2, v[5:6]
	s_delay_alu instid0(VALU_DEP_1) | instskip(NEXT) | instid1(VALU_DEP_2)
	v_add_co_u32 v7, vcc_lo, s6, v7
	v_add_co_ci_u32_e32 v8, vcc_lo, s7, v8, vcc_lo
	global_load_b32 v13, v[7:8], off
	s_waitcnt vmcnt(1)
	v_mul_f64 v[7:8], v[11:12], -v[1:2]
	v_mul_f64 v[11:12], v[3:4], v[11:12]
	s_waitcnt vmcnt(0)
	v_subrev_nc_u32_e32 v13, s27, v13
	s_delay_alu instid0(VALU_DEP_3) | instskip(NEXT) | instid1(VALU_DEP_3)
	v_fma_f64 v[7:8], v[3:4], v[9:10], v[7:8]
	v_fma_f64 v[9:10], v[1:2], v[9:10], v[11:12]
	s_delay_alu instid0(VALU_DEP_3) | instskip(NEXT) | instid1(VALU_DEP_1)
	v_mul_lo_u32 v11, 0x89, v13
	v_and_b32_e32 v14, 0x1ff, v11
	s_branch .LBB225_56
.LBB225_55:                             ;   in Loop: Header=BB225_56 Depth=2
	s_or_b32 exec_lo, exec_lo, s15
	s_xor_b32 s15, s16, -1
	s_delay_alu instid0(SALU_CYCLE_1) | instskip(NEXT) | instid1(SALU_CYCLE_1)
	s_and_b32 s15, exec_lo, s15
	s_or_b32 s5, s15, s5
	s_delay_alu instid0(SALU_CYCLE_1)
	s_and_not1_b32 exec_lo, exec_lo, s5
	s_cbranch_execz .LBB225_53
.LBB225_56:                             ;   Parent Loop BB225_54 Depth=1
                                        ; =>  This Loop Header: Depth=2
                                        ;       Child Loop BB225_62 Depth 3
                                        ;       Child Loop BB225_64 Depth 3
                                        ;       Child Loop BB225_70 Depth 3
                                        ;       Child Loop BB225_72 Depth 3
	s_delay_alu instid0(VALU_DEP_1)
	v_lshl_add_u32 v11, v14, 2, 0
	s_mov_b32 s15, exec_lo
                                        ; implicit-def: $sgpr16
	ds_load_b32 v12, v11
	s_waitcnt lgkmcnt(0)
	v_cmpx_ne_u32_e64 v12, v13
	s_xor_b32 s15, exec_lo, s15
	s_cbranch_execz .LBB225_68
; %bb.57:                               ;   in Loop: Header=BB225_56 Depth=2
	s_mov_b32 s17, exec_lo
                                        ; implicit-def: $sgpr16
	v_cmpx_ne_u32_e64 s33, v12
	s_xor_b32 s17, exec_lo, s17
; %bb.58:                               ;   in Loop: Header=BB225_56 Depth=2
	v_add_nc_u32_e32 v11, 1, v14
	s_mov_b32 s16, -1
	s_delay_alu instid0(VALU_DEP_1)
	v_and_b32_e32 v14, 0x1ff, v11
                                        ; implicit-def: $vgpr11
; %bb.59:                               ;   in Loop: Header=BB225_56 Depth=2
	s_and_not1_saveexec_b32 s17, s17
	s_cbranch_execz .LBB225_67
; %bb.60:                               ;   in Loop: Header=BB225_56 Depth=2
	v_mov_b32_e32 v12, s33
	s_mov_b32 s19, -1
	s_mov_b32 s18, exec_lo
	ds_cmpstore_rtn_b32 v12, v11, v13, v12
	s_waitcnt lgkmcnt(0)
	v_cmpx_eq_u32_e64 s33, v12
	s_cbranch_execz .LBB225_66
; %bb.61:                               ;   in Loop: Header=BB225_56 Depth=2
	v_mul_lo_u32 v12, v14, 12
	s_mov_b32 s19, 0
	s_delay_alu instid0(VALU_DEP_1)
	v_add_nc_u32_e32 v15, v11, v12
	ds_load_b64 v[11:12], v15 offset:2048
.LBB225_62:                             ;   Parent Loop BB225_54 Depth=1
                                        ;     Parent Loop BB225_56 Depth=2
                                        ; =>    This Inner Loop Header: Depth=3
	s_waitcnt lgkmcnt(0)
	v_add_f64 v[16:17], v[11:12], v[7:8]
	ds_cmpstore_rtn_b64 v[16:17], v15, v[16:17], v[11:12] offset:2048
	s_waitcnt lgkmcnt(0)
	v_cmp_eq_u64_e32 vcc_lo, v[16:17], v[11:12]
	v_dual_mov_b32 v11, v16 :: v_dual_mov_b32 v12, v17
	s_or_b32 s19, vcc_lo, s19
	s_delay_alu instid0(SALU_CYCLE_1)
	s_and_not1_b32 exec_lo, exec_lo, s19
	s_cbranch_execnz .LBB225_62
; %bb.63:                               ;   in Loop: Header=BB225_56 Depth=2
	s_or_b32 exec_lo, exec_lo, s19
	ds_load_b64 v[11:12], v15 offset:2056
	s_mov_b32 s19, 0
.LBB225_64:                             ;   Parent Loop BB225_54 Depth=1
                                        ;     Parent Loop BB225_56 Depth=2
                                        ; =>    This Inner Loop Header: Depth=3
	s_waitcnt lgkmcnt(0)
	v_add_f64 v[16:17], v[11:12], v[9:10]
	ds_cmpstore_rtn_b64 v[16:17], v15, v[16:17], v[11:12] offset:2056
	s_waitcnt lgkmcnt(0)
	v_cmp_eq_u64_e32 vcc_lo, v[16:17], v[11:12]
	v_dual_mov_b32 v11, v16 :: v_dual_mov_b32 v12, v17
	s_or_b32 s19, vcc_lo, s19
	s_delay_alu instid0(SALU_CYCLE_1)
	s_and_not1_b32 exec_lo, exec_lo, s19
	s_cbranch_execnz .LBB225_64
; %bb.65:                               ;   in Loop: Header=BB225_56 Depth=2
	s_or_b32 exec_lo, exec_lo, s19
	s_delay_alu instid0(SALU_CYCLE_1)
	s_xor_b32 s19, exec_lo, -1
.LBB225_66:                             ;   in Loop: Header=BB225_56 Depth=2
	s_or_b32 exec_lo, exec_lo, s18
	s_delay_alu instid0(SALU_CYCLE_1) | instskip(SKIP_1) | instid1(SALU_CYCLE_1)
	s_and_not1_b32 s16, s16, exec_lo
	s_and_b32 s18, s19, exec_lo
	s_or_b32 s16, s16, s18
.LBB225_67:                             ;   in Loop: Header=BB225_56 Depth=2
	s_or_b32 exec_lo, exec_lo, s17
	s_delay_alu instid0(SALU_CYCLE_1)
	s_and_b32 s16, s16, exec_lo
                                        ; implicit-def: $vgpr11
.LBB225_68:                             ;   in Loop: Header=BB225_56 Depth=2
	s_and_not1_saveexec_b32 s15, s15
	s_cbranch_execz .LBB225_55
; %bb.69:                               ;   in Loop: Header=BB225_56 Depth=2
	v_mul_lo_u32 v12, v14, 12
	s_mov_b32 s17, 0
	s_delay_alu instid0(VALU_DEP_1)
	v_add_nc_u32_e32 v15, v11, v12
	ds_load_b64 v[11:12], v15 offset:2048
.LBB225_70:                             ;   Parent Loop BB225_54 Depth=1
                                        ;     Parent Loop BB225_56 Depth=2
                                        ; =>    This Inner Loop Header: Depth=3
	s_waitcnt lgkmcnt(0)
	v_add_f64 v[16:17], v[11:12], v[7:8]
	ds_cmpstore_rtn_b64 v[16:17], v15, v[16:17], v[11:12] offset:2048
	s_waitcnt lgkmcnt(0)
	v_cmp_eq_u64_e32 vcc_lo, v[16:17], v[11:12]
	v_dual_mov_b32 v11, v16 :: v_dual_mov_b32 v12, v17
	s_or_b32 s17, vcc_lo, s17
	s_delay_alu instid0(SALU_CYCLE_1)
	s_and_not1_b32 exec_lo, exec_lo, s17
	s_cbranch_execnz .LBB225_70
; %bb.71:                               ;   in Loop: Header=BB225_56 Depth=2
	s_or_b32 exec_lo, exec_lo, s17
	ds_load_b64 v[11:12], v15 offset:2056
	s_mov_b32 s17, 0
.LBB225_72:                             ;   Parent Loop BB225_54 Depth=1
                                        ;     Parent Loop BB225_56 Depth=2
                                        ; =>    This Inner Loop Header: Depth=3
	s_waitcnt lgkmcnt(0)
	v_add_f64 v[16:17], v[11:12], v[9:10]
	ds_cmpstore_rtn_b64 v[16:17], v15, v[16:17], v[11:12] offset:2056
	s_waitcnt lgkmcnt(0)
	v_cmp_eq_u64_e32 vcc_lo, v[16:17], v[11:12]
	v_dual_mov_b32 v11, v16 :: v_dual_mov_b32 v12, v17
	s_or_b32 s17, vcc_lo, s17
	s_delay_alu instid0(SALU_CYCLE_1)
	s_and_not1_b32 exec_lo, exec_lo, s17
	s_cbranch_execnz .LBB225_72
; %bb.73:                               ;   in Loop: Header=BB225_56 Depth=2
	s_or_b32 exec_lo, exec_lo, s17
	s_delay_alu instid0(SALU_CYCLE_1)
	s_and_not1_b32 s16, s16, exec_lo
	s_branch .LBB225_55
.LBB225_74:
	s_or_b32 exec_lo, exec_lo, s4
	s_ashr_i32 s15, s14, 31
	s_mov_b32 s4, exec_lo
	s_lshl_b64 s[0:1], s[14:15], 3
	s_delay_alu instid0(SALU_CYCLE_1) | instskip(SKIP_4) | instid1(SALU_CYCLE_1)
	s_add_u32 s0, s10, s0
	s_addc_u32 s1, s11, s1
	s_load_b128 s[0:3], s[0:1], 0x0
	s_waitcnt lgkmcnt(0)
	s_sub_i32 s3, s2, s0
	v_cmpx_gt_i32_e64 s3, v0
	s_cbranch_execz .LBB225_84
; %bb.75:
	s_sub_u32 s4, s0, s26
	s_subb_u32 s5, s1, 0
	s_sub_i32 s0, s0, s2
	s_and_b32 s1, s3, 7
	s_cmp_lt_u32 s0, -7
	s_mov_b32 s8, 0
	s_cselect_b32 s2, -1, 0
	s_and_b32 s6, s3, -8
	s_cmp_lg_u32 s1, 0
	s_cselect_b32 s7, -1, 0
	s_branch .LBB225_77
.LBB225_76:                             ;   in Loop: Header=BB225_77 Depth=1
	s_waitcnt lgkmcnt(0)
	v_mul_lo_u32 v4, v0, 12
	v_lshlrev_b64 v[1:2], 4, v[1:2]
	v_add_nc_u32_e32 v0, 0x100, v0
	s_delay_alu instid0(VALU_DEP_1) | instskip(NEXT) | instid1(VALU_DEP_4)
	v_cmp_le_i32_e32 vcc_lo, s3, v0
	v_add3_u32 v3, v3, v4, 0x800
	s_delay_alu instid0(VALU_DEP_4) | instskip(NEXT) | instid1(VALU_DEP_1)
	v_add_co_u32 v1, s0, s12, v1
	v_add_co_ci_u32_e64 v2, s0, s13, v2, s0
	ds_load_2addr_b64 v[3:6], v3 offset1:1
	s_or_b32 s8, vcc_lo, s8
	s_waitcnt lgkmcnt(0)
	global_store_b128 v[1:2], v[3:6], off
	s_and_not1_b32 exec_lo, exec_lo, s8
	s_cbranch_execz .LBB225_84
.LBB225_77:                             ; =>This Loop Header: Depth=1
                                        ;     Child Loop BB225_79 Depth 2
                                        ;     Child Loop BB225_83 Depth 2
	v_lshl_add_u32 v3, v0, 2, 0
	v_dual_mov_b32 v1, s4 :: v_dual_mov_b32 v2, s5
	s_and_not1_b32 vcc_lo, exec_lo, s2
	s_mov_b32 s0, 0
	ds_load_b32 v4, v3
	s_cbranch_vccnz .LBB225_81
; %bb.78:                               ;   in Loop: Header=BB225_77 Depth=1
	v_dual_mov_b32 v1, s4 :: v_dual_mov_b32 v2, s5
	s_mov_b32 s9, 0
	s_mov_b32 s10, 0
.LBB225_79:                             ;   Parent Loop BB225_77 Depth=1
                                        ; =>  This Inner Loop Header: Depth=2
	s_delay_alu instid0(SALU_CYCLE_1)
	v_mov_b32_e32 v11, s10
	s_add_i32 s9, s9, 8
	s_add_i32 s10, s10, 32
	s_cmp_eq_u32 s6, s9
	ds_load_2addr_b32 v[5:6], v11 offset1:1
	ds_load_2addr_b32 v[7:8], v11 offset0:2 offset1:3
	ds_load_2addr_b32 v[9:10], v11 offset0:4 offset1:5
	;; [unrolled: 1-line block ×3, first 2 shown]
	s_waitcnt lgkmcnt(3)
	v_cmp_gt_i32_e32 vcc_lo, v4, v5
	v_cndmask_b32_e64 v5, 0, 1, vcc_lo
	v_cmp_gt_i32_e32 vcc_lo, v4, v6
	v_cndmask_b32_e64 v6, 0, 1, vcc_lo
	s_waitcnt lgkmcnt(2)
	v_cmp_gt_i32_e32 vcc_lo, v4, v7
	v_cndmask_b32_e64 v7, 0, 1, vcc_lo
	v_cmp_gt_i32_e32 vcc_lo, v4, v8
	v_cndmask_b32_e64 v8, 0, 1, vcc_lo
	s_waitcnt lgkmcnt(1)
	v_cmp_gt_i32_e32 vcc_lo, v4, v9
	v_cndmask_b32_e64 v9, 0, 1, vcc_lo
	v_add_co_u32 v1, vcc_lo, v1, v5
	v_add_co_ci_u32_e32 v2, vcc_lo, 0, v2, vcc_lo
	v_cmp_gt_i32_e32 vcc_lo, v4, v10
	s_delay_alu instid0(VALU_DEP_3) | instskip(NEXT) | instid1(VALU_DEP_1)
	v_add_co_u32 v1, s0, v1, v6
	v_add_co_ci_u32_e64 v2, s0, 0, v2, s0
	v_cndmask_b32_e64 v5, 0, 1, vcc_lo
	s_delay_alu instid0(VALU_DEP_3) | instskip(NEXT) | instid1(VALU_DEP_3)
	v_add_co_u32 v1, vcc_lo, v1, v7
	v_add_co_ci_u32_e32 v2, vcc_lo, 0, v2, vcc_lo
	s_waitcnt lgkmcnt(0)
	v_cmp_gt_i32_e32 vcc_lo, v4, v11
	s_delay_alu instid0(VALU_DEP_3) | instskip(NEXT) | instid1(VALU_DEP_1)
	v_add_co_u32 v1, s0, v1, v8
	v_add_co_ci_u32_e64 v2, s0, 0, v2, s0
	v_cndmask_b32_e64 v6, 0, 1, vcc_lo
	s_delay_alu instid0(VALU_DEP_3) | instskip(NEXT) | instid1(VALU_DEP_3)
	v_add_co_u32 v1, vcc_lo, v1, v9
	v_add_co_ci_u32_e32 v2, vcc_lo, 0, v2, vcc_lo
	v_cmp_gt_i32_e32 vcc_lo, v4, v12
	s_delay_alu instid0(VALU_DEP_3) | instskip(NEXT) | instid1(VALU_DEP_1)
	v_add_co_u32 v1, s0, v1, v5
	v_add_co_ci_u32_e64 v2, s0, 0, v2, s0
	v_cndmask_b32_e64 v5, 0, 1, vcc_lo
	s_delay_alu instid0(VALU_DEP_3) | instskip(NEXT) | instid1(VALU_DEP_3)
	v_add_co_u32 v1, vcc_lo, v1, v6
	v_add_co_ci_u32_e32 v2, vcc_lo, 0, v2, vcc_lo
	s_delay_alu instid0(VALU_DEP_2) | instskip(NEXT) | instid1(VALU_DEP_2)
	v_add_co_u32 v1, vcc_lo, v1, v5
	v_add_co_ci_u32_e32 v2, vcc_lo, 0, v2, vcc_lo
	s_cbranch_scc0 .LBB225_79
; %bb.80:                               ;   in Loop: Header=BB225_77 Depth=1
	s_mov_b32 s0, s6
.LBB225_81:                             ;   in Loop: Header=BB225_77 Depth=1
	s_and_not1_b32 vcc_lo, exec_lo, s7
	s_cbranch_vccnz .LBB225_76
; %bb.82:                               ;   in Loop: Header=BB225_77 Depth=1
	s_lshl_b32 s0, s0, 2
	s_mov_b32 s9, s1
	s_add_i32 s0, s0, 0
.LBB225_83:                             ;   Parent Loop BB225_77 Depth=1
                                        ; =>  This Inner Loop Header: Depth=2
	s_delay_alu instid0(SALU_CYCLE_1)
	v_mov_b32_e32 v5, s0
	s_add_i32 s9, s9, -1
	s_add_i32 s0, s0, 4
	s_cmp_lg_u32 s9, 0
	ds_load_b32 v5, v5
	s_waitcnt lgkmcnt(0)
	v_cmp_gt_i32_e32 vcc_lo, v4, v5
	v_cndmask_b32_e64 v5, 0, 1, vcc_lo
	s_delay_alu instid0(VALU_DEP_1)
	v_add_co_u32 v1, vcc_lo, v1, v5
	v_add_co_ci_u32_e32 v2, vcc_lo, 0, v2, vcc_lo
	s_cbranch_scc1 .LBB225_83
	s_branch .LBB225_76
.LBB225_84:
	s_nop 0
	s_sendmsg sendmsg(MSG_DEALLOC_VGPRS)
	s_endpgm
	.section	.rodata,"a",@progbits
	.p2align	6, 0x0
	.amdhsa_kernel _ZN9rocsparseL41csrgemm_numeric_fill_block_per_row_kernelILj256ELj32ELj512ELj137ELj64Eli21rocsparse_complex_numIdEEEvT5_PKS3_S5_NS_24const_host_device_scalarIT6_EEPKT4_S5_PKS7_SB_S5_SD_S8_SB_S5_SD_SB_S5_PS7_21rocsparse_index_base_SF_SF_SF_bbb
		.amdhsa_group_segment_fixed_size 0
		.amdhsa_private_segment_fixed_size 40
		.amdhsa_kernarg_size 172
		.amdhsa_user_sgpr_count 15
		.amdhsa_user_sgpr_dispatch_ptr 0
		.amdhsa_user_sgpr_queue_ptr 0
		.amdhsa_user_sgpr_kernarg_segment_ptr 1
		.amdhsa_user_sgpr_dispatch_id 0
		.amdhsa_user_sgpr_private_segment_size 0
		.amdhsa_wavefront_size32 1
		.amdhsa_uses_dynamic_stack 0
		.amdhsa_enable_private_segment 1
		.amdhsa_system_sgpr_workgroup_id_x 1
		.amdhsa_system_sgpr_workgroup_id_y 0
		.amdhsa_system_sgpr_workgroup_id_z 0
		.amdhsa_system_sgpr_workgroup_info 0
		.amdhsa_system_vgpr_workitem_id 0
		.amdhsa_next_free_vgpr 35
		.amdhsa_next_free_sgpr 42
		.amdhsa_reserve_vcc 1
		.amdhsa_float_round_mode_32 0
		.amdhsa_float_round_mode_16_64 0
		.amdhsa_float_denorm_mode_32 3
		.amdhsa_float_denorm_mode_16_64 3
		.amdhsa_dx10_clamp 1
		.amdhsa_ieee_mode 1
		.amdhsa_fp16_overflow 0
		.amdhsa_workgroup_processor_mode 1
		.amdhsa_memory_ordered 1
		.amdhsa_forward_progress 0
		.amdhsa_shared_vgpr_count 0
		.amdhsa_exception_fp_ieee_invalid_op 0
		.amdhsa_exception_fp_denorm_src 0
		.amdhsa_exception_fp_ieee_div_zero 0
		.amdhsa_exception_fp_ieee_overflow 0
		.amdhsa_exception_fp_ieee_underflow 0
		.amdhsa_exception_fp_ieee_inexact 0
		.amdhsa_exception_int_div_zero 0
	.end_amdhsa_kernel
	.section	.text._ZN9rocsparseL41csrgemm_numeric_fill_block_per_row_kernelILj256ELj32ELj512ELj137ELj64Eli21rocsparse_complex_numIdEEEvT5_PKS3_S5_NS_24const_host_device_scalarIT6_EEPKT4_S5_PKS7_SB_S5_SD_S8_SB_S5_SD_SB_S5_PS7_21rocsparse_index_base_SF_SF_SF_bbb,"axG",@progbits,_ZN9rocsparseL41csrgemm_numeric_fill_block_per_row_kernelILj256ELj32ELj512ELj137ELj64Eli21rocsparse_complex_numIdEEEvT5_PKS3_S5_NS_24const_host_device_scalarIT6_EEPKT4_S5_PKS7_SB_S5_SD_S8_SB_S5_SD_SB_S5_PS7_21rocsparse_index_base_SF_SF_SF_bbb,comdat
.Lfunc_end225:
	.size	_ZN9rocsparseL41csrgemm_numeric_fill_block_per_row_kernelILj256ELj32ELj512ELj137ELj64Eli21rocsparse_complex_numIdEEEvT5_PKS3_S5_NS_24const_host_device_scalarIT6_EEPKT4_S5_PKS7_SB_S5_SD_S8_SB_S5_SD_SB_S5_PS7_21rocsparse_index_base_SF_SF_SF_bbb, .Lfunc_end225-_ZN9rocsparseL41csrgemm_numeric_fill_block_per_row_kernelILj256ELj32ELj512ELj137ELj64Eli21rocsparse_complex_numIdEEEvT5_PKS3_S5_NS_24const_host_device_scalarIT6_EEPKT4_S5_PKS7_SB_S5_SD_S8_SB_S5_SD_SB_S5_PS7_21rocsparse_index_base_SF_SF_SF_bbb
                                        ; -- End function
	.section	.AMDGPU.csdata,"",@progbits
; Kernel info:
; codeLenInByte = 3740
; NumSgprs: 44
; NumVgprs: 35
; ScratchSize: 40
; MemoryBound: 0
; FloatMode: 240
; IeeeMode: 1
; LDSByteSize: 0 bytes/workgroup (compile time only)
; SGPRBlocks: 5
; VGPRBlocks: 4
; NumSGPRsForWavesPerEU: 44
; NumVGPRsForWavesPerEU: 35
; Occupancy: 16
; WaveLimiterHint : 1
; COMPUTE_PGM_RSRC2:SCRATCH_EN: 1
; COMPUTE_PGM_RSRC2:USER_SGPR: 15
; COMPUTE_PGM_RSRC2:TRAP_HANDLER: 0
; COMPUTE_PGM_RSRC2:TGID_X_EN: 1
; COMPUTE_PGM_RSRC2:TGID_Y_EN: 0
; COMPUTE_PGM_RSRC2:TGID_Z_EN: 0
; COMPUTE_PGM_RSRC2:TIDIG_COMP_CNT: 0
	.section	.text._ZN9rocsparseL41csrgemm_numeric_fill_block_per_row_kernelILj512ELj32ELj1024ELj137ELj32Eli21rocsparse_complex_numIdEEEvT5_PKS3_S5_NS_24const_host_device_scalarIT6_EEPKT4_S5_PKS7_SB_S5_SD_S8_SB_S5_SD_SB_S5_PS7_21rocsparse_index_base_SF_SF_SF_bbb,"axG",@progbits,_ZN9rocsparseL41csrgemm_numeric_fill_block_per_row_kernelILj512ELj32ELj1024ELj137ELj32Eli21rocsparse_complex_numIdEEEvT5_PKS3_S5_NS_24const_host_device_scalarIT6_EEPKT4_S5_PKS7_SB_S5_SD_S8_SB_S5_SD_SB_S5_PS7_21rocsparse_index_base_SF_SF_SF_bbb,comdat
	.globl	_ZN9rocsparseL41csrgemm_numeric_fill_block_per_row_kernelILj512ELj32ELj1024ELj137ELj32Eli21rocsparse_complex_numIdEEEvT5_PKS3_S5_NS_24const_host_device_scalarIT6_EEPKT4_S5_PKS7_SB_S5_SD_S8_SB_S5_SD_SB_S5_PS7_21rocsparse_index_base_SF_SF_SF_bbb ; -- Begin function _ZN9rocsparseL41csrgemm_numeric_fill_block_per_row_kernelILj512ELj32ELj1024ELj137ELj32Eli21rocsparse_complex_numIdEEEvT5_PKS3_S5_NS_24const_host_device_scalarIT6_EEPKT4_S5_PKS7_SB_S5_SD_S8_SB_S5_SD_SB_S5_PS7_21rocsparse_index_base_SF_SF_SF_bbb
	.p2align	8
	.type	_ZN9rocsparseL41csrgemm_numeric_fill_block_per_row_kernelILj512ELj32ELj1024ELj137ELj32Eli21rocsparse_complex_numIdEEEvT5_PKS3_S5_NS_24const_host_device_scalarIT6_EEPKT4_S5_PKS7_SB_S5_SD_S8_SB_S5_SD_SB_S5_PS7_21rocsparse_index_base_SF_SF_SF_bbb,@function
_ZN9rocsparseL41csrgemm_numeric_fill_block_per_row_kernelILj512ELj32ELj1024ELj137ELj32Eli21rocsparse_complex_numIdEEEvT5_PKS3_S5_NS_24const_host_device_scalarIT6_EEPKT4_S5_PKS7_SB_S5_SD_S8_SB_S5_SD_SB_S5_PS7_21rocsparse_index_base_SF_SF_SF_bbb: ; @_ZN9rocsparseL41csrgemm_numeric_fill_block_per_row_kernelILj512ELj32ELj1024ELj137ELj32Eli21rocsparse_complex_numIdEEEvT5_PKS3_S5_NS_24const_host_device_scalarIT6_EEPKT4_S5_PKS7_SB_S5_SD_S8_SB_S5_SD_SB_S5_PS7_21rocsparse_index_base_SF_SF_SF_bbb
; %bb.0:
	s_clause 0x3
	s_load_b32 s14, s[0:1], 0xa8
	s_load_b128 s[4:7], s[0:1], 0x18
	s_load_b128 s[36:39], s[0:1], 0x58
	;; [unrolled: 1-line block ×3, first 2 shown]
	v_mov_b32_e32 v1, 0
	v_mov_b32_e32 v2, 0
	s_waitcnt lgkmcnt(0)
	s_bitcmp1_b32 s14, 0
	v_mov_b32_e32 v3, s4
	s_cselect_b32 s12, -1, 0
	s_bitcmp1_b32 s14, 16
	v_dual_mov_b32 v6, v2 :: v_dual_mov_b32 v5, v1
	s_cselect_b32 s2, -1, 0
	v_mov_b32_e32 v4, s5
	s_xor_b32 s13, s2, -1
	v_dual_mov_b32 v9, s36 :: v_dual_mov_b32 v10, s37
	v_cndmask_b32_e64 v7, 0, 1, s13
	s_bitcmp0_b32 s14, 0
	s_clause 0x1
	scratch_store_b64 off, v[3:4], off offset:16
	scratch_store_b64 off, v[9:10], off offset:24
	v_cmp_ne_u32_e32 vcc_lo, 1, v7
	v_dual_mov_b32 v8, v2 :: v_dual_mov_b32 v7, v1
	s_cbranch_scc1 .LBB226_3
; %bb.1:
	s_mov_b64 s[8:9], src_private_base
	s_and_b32 s3, s2, exec_lo
	s_cselect_b32 s3, s9, s5
	s_delay_alu instid0(SALU_CYCLE_1) | instskip(SKIP_2) | instid1(VALU_DEP_2)
	v_dual_mov_b32 v3, 16 :: v_dual_mov_b32 v4, s3
	v_dual_mov_b32 v8, s7 :: v_dual_mov_b32 v7, s6
	s_and_b32 vcc_lo, exec_lo, vcc_lo
	v_cndmask_b32_e64 v3, s4, v3, s2
	flat_load_b64 v[5:6], v[3:4]
	s_cbranch_vccnz .LBB226_3
; %bb.2:
	v_dual_mov_b32 v3, s4 :: v_dual_mov_b32 v4, s5
	flat_load_b64 v[7:8], v[3:4] offset:8
.LBB226_3:
	s_clause 0x4
	s_load_b64 s[34:35], s[0:1], 0x90
	s_load_b256 s[16:23], s[0:1], 0x68
	s_load_b128 s[28:31], s[0:1], 0x48
	s_load_b128 s[40:43], s[0:1], 0x8
	s_load_b256 s[4:11], s[0:1], 0x28
	s_bitcmp1_b32 s14, 8
	v_dual_mov_b32 v4, v2 :: v_dual_mov_b32 v3, v1
	s_cselect_b32 s3, -1, 0
	s_bfe_u32 s14, s14, 0x10008
	s_delay_alu instid0(SALU_CYCLE_1)
	s_cmp_eq_u32 s14, 0
	s_cbranch_scc1 .LBB226_6
; %bb.4:
	s_mov_b64 s[44:45], src_private_base
	s_and_b32 s14, s2, exec_lo
	s_cselect_b32 s14, s45, s37
	s_delay_alu instid0(SALU_CYCLE_1) | instskip(SKIP_1) | instid1(VALU_DEP_1)
	v_dual_mov_b32 v1, 24 :: v_dual_mov_b32 v2, s14
	s_and_not1_b32 vcc_lo, exec_lo, s13
	v_cndmask_b32_e64 v1, s36, v1, s2
	flat_load_b64 v[3:4], v[1:2]
	v_dual_mov_b32 v1, s38 :: v_dual_mov_b32 v2, s39
	s_cbranch_vccnz .LBB226_6
; %bb.5:
	v_dual_mov_b32 v1, s36 :: v_dual_mov_b32 v2, s37
	flat_load_b64 v[1:2], v[1:2] offset:8
.LBB226_6:
	s_load_b32 s33, s[0:1], 0x0
	s_mov_b32 s0, 0
	v_or_b32_e32 v25, 0xfffffe00, v0
	s_mov_b32 s1, s0
	s_delay_alu instid0(SALU_CYCLE_1) | instskip(SKIP_3) | instid1(VALU_DEP_2)
	v_dual_mov_b32 v10, s1 :: v_dual_lshlrev_b32 v11, 4, v0
	v_lshl_add_u32 v26, v0, 2, 0
	s_mov_b32 s36, s0
	s_mov_b32 s37, s0
	v_add3_u32 v27, v11, 0, 0x1000
	v_dual_mov_b32 v11, s36 :: v_dual_mov_b32 v14, v25
	v_dual_mov_b32 v9, s0 :: v_dual_mov_b32 v12, s37
	s_delay_alu instid0(VALU_DEP_3)
	v_dual_mov_b32 v13, v26 :: v_dual_mov_b32 v16, v27
	s_waitcnt lgkmcnt(0)
	v_mov_b32_e32 v15, s33
.LBB226_7:                              ; =>This Inner Loop Header: Depth=1
	v_add_co_u32 v14, s1, 0x200, v14
	s_delay_alu instid0(VALU_DEP_1)
	s_xor_b32 s1, s1, -1
	ds_store_b32 v13, v15
	ds_store_2addr_b64 v16, v[9:10], v[11:12] offset1:1
	v_add_nc_u32_e32 v16, 0x2000, v16
	v_add_nc_u32_e32 v13, 0x800, v13
	s_and_b32 s1, exec_lo, s1
	s_delay_alu instid0(SALU_CYCLE_1) | instskip(NEXT) | instid1(SALU_CYCLE_1)
	s_or_b32 s0, s1, s0
	s_and_not1_b32 exec_lo, exec_lo, s0
	s_cbranch_execnz .LBB226_7
; %bb.8:
	s_or_b32 exec_lo, exec_lo, s0
	s_waitcnt vmcnt(0) lgkmcnt(0)
	s_waitcnt_vscnt null, 0x0
	s_barrier
	buffer_gl0_inv
	s_load_b32 s0, s[40:41], 0x0
	s_mov_b32 s1, 0
	v_lshrrev_b32_e32 v28, 5, v0
	s_waitcnt lgkmcnt(0)
	s_add_i32 s0, s0, s15
	s_delay_alu instid0(SALU_CYCLE_1) | instskip(NEXT) | instid1(SALU_CYCLE_1)
	s_lshl_b64 s[0:1], s[0:1], 2
	s_add_u32 s0, s42, s0
	s_addc_u32 s1, s43, s1
	s_and_b32 vcc_lo, exec_lo, s12
	s_load_b32 s36, s[0:1], 0x0
	s_cbranch_vccz .LBB226_36
; %bb.9:
	s_waitcnt lgkmcnt(0)
	s_ashr_i32 s37, s36, 31
	s_mov_b32 s2, exec_lo
	s_lshl_b64 s[0:1], s[36:37], 3
	s_delay_alu instid0(SALU_CYCLE_1) | instskip(SKIP_3) | instid1(VALU_DEP_1)
	s_add_u32 s0, s4, s0
	s_addc_u32 s1, s5, s1
	s_load_b128 s[12:15], s[0:1], 0x0
	v_sub_co_u32 v9, s0, v28, s24
	v_sub_co_ci_u32_e64 v10, null, 0, 0, s0
	s_waitcnt lgkmcnt(0)
	s_delay_alu instid0(VALU_DEP_2) | instskip(NEXT) | instid1(VALU_DEP_2)
	v_add_co_u32 v9, vcc_lo, s12, v9
	v_add_co_ci_u32_e32 v10, vcc_lo, s13, v10, vcc_lo
	s_sub_u32 s0, s14, s24
	s_subb_u32 s1, s15, 0
	s_delay_alu instid0(VALU_DEP_1) | instid1(SALU_CYCLE_1)
	v_cmpx_gt_i64_e64 s[0:1], v[9:10]
	s_cbranch_execz .LBB226_35
; %bb.10:
	v_and_b32_e32 v11, 31, v0
	s_mov_b32 s5, s25
	s_delay_alu instid0(VALU_DEP_1) | instskip(NEXT) | instid1(VALU_DEP_1)
	v_sub_co_u32 v29, s4, v11, s25
	v_sub_co_ci_u32_e64 v30, null, 0, 0, s4
	s_mov_b32 s4, 0
	s_branch .LBB226_12
.LBB226_11:                             ;   in Loop: Header=BB226_12 Depth=1
	s_or_b32 exec_lo, exec_lo, s12
	v_add_co_u32 v9, vcc_lo, v9, 16
	v_add_co_ci_u32_e32 v10, vcc_lo, 0, v10, vcc_lo
	s_delay_alu instid0(VALU_DEP_1) | instskip(SKIP_1) | instid1(SALU_CYCLE_1)
	v_cmp_le_i64_e32 vcc_lo, s[0:1], v[9:10]
	s_or_b32 s4, vcc_lo, s4
	s_and_not1_b32 exec_lo, exec_lo, s4
	s_cbranch_execz .LBB226_35
.LBB226_12:                             ; =>This Loop Header: Depth=1
                                        ;     Child Loop BB226_15 Depth 2
                                        ;       Child Loop BB226_17 Depth 3
                                        ;         Child Loop BB226_23 Depth 4
                                        ;         Child Loop BB226_25 Depth 4
	;; [unrolled: 1-line block ×4, first 2 shown]
	v_lshlrev_b64 v[11:12], 2, v[9:10]
	s_mov_b32 s12, exec_lo
	s_delay_alu instid0(VALU_DEP_1) | instskip(NEXT) | instid1(VALU_DEP_2)
	v_add_co_u32 v11, vcc_lo, s6, v11
	v_add_co_ci_u32_e32 v12, vcc_lo, s7, v12, vcc_lo
	global_load_b32 v11, v[11:12], off
	s_waitcnt vmcnt(0)
	v_subrev_nc_u32_e32 v11, s24, v11
	s_delay_alu instid0(VALU_DEP_1) | instskip(NEXT) | instid1(VALU_DEP_1)
	v_ashrrev_i32_e32 v12, 31, v11
	v_lshlrev_b64 v[11:12], 3, v[11:12]
	s_delay_alu instid0(VALU_DEP_1) | instskip(NEXT) | instid1(VALU_DEP_2)
	v_add_co_u32 v11, vcc_lo, s10, v11
	v_add_co_ci_u32_e32 v12, vcc_lo, s11, v12, vcc_lo
	global_load_b128 v[13:16], v[11:12], off
	s_waitcnt vmcnt(0)
	v_sub_co_u32 v11, vcc_lo, v15, s5
	v_subrev_co_ci_u32_e32 v12, vcc_lo, 0, v16, vcc_lo
	v_add_co_u32 v13, vcc_lo, v13, v29
	v_add_co_ci_u32_e32 v14, vcc_lo, v14, v30, vcc_lo
	s_delay_alu instid0(VALU_DEP_1)
	v_cmpx_lt_i64_e64 v[13:14], v[11:12]
	s_cbranch_execz .LBB226_11
; %bb.13:                               ;   in Loop: Header=BB226_12 Depth=1
	v_lshlrev_b64 v[15:16], 4, v[9:10]
	s_mov_b32 s13, 0
	s_delay_alu instid0(VALU_DEP_1) | instskip(NEXT) | instid1(VALU_DEP_2)
	v_add_co_u32 v15, vcc_lo, s8, v15
	v_add_co_ci_u32_e32 v16, vcc_lo, s9, v16, vcc_lo
	global_load_b128 v[17:20], v[15:16], off
	s_waitcnt vmcnt(0)
	v_mul_f64 v[15:16], v[19:20], -v[7:8]
	v_mul_f64 v[19:20], v[5:6], v[19:20]
	s_delay_alu instid0(VALU_DEP_2) | instskip(NEXT) | instid1(VALU_DEP_2)
	v_fma_f64 v[15:16], v[5:6], v[17:18], v[15:16]
	v_fma_f64 v[17:18], v[7:8], v[17:18], v[19:20]
	s_branch .LBB226_15
.LBB226_14:                             ;   in Loop: Header=BB226_15 Depth=2
	s_or_b32 exec_lo, exec_lo, s14
	v_add_co_u32 v13, vcc_lo, v13, 32
	v_add_co_ci_u32_e32 v14, vcc_lo, 0, v14, vcc_lo
	s_delay_alu instid0(VALU_DEP_1) | instskip(SKIP_1) | instid1(SALU_CYCLE_1)
	v_cmp_ge_i64_e32 vcc_lo, v[13:14], v[11:12]
	s_or_b32 s13, vcc_lo, s13
	s_and_not1_b32 exec_lo, exec_lo, s13
	s_cbranch_execz .LBB226_11
.LBB226_15:                             ;   Parent Loop BB226_12 Depth=1
                                        ; =>  This Loop Header: Depth=2
                                        ;       Child Loop BB226_17 Depth 3
                                        ;         Child Loop BB226_23 Depth 4
                                        ;         Child Loop BB226_25 Depth 4
	;; [unrolled: 1-line block ×4, first 2 shown]
	v_lshlrev_b64 v[19:20], 4, v[13:14]
	s_mov_b32 s14, 0
	s_delay_alu instid0(VALU_DEP_1) | instskip(NEXT) | instid1(VALU_DEP_2)
	v_add_co_u32 v19, vcc_lo, s30, v19
	v_add_co_ci_u32_e32 v20, vcc_lo, s31, v20, vcc_lo
	global_load_b128 v[21:24], v[19:20], off
	v_lshlrev_b64 v[19:20], 2, v[13:14]
	s_delay_alu instid0(VALU_DEP_1) | instskip(NEXT) | instid1(VALU_DEP_2)
	v_add_co_u32 v19, vcc_lo, s28, v19
	v_add_co_ci_u32_e32 v20, vcc_lo, s29, v20, vcc_lo
	global_load_b32 v31, v[19:20], off
	s_waitcnt vmcnt(1)
	v_mul_f64 v[19:20], v[23:24], -v[17:18]
	v_mul_f64 v[23:24], v[15:16], v[23:24]
	s_waitcnt vmcnt(0)
	v_subrev_nc_u32_e32 v31, s25, v31
	s_delay_alu instid0(VALU_DEP_3) | instskip(NEXT) | instid1(VALU_DEP_3)
	v_fma_f64 v[19:20], v[15:16], v[21:22], v[19:20]
	v_fma_f64 v[21:22], v[17:18], v[21:22], v[23:24]
	s_delay_alu instid0(VALU_DEP_3) | instskip(NEXT) | instid1(VALU_DEP_1)
	v_mul_lo_u32 v23, 0x89, v31
	v_and_b32_e32 v32, 0x3ff, v23
	s_branch .LBB226_17
.LBB226_16:                             ;   in Loop: Header=BB226_17 Depth=3
	s_or_b32 exec_lo, exec_lo, s15
	s_xor_b32 s15, s37, -1
	s_delay_alu instid0(SALU_CYCLE_1) | instskip(NEXT) | instid1(SALU_CYCLE_1)
	s_and_b32 s15, exec_lo, s15
	s_or_b32 s14, s15, s14
	s_delay_alu instid0(SALU_CYCLE_1)
	s_and_not1_b32 exec_lo, exec_lo, s14
	s_cbranch_execz .LBB226_14
.LBB226_17:                             ;   Parent Loop BB226_12 Depth=1
                                        ;     Parent Loop BB226_15 Depth=2
                                        ; =>    This Loop Header: Depth=3
                                        ;         Child Loop BB226_23 Depth 4
                                        ;         Child Loop BB226_25 Depth 4
	;; [unrolled: 1-line block ×4, first 2 shown]
	s_delay_alu instid0(VALU_DEP_1)
	v_lshl_add_u32 v23, v32, 2, 0
	s_mov_b32 s15, exec_lo
                                        ; implicit-def: $sgpr37
	ds_load_b32 v24, v23
	s_waitcnt lgkmcnt(0)
	v_cmpx_ne_u32_e64 v24, v31
	s_xor_b32 s15, exec_lo, s15
	s_cbranch_execz .LBB226_29
; %bb.18:                               ;   in Loop: Header=BB226_17 Depth=3
	s_mov_b32 s38, exec_lo
                                        ; implicit-def: $sgpr37
	v_cmpx_ne_u32_e64 s33, v24
	s_xor_b32 s38, exec_lo, s38
; %bb.19:                               ;   in Loop: Header=BB226_17 Depth=3
	v_add_nc_u32_e32 v23, 1, v32
	s_mov_b32 s37, -1
	s_delay_alu instid0(VALU_DEP_1)
	v_and_b32_e32 v32, 0x3ff, v23
                                        ; implicit-def: $vgpr23
; %bb.20:                               ;   in Loop: Header=BB226_17 Depth=3
	s_and_not1_saveexec_b32 s38, s38
	s_cbranch_execz .LBB226_28
; %bb.21:                               ;   in Loop: Header=BB226_17 Depth=3
	v_mov_b32_e32 v24, s33
	s_mov_b32 s40, -1
	s_mov_b32 s39, exec_lo
	ds_cmpstore_rtn_b32 v24, v23, v31, v24
	s_waitcnt lgkmcnt(0)
	v_cmpx_eq_u32_e64 s33, v24
	s_cbranch_execz .LBB226_27
; %bb.22:                               ;   in Loop: Header=BB226_17 Depth=3
	v_mul_lo_u32 v24, v32, 12
	s_mov_b32 s40, 0
	s_delay_alu instid0(VALU_DEP_1)
	v_add_nc_u32_e32 v33, v23, v24
	ds_load_b64 v[23:24], v33 offset:4096
.LBB226_23:                             ;   Parent Loop BB226_12 Depth=1
                                        ;     Parent Loop BB226_15 Depth=2
                                        ;       Parent Loop BB226_17 Depth=3
                                        ; =>      This Inner Loop Header: Depth=4
	s_waitcnt lgkmcnt(0)
	v_add_f64 v[34:35], v[23:24], v[19:20]
	ds_cmpstore_rtn_b64 v[34:35], v33, v[34:35], v[23:24] offset:4096
	s_waitcnt lgkmcnt(0)
	v_cmp_eq_u64_e32 vcc_lo, v[34:35], v[23:24]
	v_dual_mov_b32 v23, v34 :: v_dual_mov_b32 v24, v35
	s_or_b32 s40, vcc_lo, s40
	s_delay_alu instid0(SALU_CYCLE_1)
	s_and_not1_b32 exec_lo, exec_lo, s40
	s_cbranch_execnz .LBB226_23
; %bb.24:                               ;   in Loop: Header=BB226_17 Depth=3
	s_or_b32 exec_lo, exec_lo, s40
	ds_load_b64 v[23:24], v33 offset:4104
	s_mov_b32 s40, 0
.LBB226_25:                             ;   Parent Loop BB226_12 Depth=1
                                        ;     Parent Loop BB226_15 Depth=2
                                        ;       Parent Loop BB226_17 Depth=3
                                        ; =>      This Inner Loop Header: Depth=4
	s_waitcnt lgkmcnt(0)
	v_add_f64 v[34:35], v[23:24], v[21:22]
	ds_cmpstore_rtn_b64 v[34:35], v33, v[34:35], v[23:24] offset:4104
	s_waitcnt lgkmcnt(0)
	v_cmp_eq_u64_e32 vcc_lo, v[34:35], v[23:24]
	v_dual_mov_b32 v23, v34 :: v_dual_mov_b32 v24, v35
	s_or_b32 s40, vcc_lo, s40
	s_delay_alu instid0(SALU_CYCLE_1)
	s_and_not1_b32 exec_lo, exec_lo, s40
	s_cbranch_execnz .LBB226_25
; %bb.26:                               ;   in Loop: Header=BB226_17 Depth=3
	s_or_b32 exec_lo, exec_lo, s40
	s_delay_alu instid0(SALU_CYCLE_1)
	s_xor_b32 s40, exec_lo, -1
.LBB226_27:                             ;   in Loop: Header=BB226_17 Depth=3
	s_or_b32 exec_lo, exec_lo, s39
	s_delay_alu instid0(SALU_CYCLE_1) | instskip(SKIP_1) | instid1(SALU_CYCLE_1)
	s_and_not1_b32 s37, s37, exec_lo
	s_and_b32 s39, s40, exec_lo
	s_or_b32 s37, s37, s39
.LBB226_28:                             ;   in Loop: Header=BB226_17 Depth=3
	s_or_b32 exec_lo, exec_lo, s38
	s_delay_alu instid0(SALU_CYCLE_1)
	s_and_b32 s37, s37, exec_lo
                                        ; implicit-def: $vgpr23
.LBB226_29:                             ;   in Loop: Header=BB226_17 Depth=3
	s_and_not1_saveexec_b32 s15, s15
	s_cbranch_execz .LBB226_16
; %bb.30:                               ;   in Loop: Header=BB226_17 Depth=3
	v_mul_lo_u32 v24, v32, 12
	s_mov_b32 s38, 0
	s_delay_alu instid0(VALU_DEP_1)
	v_add_nc_u32_e32 v33, v23, v24
	ds_load_b64 v[23:24], v33 offset:4096
.LBB226_31:                             ;   Parent Loop BB226_12 Depth=1
                                        ;     Parent Loop BB226_15 Depth=2
                                        ;       Parent Loop BB226_17 Depth=3
                                        ; =>      This Inner Loop Header: Depth=4
	s_waitcnt lgkmcnt(0)
	v_add_f64 v[34:35], v[23:24], v[19:20]
	ds_cmpstore_rtn_b64 v[34:35], v33, v[34:35], v[23:24] offset:4096
	s_waitcnt lgkmcnt(0)
	v_cmp_eq_u64_e32 vcc_lo, v[34:35], v[23:24]
	v_dual_mov_b32 v23, v34 :: v_dual_mov_b32 v24, v35
	s_or_b32 s38, vcc_lo, s38
	s_delay_alu instid0(SALU_CYCLE_1)
	s_and_not1_b32 exec_lo, exec_lo, s38
	s_cbranch_execnz .LBB226_31
; %bb.32:                               ;   in Loop: Header=BB226_17 Depth=3
	s_or_b32 exec_lo, exec_lo, s38
	ds_load_b64 v[23:24], v33 offset:4104
	s_mov_b32 s38, 0
.LBB226_33:                             ;   Parent Loop BB226_12 Depth=1
                                        ;     Parent Loop BB226_15 Depth=2
                                        ;       Parent Loop BB226_17 Depth=3
                                        ; =>      This Inner Loop Header: Depth=4
	s_waitcnt lgkmcnt(0)
	v_add_f64 v[34:35], v[23:24], v[21:22]
	ds_cmpstore_rtn_b64 v[34:35], v33, v[34:35], v[23:24] offset:4104
	s_waitcnt lgkmcnt(0)
	v_cmp_eq_u64_e32 vcc_lo, v[34:35], v[23:24]
	v_dual_mov_b32 v23, v34 :: v_dual_mov_b32 v24, v35
	s_or_b32 s38, vcc_lo, s38
	s_delay_alu instid0(SALU_CYCLE_1)
	s_and_not1_b32 exec_lo, exec_lo, s38
	s_cbranch_execnz .LBB226_33
; %bb.34:                               ;   in Loop: Header=BB226_17 Depth=3
	s_or_b32 exec_lo, exec_lo, s38
	s_delay_alu instid0(SALU_CYCLE_1)
	s_and_not1_b32 s37, s37, exec_lo
	s_branch .LBB226_16
.LBB226_35:
	s_or_b32 exec_lo, exec_lo, s2
.LBB226_36:
	s_delay_alu instid0(SALU_CYCLE_1)
	s_and_not1_b32 vcc_lo, exec_lo, s3
	s_cbranch_vccnz .LBB226_39
; %bb.37:
	s_waitcnt lgkmcnt(0)
	s_ashr_i32 s37, s36, 31
	v_sub_co_u32 v5, s4, v0, s27
	s_lshl_b64 s[0:1], s[36:37], 3
	v_sub_co_ci_u32_e64 v6, null, 0, 0, s4
	s_add_u32 s0, s16, s0
	s_addc_u32 s1, s17, s1
	s_load_b128 s[0:3], s[0:1], 0x0
	s_waitcnt lgkmcnt(0)
	v_add_co_u32 v5, vcc_lo, s0, v5
	v_add_co_ci_u32_e32 v6, vcc_lo, s1, v6, vcc_lo
	s_sub_u32 s0, s2, s27
	s_subb_u32 s1, s3, 0
	s_mov_b32 s3, 0
	s_mov_b32 s2, exec_lo
	v_cmpx_gt_i64_e64 s[0:1], v[5:6]
	s_cbranch_execnz .LBB226_76
.LBB226_38:
	s_or_b32 exec_lo, exec_lo, s2
.LBB226_39:
	v_mbcnt_lo_u32_b32 v1, -1, 0
	v_lshl_add_u32 v3, v28, 2, 0
	v_cmp_eq_u32_e32 vcc_lo, 0x1ff, v0
	v_cmp_lt_u32_e64 s0, 31, v0
	v_cmp_lt_u32_e64 s1, 63, v0
	v_xor_b32_e32 v1, 63, v1
	v_cmp_lt_u32_e64 s2, 0x5f, v0
	v_cmp_lt_u32_e64 s3, 0x7f, v0
	;; [unrolled: 1-line block ×4, first 2 shown]
	v_lshrrev_b64 v[1:2], v1, -1
	v_cmp_lt_u32_e64 s6, 0xdf, v0
	v_cmp_lt_u32_e64 s7, 0xff, v0
	v_cmp_lt_u32_e64 s8, 0x11f, v0
	v_cmp_lt_u32_e64 s9, 0x13f, v0
	v_cmp_lt_u32_e64 s10, 0x15f, v0
	v_cmp_lt_u32_e64 s11, 0x17f, v0
	v_cmp_lt_u32_e64 s12, 0x19f, v0
	v_cmp_lt_u32_e64 s13, 0x1bf, v0
	v_cmp_lt_u32_e64 s14, 0x1df, v0
	v_mov_b32_e32 v2, 0
	v_mov_b32_e32 v4, 0
	s_mov_b32 s16, 0
	s_waitcnt lgkmcnt(0)
	s_barrier
	buffer_gl0_inv
	s_branch .LBB226_41
.LBB226_40:                             ;   in Loop: Header=BB226_41 Depth=1
	s_or_b32 exec_lo, exec_lo, s15
	s_waitcnt lgkmcnt(0)
	s_barrier
	buffer_gl0_inv
	ds_load_b32 v5, v2 offset:20540
	v_add_co_u32 v25, s15, 0x200, v25
	s_delay_alu instid0(VALU_DEP_1) | instskip(SKIP_3) | instid1(SALU_CYCLE_1)
	s_xor_b32 s15, s15, -1
	v_add_nc_u32_e32 v27, 0x2000, v27
	v_add_nc_u32_e32 v26, 0x800, v26
	s_and_b32 s15, exec_lo, s15
	s_or_b32 s16, s15, s16
	s_waitcnt lgkmcnt(0)
	v_add_nc_u32_e32 v4, v5, v4
	s_and_not1_b32 exec_lo, exec_lo, s16
	s_cbranch_execz .LBB226_96
.LBB226_41:                             ; =>This Inner Loop Header: Depth=1
	ds_load_b32 v5, v26
	ds_load_2addr_b64 v[6:9], v27 offset1:1
	s_waitcnt lgkmcnt(1)
	v_cmp_gt_i32_e64 s15, s33, v5
	s_waitcnt lgkmcnt(0)
	scratch_store_b128 off, v[6:9], off
	s_waitcnt_vscnt null, 0x0
	s_barrier
	buffer_gl0_inv
	s_bcnt1_i32_b32 s17, s15
	s_delay_alu instid0(SALU_CYCLE_1) | instskip(NEXT) | instid1(VALU_DEP_1)
	v_dual_mov_b32 v7, s17 :: v_dual_and_b32 v6, s15, v1
	v_bcnt_u32_b32 v6, v6, 0
	ds_store_b32 v3, v7 offset:20480
	s_waitcnt lgkmcnt(0)
	s_barrier
	buffer_gl0_inv
	s_and_saveexec_b32 s17, s0
	s_cbranch_execnz .LBB226_58
; %bb.42:                               ;   in Loop: Header=BB226_41 Depth=1
	s_or_b32 exec_lo, exec_lo, s17
	s_and_saveexec_b32 s17, s1
	s_cbranch_execnz .LBB226_59
.LBB226_43:                             ;   in Loop: Header=BB226_41 Depth=1
	s_or_b32 exec_lo, exec_lo, s17
	s_and_saveexec_b32 s17, s2
	s_cbranch_execnz .LBB226_60
.LBB226_44:                             ;   in Loop: Header=BB226_41 Depth=1
	s_or_b32 exec_lo, exec_lo, s17
	s_and_saveexec_b32 s17, s3
	s_cbranch_execnz .LBB226_61
.LBB226_45:                             ;   in Loop: Header=BB226_41 Depth=1
	s_or_b32 exec_lo, exec_lo, s17
	s_and_saveexec_b32 s17, s4
	s_cbranch_execnz .LBB226_62
.LBB226_46:                             ;   in Loop: Header=BB226_41 Depth=1
	s_or_b32 exec_lo, exec_lo, s17
	s_and_saveexec_b32 s17, s5
	s_cbranch_execnz .LBB226_63
.LBB226_47:                             ;   in Loop: Header=BB226_41 Depth=1
	s_or_b32 exec_lo, exec_lo, s17
	s_and_saveexec_b32 s17, s6
	s_cbranch_execnz .LBB226_64
.LBB226_48:                             ;   in Loop: Header=BB226_41 Depth=1
	s_or_b32 exec_lo, exec_lo, s17
	s_and_saveexec_b32 s17, s7
	s_cbranch_execnz .LBB226_65
.LBB226_49:                             ;   in Loop: Header=BB226_41 Depth=1
	s_or_b32 exec_lo, exec_lo, s17
	s_and_saveexec_b32 s17, s8
	s_cbranch_execnz .LBB226_66
.LBB226_50:                             ;   in Loop: Header=BB226_41 Depth=1
	s_or_b32 exec_lo, exec_lo, s17
	s_and_saveexec_b32 s17, s9
	s_cbranch_execnz .LBB226_67
.LBB226_51:                             ;   in Loop: Header=BB226_41 Depth=1
	s_or_b32 exec_lo, exec_lo, s17
	s_and_saveexec_b32 s17, s10
	s_cbranch_execnz .LBB226_68
.LBB226_52:                             ;   in Loop: Header=BB226_41 Depth=1
	s_or_b32 exec_lo, exec_lo, s17
	s_and_saveexec_b32 s17, s11
	s_cbranch_execnz .LBB226_69
.LBB226_53:                             ;   in Loop: Header=BB226_41 Depth=1
	s_or_b32 exec_lo, exec_lo, s17
	s_and_saveexec_b32 s17, s12
	s_cbranch_execnz .LBB226_70
.LBB226_54:                             ;   in Loop: Header=BB226_41 Depth=1
	s_or_b32 exec_lo, exec_lo, s17
	s_and_saveexec_b32 s17, s13
	s_cbranch_execnz .LBB226_71
.LBB226_55:                             ;   in Loop: Header=BB226_41 Depth=1
	s_or_b32 exec_lo, exec_lo, s17
	s_and_saveexec_b32 s17, s14
	s_cbranch_execnz .LBB226_72
.LBB226_56:                             ;   in Loop: Header=BB226_41 Depth=1
	s_or_b32 exec_lo, exec_lo, s17
	s_and_saveexec_b32 s17, s15
	s_cbranch_execnz .LBB226_73
.LBB226_57:                             ;   in Loop: Header=BB226_41 Depth=1
	s_or_b32 exec_lo, exec_lo, s17
	s_and_saveexec_b32 s15, vcc_lo
	s_cbranch_execz .LBB226_40
	s_branch .LBB226_74
.LBB226_58:                             ;   in Loop: Header=BB226_41 Depth=1
	ds_load_b32 v7, v2 offset:20480
	s_waitcnt lgkmcnt(0)
	v_add_nc_u32_e32 v6, v7, v6
	s_or_b32 exec_lo, exec_lo, s17
	s_and_saveexec_b32 s17, s1
	s_cbranch_execz .LBB226_43
.LBB226_59:                             ;   in Loop: Header=BB226_41 Depth=1
	ds_load_b32 v7, v2 offset:20484
	s_waitcnt lgkmcnt(0)
	v_add_nc_u32_e32 v6, v7, v6
	s_or_b32 exec_lo, exec_lo, s17
	s_and_saveexec_b32 s17, s2
	s_cbranch_execz .LBB226_44
.LBB226_60:                             ;   in Loop: Header=BB226_41 Depth=1
	ds_load_b32 v7, v2 offset:20488
	s_waitcnt lgkmcnt(0)
	v_add_nc_u32_e32 v6, v7, v6
	s_or_b32 exec_lo, exec_lo, s17
	s_and_saveexec_b32 s17, s3
	s_cbranch_execz .LBB226_45
.LBB226_61:                             ;   in Loop: Header=BB226_41 Depth=1
	ds_load_b32 v7, v2 offset:20492
	s_waitcnt lgkmcnt(0)
	v_add_nc_u32_e32 v6, v7, v6
	s_or_b32 exec_lo, exec_lo, s17
	s_and_saveexec_b32 s17, s4
	s_cbranch_execz .LBB226_46
.LBB226_62:                             ;   in Loop: Header=BB226_41 Depth=1
	ds_load_b32 v7, v2 offset:20496
	s_waitcnt lgkmcnt(0)
	v_add_nc_u32_e32 v6, v7, v6
	s_or_b32 exec_lo, exec_lo, s17
	s_and_saveexec_b32 s17, s5
	s_cbranch_execz .LBB226_47
.LBB226_63:                             ;   in Loop: Header=BB226_41 Depth=1
	ds_load_b32 v7, v2 offset:20500
	s_waitcnt lgkmcnt(0)
	v_add_nc_u32_e32 v6, v7, v6
	s_or_b32 exec_lo, exec_lo, s17
	s_and_saveexec_b32 s17, s6
	s_cbranch_execz .LBB226_48
.LBB226_64:                             ;   in Loop: Header=BB226_41 Depth=1
	ds_load_b32 v7, v2 offset:20504
	s_waitcnt lgkmcnt(0)
	v_add_nc_u32_e32 v6, v7, v6
	s_or_b32 exec_lo, exec_lo, s17
	s_and_saveexec_b32 s17, s7
	s_cbranch_execz .LBB226_49
.LBB226_65:                             ;   in Loop: Header=BB226_41 Depth=1
	ds_load_b32 v7, v2 offset:20508
	s_waitcnt lgkmcnt(0)
	v_add_nc_u32_e32 v6, v7, v6
	s_or_b32 exec_lo, exec_lo, s17
	s_and_saveexec_b32 s17, s8
	s_cbranch_execz .LBB226_50
.LBB226_66:                             ;   in Loop: Header=BB226_41 Depth=1
	ds_load_b32 v7, v2 offset:20512
	s_waitcnt lgkmcnt(0)
	v_add_nc_u32_e32 v6, v7, v6
	s_or_b32 exec_lo, exec_lo, s17
	s_and_saveexec_b32 s17, s9
	s_cbranch_execz .LBB226_51
.LBB226_67:                             ;   in Loop: Header=BB226_41 Depth=1
	ds_load_b32 v7, v2 offset:20516
	s_waitcnt lgkmcnt(0)
	v_add_nc_u32_e32 v6, v7, v6
	s_or_b32 exec_lo, exec_lo, s17
	s_and_saveexec_b32 s17, s10
	s_cbranch_execz .LBB226_52
.LBB226_68:                             ;   in Loop: Header=BB226_41 Depth=1
	ds_load_b32 v7, v2 offset:20520
	s_waitcnt lgkmcnt(0)
	v_add_nc_u32_e32 v6, v7, v6
	s_or_b32 exec_lo, exec_lo, s17
	s_and_saveexec_b32 s17, s11
	s_cbranch_execz .LBB226_53
.LBB226_69:                             ;   in Loop: Header=BB226_41 Depth=1
	ds_load_b32 v7, v2 offset:20524
	s_waitcnt lgkmcnt(0)
	v_add_nc_u32_e32 v6, v7, v6
	s_or_b32 exec_lo, exec_lo, s17
	s_and_saveexec_b32 s17, s12
	s_cbranch_execz .LBB226_54
.LBB226_70:                             ;   in Loop: Header=BB226_41 Depth=1
	ds_load_b32 v7, v2 offset:20528
	s_waitcnt lgkmcnt(0)
	v_add_nc_u32_e32 v6, v7, v6
	s_or_b32 exec_lo, exec_lo, s17
	s_and_saveexec_b32 s17, s13
	s_cbranch_execz .LBB226_55
.LBB226_71:                             ;   in Loop: Header=BB226_41 Depth=1
	ds_load_b32 v7, v2 offset:20532
	s_waitcnt lgkmcnt(0)
	v_add_nc_u32_e32 v6, v7, v6
	s_or_b32 exec_lo, exec_lo, s17
	s_and_saveexec_b32 s17, s14
	s_cbranch_execz .LBB226_56
.LBB226_72:                             ;   in Loop: Header=BB226_41 Depth=1
	ds_load_b32 v7, v2 offset:20536
	s_waitcnt lgkmcnt(0)
	v_add_nc_u32_e32 v6, v7, v6
	s_or_b32 exec_lo, exec_lo, s17
	s_and_saveexec_b32 s17, s15
	s_cbranch_execz .LBB226_57
.LBB226_73:                             ;   in Loop: Header=BB226_41 Depth=1
	scratch_load_b128 v[7:10], off, off
	v_add3_u32 v11, v4, -1, v6
	s_delay_alu instid0(VALU_DEP_1) | instskip(SKIP_1) | instid1(VALU_DEP_2)
	v_lshlrev_b32_e32 v12, 4, v11
	v_lshl_add_u32 v11, v11, 2, 0
	v_add3_u32 v12, 0, v12, 0x1000
	ds_store_b32 v11, v5
	s_waitcnt vmcnt(0)
	ds_store_2addr_b64 v12, v[7:8], v[9:10] offset1:1
	s_or_b32 exec_lo, exec_lo, s17
	s_and_saveexec_b32 s15, vcc_lo
	s_cbranch_execz .LBB226_40
.LBB226_74:                             ;   in Loop: Header=BB226_41 Depth=1
	ds_store_b32 v2, v6 offset:20540
	s_branch .LBB226_40
.LBB226_75:                             ;   in Loop: Header=BB226_76 Depth=1
	s_or_b32 exec_lo, exec_lo, s4
	v_add_co_u32 v5, vcc_lo, 0x200, v5
	v_add_co_ci_u32_e32 v6, vcc_lo, 0, v6, vcc_lo
	s_delay_alu instid0(VALU_DEP_1) | instskip(SKIP_1) | instid1(SALU_CYCLE_1)
	v_cmp_le_i64_e32 vcc_lo, s[0:1], v[5:6]
	s_or_b32 s3, vcc_lo, s3
	s_and_not1_b32 exec_lo, exec_lo, s3
	s_cbranch_execz .LBB226_38
.LBB226_76:                             ; =>This Loop Header: Depth=1
                                        ;     Child Loop BB226_78 Depth 2
                                        ;       Child Loop BB226_84 Depth 3
                                        ;       Child Loop BB226_86 Depth 3
	;; [unrolled: 1-line block ×4, first 2 shown]
	v_lshlrev_b64 v[7:8], 4, v[5:6]
	s_mov_b32 s4, 0
	s_delay_alu instid0(VALU_DEP_1) | instskip(NEXT) | instid1(VALU_DEP_2)
	v_add_co_u32 v7, vcc_lo, s20, v7
	v_add_co_ci_u32_e32 v8, vcc_lo, s21, v8, vcc_lo
	global_load_b128 v[9:12], v[7:8], off
	v_lshlrev_b64 v[7:8], 2, v[5:6]
	s_delay_alu instid0(VALU_DEP_1) | instskip(NEXT) | instid1(VALU_DEP_2)
	v_add_co_u32 v7, vcc_lo, s18, v7
	v_add_co_ci_u32_e32 v8, vcc_lo, s19, v8, vcc_lo
	global_load_b32 v13, v[7:8], off
	s_waitcnt vmcnt(1)
	v_mul_f64 v[7:8], v[11:12], -v[1:2]
	v_mul_f64 v[11:12], v[3:4], v[11:12]
	s_waitcnt vmcnt(0)
	v_subrev_nc_u32_e32 v13, s27, v13
	s_delay_alu instid0(VALU_DEP_3) | instskip(NEXT) | instid1(VALU_DEP_3)
	v_fma_f64 v[7:8], v[3:4], v[9:10], v[7:8]
	v_fma_f64 v[9:10], v[1:2], v[9:10], v[11:12]
	s_delay_alu instid0(VALU_DEP_3) | instskip(NEXT) | instid1(VALU_DEP_1)
	v_mul_lo_u32 v11, 0x89, v13
	v_and_b32_e32 v14, 0x3ff, v11
	s_branch .LBB226_78
.LBB226_77:                             ;   in Loop: Header=BB226_78 Depth=2
	s_or_b32 exec_lo, exec_lo, s5
	s_xor_b32 s5, s6, -1
	s_delay_alu instid0(SALU_CYCLE_1) | instskip(NEXT) | instid1(SALU_CYCLE_1)
	s_and_b32 s5, exec_lo, s5
	s_or_b32 s4, s5, s4
	s_delay_alu instid0(SALU_CYCLE_1)
	s_and_not1_b32 exec_lo, exec_lo, s4
	s_cbranch_execz .LBB226_75
.LBB226_78:                             ;   Parent Loop BB226_76 Depth=1
                                        ; =>  This Loop Header: Depth=2
                                        ;       Child Loop BB226_84 Depth 3
                                        ;       Child Loop BB226_86 Depth 3
	;; [unrolled: 1-line block ×4, first 2 shown]
	s_delay_alu instid0(VALU_DEP_1)
	v_lshl_add_u32 v11, v14, 2, 0
	s_mov_b32 s5, exec_lo
                                        ; implicit-def: $sgpr6
	ds_load_b32 v12, v11
	s_waitcnt lgkmcnt(0)
	v_cmpx_ne_u32_e64 v12, v13
	s_xor_b32 s5, exec_lo, s5
	s_cbranch_execz .LBB226_90
; %bb.79:                               ;   in Loop: Header=BB226_78 Depth=2
	s_mov_b32 s7, exec_lo
                                        ; implicit-def: $sgpr6
	v_cmpx_ne_u32_e64 s33, v12
	s_xor_b32 s7, exec_lo, s7
; %bb.80:                               ;   in Loop: Header=BB226_78 Depth=2
	v_add_nc_u32_e32 v11, 1, v14
	s_mov_b32 s6, -1
	s_delay_alu instid0(VALU_DEP_1)
	v_and_b32_e32 v14, 0x3ff, v11
                                        ; implicit-def: $vgpr11
; %bb.81:                               ;   in Loop: Header=BB226_78 Depth=2
	s_and_not1_saveexec_b32 s7, s7
	s_cbranch_execz .LBB226_89
; %bb.82:                               ;   in Loop: Header=BB226_78 Depth=2
	v_mov_b32_e32 v12, s33
	s_mov_b32 s9, -1
	s_mov_b32 s8, exec_lo
	ds_cmpstore_rtn_b32 v12, v11, v13, v12
	s_waitcnt lgkmcnt(0)
	v_cmpx_eq_u32_e64 s33, v12
	s_cbranch_execz .LBB226_88
; %bb.83:                               ;   in Loop: Header=BB226_78 Depth=2
	v_mul_lo_u32 v12, v14, 12
	s_mov_b32 s9, 0
	s_delay_alu instid0(VALU_DEP_1)
	v_add_nc_u32_e32 v15, v11, v12
	ds_load_b64 v[11:12], v15 offset:4096
.LBB226_84:                             ;   Parent Loop BB226_76 Depth=1
                                        ;     Parent Loop BB226_78 Depth=2
                                        ; =>    This Inner Loop Header: Depth=3
	s_waitcnt lgkmcnt(0)
	v_add_f64 v[16:17], v[11:12], v[7:8]
	ds_cmpstore_rtn_b64 v[16:17], v15, v[16:17], v[11:12] offset:4096
	s_waitcnt lgkmcnt(0)
	v_cmp_eq_u64_e32 vcc_lo, v[16:17], v[11:12]
	v_dual_mov_b32 v11, v16 :: v_dual_mov_b32 v12, v17
	s_or_b32 s9, vcc_lo, s9
	s_delay_alu instid0(SALU_CYCLE_1)
	s_and_not1_b32 exec_lo, exec_lo, s9
	s_cbranch_execnz .LBB226_84
; %bb.85:                               ;   in Loop: Header=BB226_78 Depth=2
	s_or_b32 exec_lo, exec_lo, s9
	ds_load_b64 v[11:12], v15 offset:4104
	s_mov_b32 s9, 0
.LBB226_86:                             ;   Parent Loop BB226_76 Depth=1
                                        ;     Parent Loop BB226_78 Depth=2
                                        ; =>    This Inner Loop Header: Depth=3
	s_waitcnt lgkmcnt(0)
	v_add_f64 v[16:17], v[11:12], v[9:10]
	ds_cmpstore_rtn_b64 v[16:17], v15, v[16:17], v[11:12] offset:4104
	s_waitcnt lgkmcnt(0)
	v_cmp_eq_u64_e32 vcc_lo, v[16:17], v[11:12]
	v_dual_mov_b32 v11, v16 :: v_dual_mov_b32 v12, v17
	s_or_b32 s9, vcc_lo, s9
	s_delay_alu instid0(SALU_CYCLE_1)
	s_and_not1_b32 exec_lo, exec_lo, s9
	s_cbranch_execnz .LBB226_86
; %bb.87:                               ;   in Loop: Header=BB226_78 Depth=2
	s_or_b32 exec_lo, exec_lo, s9
	s_delay_alu instid0(SALU_CYCLE_1)
	s_xor_b32 s9, exec_lo, -1
.LBB226_88:                             ;   in Loop: Header=BB226_78 Depth=2
	s_or_b32 exec_lo, exec_lo, s8
	s_delay_alu instid0(SALU_CYCLE_1) | instskip(SKIP_1) | instid1(SALU_CYCLE_1)
	s_and_not1_b32 s6, s6, exec_lo
	s_and_b32 s8, s9, exec_lo
	s_or_b32 s6, s6, s8
.LBB226_89:                             ;   in Loop: Header=BB226_78 Depth=2
	s_or_b32 exec_lo, exec_lo, s7
	s_delay_alu instid0(SALU_CYCLE_1)
	s_and_b32 s6, s6, exec_lo
                                        ; implicit-def: $vgpr11
.LBB226_90:                             ;   in Loop: Header=BB226_78 Depth=2
	s_and_not1_saveexec_b32 s5, s5
	s_cbranch_execz .LBB226_77
; %bb.91:                               ;   in Loop: Header=BB226_78 Depth=2
	v_mul_lo_u32 v12, v14, 12
	s_mov_b32 s7, 0
	s_delay_alu instid0(VALU_DEP_1)
	v_add_nc_u32_e32 v15, v11, v12
	ds_load_b64 v[11:12], v15 offset:4096
.LBB226_92:                             ;   Parent Loop BB226_76 Depth=1
                                        ;     Parent Loop BB226_78 Depth=2
                                        ; =>    This Inner Loop Header: Depth=3
	s_waitcnt lgkmcnt(0)
	v_add_f64 v[16:17], v[11:12], v[7:8]
	ds_cmpstore_rtn_b64 v[16:17], v15, v[16:17], v[11:12] offset:4096
	s_waitcnt lgkmcnt(0)
	v_cmp_eq_u64_e32 vcc_lo, v[16:17], v[11:12]
	v_dual_mov_b32 v11, v16 :: v_dual_mov_b32 v12, v17
	s_or_b32 s7, vcc_lo, s7
	s_delay_alu instid0(SALU_CYCLE_1)
	s_and_not1_b32 exec_lo, exec_lo, s7
	s_cbranch_execnz .LBB226_92
; %bb.93:                               ;   in Loop: Header=BB226_78 Depth=2
	s_or_b32 exec_lo, exec_lo, s7
	ds_load_b64 v[11:12], v15 offset:4104
	s_mov_b32 s7, 0
.LBB226_94:                             ;   Parent Loop BB226_76 Depth=1
                                        ;     Parent Loop BB226_78 Depth=2
                                        ; =>    This Inner Loop Header: Depth=3
	s_waitcnt lgkmcnt(0)
	v_add_f64 v[16:17], v[11:12], v[9:10]
	ds_cmpstore_rtn_b64 v[16:17], v15, v[16:17], v[11:12] offset:4104
	s_waitcnt lgkmcnt(0)
	v_cmp_eq_u64_e32 vcc_lo, v[16:17], v[11:12]
	v_dual_mov_b32 v11, v16 :: v_dual_mov_b32 v12, v17
	s_or_b32 s7, vcc_lo, s7
	s_delay_alu instid0(SALU_CYCLE_1)
	s_and_not1_b32 exec_lo, exec_lo, s7
	s_cbranch_execnz .LBB226_94
; %bb.95:                               ;   in Loop: Header=BB226_78 Depth=2
	s_or_b32 exec_lo, exec_lo, s7
	s_delay_alu instid0(SALU_CYCLE_1)
	s_and_not1_b32 s6, s6, exec_lo
	s_branch .LBB226_77
.LBB226_96:
	s_or_b32 exec_lo, exec_lo, s16
	s_ashr_i32 s37, s36, 31
	s_mov_b32 s4, exec_lo
	s_lshl_b64 s[0:1], s[36:37], 3
	s_delay_alu instid0(SALU_CYCLE_1) | instskip(SKIP_4) | instid1(SALU_CYCLE_1)
	s_add_u32 s0, s22, s0
	s_addc_u32 s1, s23, s1
	s_load_b128 s[0:3], s[0:1], 0x0
	s_waitcnt lgkmcnt(0)
	s_sub_i32 s3, s2, s0
	v_cmpx_gt_i32_e64 s3, v0
	s_cbranch_execz .LBB226_106
; %bb.97:
	s_sub_u32 s4, s0, s26
	s_subb_u32 s5, s1, 0
	s_sub_i32 s0, s0, s2
	s_and_b32 s1, s3, 7
	s_cmp_lt_u32 s0, -7
	s_mov_b32 s8, 0
	s_cselect_b32 s2, -1, 0
	s_and_b32 s6, s3, -8
	s_cmp_lg_u32 s1, 0
	s_cselect_b32 s7, -1, 0
	s_branch .LBB226_99
.LBB226_98:                             ;   in Loop: Header=BB226_99 Depth=1
	s_waitcnt lgkmcnt(0)
	v_mul_lo_u32 v4, v0, 12
	v_lshlrev_b64 v[1:2], 4, v[1:2]
	v_add_nc_u32_e32 v0, 0x200, v0
	s_delay_alu instid0(VALU_DEP_1) | instskip(NEXT) | instid1(VALU_DEP_4)
	v_cmp_le_i32_e32 vcc_lo, s3, v0
	v_add3_u32 v3, v3, v4, 0x1000
	s_delay_alu instid0(VALU_DEP_4) | instskip(NEXT) | instid1(VALU_DEP_1)
	v_add_co_u32 v1, s0, s34, v1
	v_add_co_ci_u32_e64 v2, s0, s35, v2, s0
	ds_load_2addr_b64 v[3:6], v3 offset1:1
	s_or_b32 s8, vcc_lo, s8
	s_waitcnt lgkmcnt(0)
	global_store_b128 v[1:2], v[3:6], off
	s_and_not1_b32 exec_lo, exec_lo, s8
	s_cbranch_execz .LBB226_106
.LBB226_99:                             ; =>This Loop Header: Depth=1
                                        ;     Child Loop BB226_101 Depth 2
                                        ;     Child Loop BB226_105 Depth 2
	v_lshl_add_u32 v3, v0, 2, 0
	v_dual_mov_b32 v1, s4 :: v_dual_mov_b32 v2, s5
	s_and_not1_b32 vcc_lo, exec_lo, s2
	s_mov_b32 s0, 0
	ds_load_b32 v4, v3
	s_cbranch_vccnz .LBB226_103
; %bb.100:                              ;   in Loop: Header=BB226_99 Depth=1
	v_dual_mov_b32 v1, s4 :: v_dual_mov_b32 v2, s5
	s_mov_b32 s9, 0
	s_mov_b32 s10, 0
.LBB226_101:                            ;   Parent Loop BB226_99 Depth=1
                                        ; =>  This Inner Loop Header: Depth=2
	s_delay_alu instid0(SALU_CYCLE_1)
	v_mov_b32_e32 v11, s10
	s_add_i32 s9, s9, 8
	s_add_i32 s10, s10, 32
	s_cmp_eq_u32 s6, s9
	ds_load_2addr_b32 v[5:6], v11 offset1:1
	ds_load_2addr_b32 v[7:8], v11 offset0:2 offset1:3
	ds_load_2addr_b32 v[9:10], v11 offset0:4 offset1:5
	;; [unrolled: 1-line block ×3, first 2 shown]
	s_waitcnt lgkmcnt(3)
	v_cmp_gt_i32_e32 vcc_lo, v4, v5
	v_cndmask_b32_e64 v5, 0, 1, vcc_lo
	v_cmp_gt_i32_e32 vcc_lo, v4, v6
	v_cndmask_b32_e64 v6, 0, 1, vcc_lo
	s_waitcnt lgkmcnt(2)
	v_cmp_gt_i32_e32 vcc_lo, v4, v7
	v_cndmask_b32_e64 v7, 0, 1, vcc_lo
	v_cmp_gt_i32_e32 vcc_lo, v4, v8
	v_cndmask_b32_e64 v8, 0, 1, vcc_lo
	s_waitcnt lgkmcnt(1)
	v_cmp_gt_i32_e32 vcc_lo, v4, v9
	v_cndmask_b32_e64 v9, 0, 1, vcc_lo
	v_add_co_u32 v1, vcc_lo, v1, v5
	v_add_co_ci_u32_e32 v2, vcc_lo, 0, v2, vcc_lo
	v_cmp_gt_i32_e32 vcc_lo, v4, v10
	s_delay_alu instid0(VALU_DEP_3) | instskip(NEXT) | instid1(VALU_DEP_1)
	v_add_co_u32 v1, s0, v1, v6
	v_add_co_ci_u32_e64 v2, s0, 0, v2, s0
	v_cndmask_b32_e64 v5, 0, 1, vcc_lo
	s_delay_alu instid0(VALU_DEP_3) | instskip(NEXT) | instid1(VALU_DEP_3)
	v_add_co_u32 v1, vcc_lo, v1, v7
	v_add_co_ci_u32_e32 v2, vcc_lo, 0, v2, vcc_lo
	s_waitcnt lgkmcnt(0)
	v_cmp_gt_i32_e32 vcc_lo, v4, v11
	s_delay_alu instid0(VALU_DEP_3) | instskip(NEXT) | instid1(VALU_DEP_1)
	v_add_co_u32 v1, s0, v1, v8
	v_add_co_ci_u32_e64 v2, s0, 0, v2, s0
	v_cndmask_b32_e64 v6, 0, 1, vcc_lo
	s_delay_alu instid0(VALU_DEP_3) | instskip(NEXT) | instid1(VALU_DEP_3)
	v_add_co_u32 v1, vcc_lo, v1, v9
	v_add_co_ci_u32_e32 v2, vcc_lo, 0, v2, vcc_lo
	v_cmp_gt_i32_e32 vcc_lo, v4, v12
	s_delay_alu instid0(VALU_DEP_3) | instskip(NEXT) | instid1(VALU_DEP_1)
	v_add_co_u32 v1, s0, v1, v5
	v_add_co_ci_u32_e64 v2, s0, 0, v2, s0
	v_cndmask_b32_e64 v5, 0, 1, vcc_lo
	s_delay_alu instid0(VALU_DEP_3) | instskip(NEXT) | instid1(VALU_DEP_3)
	v_add_co_u32 v1, vcc_lo, v1, v6
	v_add_co_ci_u32_e32 v2, vcc_lo, 0, v2, vcc_lo
	s_delay_alu instid0(VALU_DEP_2) | instskip(NEXT) | instid1(VALU_DEP_2)
	v_add_co_u32 v1, vcc_lo, v1, v5
	v_add_co_ci_u32_e32 v2, vcc_lo, 0, v2, vcc_lo
	s_cbranch_scc0 .LBB226_101
; %bb.102:                              ;   in Loop: Header=BB226_99 Depth=1
	s_mov_b32 s0, s6
.LBB226_103:                            ;   in Loop: Header=BB226_99 Depth=1
	s_and_not1_b32 vcc_lo, exec_lo, s7
	s_cbranch_vccnz .LBB226_98
; %bb.104:                              ;   in Loop: Header=BB226_99 Depth=1
	s_lshl_b32 s0, s0, 2
	s_mov_b32 s9, s1
	s_add_i32 s0, s0, 0
.LBB226_105:                            ;   Parent Loop BB226_99 Depth=1
                                        ; =>  This Inner Loop Header: Depth=2
	s_delay_alu instid0(SALU_CYCLE_1)
	v_mov_b32_e32 v5, s0
	s_add_i32 s9, s9, -1
	s_add_i32 s0, s0, 4
	s_cmp_lg_u32 s9, 0
	ds_load_b32 v5, v5
	s_waitcnt lgkmcnt(0)
	v_cmp_gt_i32_e32 vcc_lo, v4, v5
	v_cndmask_b32_e64 v5, 0, 1, vcc_lo
	s_delay_alu instid0(VALU_DEP_1)
	v_add_co_u32 v1, vcc_lo, v1, v5
	v_add_co_ci_u32_e32 v2, vcc_lo, 0, v2, vcc_lo
	s_cbranch_scc1 .LBB226_105
	s_branch .LBB226_98
.LBB226_106:
	s_nop 0
	s_sendmsg sendmsg(MSG_DEALLOC_VGPRS)
	s_endpgm
	.section	.rodata,"a",@progbits
	.p2align	6, 0x0
	.amdhsa_kernel _ZN9rocsparseL41csrgemm_numeric_fill_block_per_row_kernelILj512ELj32ELj1024ELj137ELj32Eli21rocsparse_complex_numIdEEEvT5_PKS3_S5_NS_24const_host_device_scalarIT6_EEPKT4_S5_PKS7_SB_S5_SD_S8_SB_S5_SD_SB_S5_PS7_21rocsparse_index_base_SF_SF_SF_bbb
		.amdhsa_group_segment_fixed_size 0
		.amdhsa_private_segment_fixed_size 40
		.amdhsa_kernarg_size 172
		.amdhsa_user_sgpr_count 15
		.amdhsa_user_sgpr_dispatch_ptr 0
		.amdhsa_user_sgpr_queue_ptr 0
		.amdhsa_user_sgpr_kernarg_segment_ptr 1
		.amdhsa_user_sgpr_dispatch_id 0
		.amdhsa_user_sgpr_private_segment_size 0
		.amdhsa_wavefront_size32 1
		.amdhsa_uses_dynamic_stack 0
		.amdhsa_enable_private_segment 1
		.amdhsa_system_sgpr_workgroup_id_x 1
		.amdhsa_system_sgpr_workgroup_id_y 0
		.amdhsa_system_sgpr_workgroup_id_z 0
		.amdhsa_system_sgpr_workgroup_info 0
		.amdhsa_system_vgpr_workitem_id 0
		.amdhsa_next_free_vgpr 36
		.amdhsa_next_free_sgpr 46
		.amdhsa_reserve_vcc 1
		.amdhsa_float_round_mode_32 0
		.amdhsa_float_round_mode_16_64 0
		.amdhsa_float_denorm_mode_32 3
		.amdhsa_float_denorm_mode_16_64 3
		.amdhsa_dx10_clamp 1
		.amdhsa_ieee_mode 1
		.amdhsa_fp16_overflow 0
		.amdhsa_workgroup_processor_mode 1
		.amdhsa_memory_ordered 1
		.amdhsa_forward_progress 0
		.amdhsa_shared_vgpr_count 0
		.amdhsa_exception_fp_ieee_invalid_op 0
		.amdhsa_exception_fp_denorm_src 0
		.amdhsa_exception_fp_ieee_div_zero 0
		.amdhsa_exception_fp_ieee_overflow 0
		.amdhsa_exception_fp_ieee_underflow 0
		.amdhsa_exception_fp_ieee_inexact 0
		.amdhsa_exception_int_div_zero 0
	.end_amdhsa_kernel
	.section	.text._ZN9rocsparseL41csrgemm_numeric_fill_block_per_row_kernelILj512ELj32ELj1024ELj137ELj32Eli21rocsparse_complex_numIdEEEvT5_PKS3_S5_NS_24const_host_device_scalarIT6_EEPKT4_S5_PKS7_SB_S5_SD_S8_SB_S5_SD_SB_S5_PS7_21rocsparse_index_base_SF_SF_SF_bbb,"axG",@progbits,_ZN9rocsparseL41csrgemm_numeric_fill_block_per_row_kernelILj512ELj32ELj1024ELj137ELj32Eli21rocsparse_complex_numIdEEEvT5_PKS3_S5_NS_24const_host_device_scalarIT6_EEPKT4_S5_PKS7_SB_S5_SD_S8_SB_S5_SD_SB_S5_PS7_21rocsparse_index_base_SF_SF_SF_bbb,comdat
.Lfunc_end226:
	.size	_ZN9rocsparseL41csrgemm_numeric_fill_block_per_row_kernelILj512ELj32ELj1024ELj137ELj32Eli21rocsparse_complex_numIdEEEvT5_PKS3_S5_NS_24const_host_device_scalarIT6_EEPKT4_S5_PKS7_SB_S5_SD_S8_SB_S5_SD_SB_S5_PS7_21rocsparse_index_base_SF_SF_SF_bbb, .Lfunc_end226-_ZN9rocsparseL41csrgemm_numeric_fill_block_per_row_kernelILj512ELj32ELj1024ELj137ELj32Eli21rocsparse_complex_numIdEEEvT5_PKS3_S5_NS_24const_host_device_scalarIT6_EEPKT4_S5_PKS7_SB_S5_SD_S8_SB_S5_SD_SB_S5_PS7_21rocsparse_index_base_SF_SF_SF_bbb
                                        ; -- End function
	.section	.AMDGPU.csdata,"",@progbits
; Kernel info:
; codeLenInByte = 4308
; NumSgprs: 48
; NumVgprs: 36
; ScratchSize: 40
; MemoryBound: 0
; FloatMode: 240
; IeeeMode: 1
; LDSByteSize: 0 bytes/workgroup (compile time only)
; SGPRBlocks: 5
; VGPRBlocks: 4
; NumSGPRsForWavesPerEU: 48
; NumVGPRsForWavesPerEU: 36
; Occupancy: 16
; WaveLimiterHint : 1
; COMPUTE_PGM_RSRC2:SCRATCH_EN: 1
; COMPUTE_PGM_RSRC2:USER_SGPR: 15
; COMPUTE_PGM_RSRC2:TRAP_HANDLER: 0
; COMPUTE_PGM_RSRC2:TGID_X_EN: 1
; COMPUTE_PGM_RSRC2:TGID_Y_EN: 0
; COMPUTE_PGM_RSRC2:TGID_Z_EN: 0
; COMPUTE_PGM_RSRC2:TIDIG_COMP_CNT: 0
	.section	.text._ZN9rocsparseL41csrgemm_numeric_fill_block_per_row_kernelILj512ELj32ELj1024ELj137ELj64Eli21rocsparse_complex_numIdEEEvT5_PKS3_S5_NS_24const_host_device_scalarIT6_EEPKT4_S5_PKS7_SB_S5_SD_S8_SB_S5_SD_SB_S5_PS7_21rocsparse_index_base_SF_SF_SF_bbb,"axG",@progbits,_ZN9rocsparseL41csrgemm_numeric_fill_block_per_row_kernelILj512ELj32ELj1024ELj137ELj64Eli21rocsparse_complex_numIdEEEvT5_PKS3_S5_NS_24const_host_device_scalarIT6_EEPKT4_S5_PKS7_SB_S5_SD_S8_SB_S5_SD_SB_S5_PS7_21rocsparse_index_base_SF_SF_SF_bbb,comdat
	.globl	_ZN9rocsparseL41csrgemm_numeric_fill_block_per_row_kernelILj512ELj32ELj1024ELj137ELj64Eli21rocsparse_complex_numIdEEEvT5_PKS3_S5_NS_24const_host_device_scalarIT6_EEPKT4_S5_PKS7_SB_S5_SD_S8_SB_S5_SD_SB_S5_PS7_21rocsparse_index_base_SF_SF_SF_bbb ; -- Begin function _ZN9rocsparseL41csrgemm_numeric_fill_block_per_row_kernelILj512ELj32ELj1024ELj137ELj64Eli21rocsparse_complex_numIdEEEvT5_PKS3_S5_NS_24const_host_device_scalarIT6_EEPKT4_S5_PKS7_SB_S5_SD_S8_SB_S5_SD_SB_S5_PS7_21rocsparse_index_base_SF_SF_SF_bbb
	.p2align	8
	.type	_ZN9rocsparseL41csrgemm_numeric_fill_block_per_row_kernelILj512ELj32ELj1024ELj137ELj64Eli21rocsparse_complex_numIdEEEvT5_PKS3_S5_NS_24const_host_device_scalarIT6_EEPKT4_S5_PKS7_SB_S5_SD_S8_SB_S5_SD_SB_S5_PS7_21rocsparse_index_base_SF_SF_SF_bbb,@function
_ZN9rocsparseL41csrgemm_numeric_fill_block_per_row_kernelILj512ELj32ELj1024ELj137ELj64Eli21rocsparse_complex_numIdEEEvT5_PKS3_S5_NS_24const_host_device_scalarIT6_EEPKT4_S5_PKS7_SB_S5_SD_S8_SB_S5_SD_SB_S5_PS7_21rocsparse_index_base_SF_SF_SF_bbb: ; @_ZN9rocsparseL41csrgemm_numeric_fill_block_per_row_kernelILj512ELj32ELj1024ELj137ELj64Eli21rocsparse_complex_numIdEEEvT5_PKS3_S5_NS_24const_host_device_scalarIT6_EEPKT4_S5_PKS7_SB_S5_SD_S8_SB_S5_SD_SB_S5_PS7_21rocsparse_index_base_SF_SF_SF_bbb
; %bb.0:
	s_clause 0x3
	s_load_b32 s33, s[0:1], 0xa8
	s_load_b128 s[4:7], s[0:1], 0x18
	s_load_b128 s[36:39], s[0:1], 0x58
	;; [unrolled: 1-line block ×3, first 2 shown]
	v_mov_b32_e32 v1, 0
	v_mov_b32_e32 v2, 0
	s_waitcnt lgkmcnt(0)
	s_bitcmp1_b32 s33, 0
	v_mov_b32_e32 v3, s4
	s_cselect_b32 s34, -1, 0
	s_bitcmp1_b32 s33, 16
	v_dual_mov_b32 v6, v2 :: v_dual_mov_b32 v5, v1
	s_cselect_b32 s2, -1, 0
	v_mov_b32_e32 v4, s5
	s_xor_b32 s14, s2, -1
	v_dual_mov_b32 v9, s36 :: v_dual_mov_b32 v10, s37
	v_cndmask_b32_e64 v7, 0, 1, s14
	s_bitcmp0_b32 s33, 0
	s_clause 0x1
	scratch_store_b64 off, v[3:4], off offset:16
	scratch_store_b64 off, v[9:10], off offset:24
	v_cmp_ne_u32_e32 vcc_lo, 1, v7
	v_dual_mov_b32 v8, v2 :: v_dual_mov_b32 v7, v1
	s_cbranch_scc1 .LBB227_3
; %bb.1:
	s_mov_b64 s[8:9], src_private_base
	s_and_b32 s3, s2, exec_lo
	s_cselect_b32 s3, s9, s5
	s_delay_alu instid0(SALU_CYCLE_1) | instskip(SKIP_2) | instid1(VALU_DEP_2)
	v_dual_mov_b32 v3, 16 :: v_dual_mov_b32 v4, s3
	v_dual_mov_b32 v8, s7 :: v_dual_mov_b32 v7, s6
	s_and_b32 vcc_lo, exec_lo, vcc_lo
	v_cndmask_b32_e64 v3, s4, v3, s2
	flat_load_b64 v[5:6], v[3:4]
	s_cbranch_vccnz .LBB227_3
; %bb.2:
	v_dual_mov_b32 v3, s4 :: v_dual_mov_b32 v4, s5
	flat_load_b64 v[7:8], v[3:4] offset:8
.LBB227_3:
	s_clause 0x4
	s_load_b64 s[12:13], s[0:1], 0x90
	s_load_b256 s[4:11], s[0:1], 0x68
	s_load_b128 s[28:31], s[0:1], 0x48
	s_load_b128 s[40:43], s[0:1], 0x8
	s_load_b256 s[16:23], s[0:1], 0x28
	s_bitcmp1_b32 s33, 8
	v_dual_mov_b32 v4, v2 :: v_dual_mov_b32 v3, v1
	s_cselect_b32 s3, -1, 0
	s_bfe_u32 s33, s33, 0x10008
	s_delay_alu instid0(SALU_CYCLE_1)
	s_cmp_eq_u32 s33, 0
	s_cbranch_scc1 .LBB227_6
; %bb.4:
	s_mov_b64 s[44:45], src_private_base
	s_and_b32 s33, s2, exec_lo
	s_cselect_b32 s33, s45, s37
	s_delay_alu instid0(SALU_CYCLE_1) | instskip(SKIP_1) | instid1(VALU_DEP_1)
	v_dual_mov_b32 v1, 24 :: v_dual_mov_b32 v2, s33
	s_and_not1_b32 vcc_lo, exec_lo, s14
	v_cndmask_b32_e64 v1, s36, v1, s2
	flat_load_b64 v[3:4], v[1:2]
	v_dual_mov_b32 v1, s38 :: v_dual_mov_b32 v2, s39
	s_cbranch_vccnz .LBB227_6
; %bb.5:
	v_dual_mov_b32 v1, s36 :: v_dual_mov_b32 v2, s37
	flat_load_b64 v[1:2], v[1:2] offset:8
.LBB227_6:
	s_load_b32 s33, s[0:1], 0x0
	s_mov_b32 s0, 0
	v_or_b32_e32 v25, 0xfffffe00, v0
	s_mov_b32 s1, s0
	s_delay_alu instid0(SALU_CYCLE_1) | instskip(SKIP_3) | instid1(VALU_DEP_2)
	v_dual_mov_b32 v10, s1 :: v_dual_lshlrev_b32 v11, 4, v0
	v_lshl_add_u32 v26, v0, 2, 0
	s_mov_b32 s36, s0
	s_mov_b32 s37, s0
	v_add3_u32 v27, v11, 0, 0x1000
	v_dual_mov_b32 v11, s36 :: v_dual_mov_b32 v14, v25
	v_dual_mov_b32 v9, s0 :: v_dual_mov_b32 v12, s37
	s_delay_alu instid0(VALU_DEP_3)
	v_dual_mov_b32 v13, v26 :: v_dual_mov_b32 v16, v27
	s_waitcnt lgkmcnt(0)
	v_mov_b32_e32 v15, s33
.LBB227_7:                              ; =>This Inner Loop Header: Depth=1
	v_add_co_u32 v14, s1, 0x200, v14
	s_delay_alu instid0(VALU_DEP_1)
	s_xor_b32 s1, s1, -1
	ds_store_b32 v13, v15
	ds_store_2addr_b64 v16, v[9:10], v[11:12] offset1:1
	v_add_nc_u32_e32 v16, 0x2000, v16
	v_add_nc_u32_e32 v13, 0x800, v13
	s_and_b32 s1, exec_lo, s1
	s_delay_alu instid0(SALU_CYCLE_1) | instskip(NEXT) | instid1(SALU_CYCLE_1)
	s_or_b32 s0, s1, s0
	s_and_not1_b32 exec_lo, exec_lo, s0
	s_cbranch_execnz .LBB227_7
; %bb.8:
	s_or_b32 exec_lo, exec_lo, s0
	s_waitcnt vmcnt(0) lgkmcnt(0)
	s_waitcnt_vscnt null, 0x0
	s_barrier
	buffer_gl0_inv
	s_load_b32 s0, s[40:41], 0x0
	s_mov_b32 s1, 0
	s_waitcnt lgkmcnt(0)
	s_add_i32 s0, s0, s15
	s_delay_alu instid0(SALU_CYCLE_1) | instskip(NEXT) | instid1(SALU_CYCLE_1)
	s_lshl_b64 s[0:1], s[0:1], 2
	s_add_u32 s0, s42, s0
	s_addc_u32 s1, s43, s1
	s_and_b32 vcc_lo, exec_lo, s34
	s_load_b32 s14, s[0:1], 0x0
	s_cbranch_vccz .LBB227_36
; %bb.9:
	s_waitcnt lgkmcnt(0)
	s_ashr_i32 s15, s14, 31
	v_lshrrev_b32_e32 v9, 5, v0
	s_lshl_b64 s[0:1], s[14:15], 3
	s_mov_b32 s2, exec_lo
	s_add_u32 s0, s16, s0
	s_addc_u32 s1, s17, s1
	s_load_b128 s[36:39], s[0:1], 0x0
	v_sub_co_u32 v9, s0, v9, s24
	s_delay_alu instid0(VALU_DEP_1) | instskip(SKIP_1) | instid1(VALU_DEP_2)
	v_sub_co_ci_u32_e64 v10, null, 0, 0, s0
	s_waitcnt lgkmcnt(0)
	v_add_co_u32 v9, vcc_lo, s36, v9
	s_delay_alu instid0(VALU_DEP_2)
	v_add_co_ci_u32_e32 v10, vcc_lo, s37, v10, vcc_lo
	s_sub_u32 s0, s38, s24
	s_subb_u32 s1, s39, 0
	s_delay_alu instid0(VALU_DEP_1) | instid1(SALU_CYCLE_1)
	v_cmpx_gt_i64_e64 s[0:1], v[9:10]
	s_cbranch_execz .LBB227_35
; %bb.10:
	v_and_b32_e32 v11, 31, v0
	s_mov_b32 s16, s25
	s_delay_alu instid0(VALU_DEP_1) | instskip(NEXT) | instid1(VALU_DEP_1)
	v_sub_co_u32 v28, s15, v11, s25
	v_sub_co_ci_u32_e64 v29, null, 0, 0, s15
	s_mov_b32 s15, 0
	s_branch .LBB227_12
.LBB227_11:                             ;   in Loop: Header=BB227_12 Depth=1
	s_or_b32 exec_lo, exec_lo, s17
	v_add_co_u32 v9, vcc_lo, v9, 16
	v_add_co_ci_u32_e32 v10, vcc_lo, 0, v10, vcc_lo
	s_delay_alu instid0(VALU_DEP_1) | instskip(SKIP_1) | instid1(SALU_CYCLE_1)
	v_cmp_le_i64_e32 vcc_lo, s[0:1], v[9:10]
	s_or_b32 s15, vcc_lo, s15
	s_and_not1_b32 exec_lo, exec_lo, s15
	s_cbranch_execz .LBB227_35
.LBB227_12:                             ; =>This Loop Header: Depth=1
                                        ;     Child Loop BB227_15 Depth 2
                                        ;       Child Loop BB227_17 Depth 3
                                        ;         Child Loop BB227_23 Depth 4
                                        ;         Child Loop BB227_25 Depth 4
	;; [unrolled: 1-line block ×4, first 2 shown]
	v_lshlrev_b64 v[11:12], 2, v[9:10]
	s_mov_b32 s17, exec_lo
	s_delay_alu instid0(VALU_DEP_1) | instskip(NEXT) | instid1(VALU_DEP_2)
	v_add_co_u32 v11, vcc_lo, s18, v11
	v_add_co_ci_u32_e32 v12, vcc_lo, s19, v12, vcc_lo
	global_load_b32 v11, v[11:12], off
	s_waitcnt vmcnt(0)
	v_subrev_nc_u32_e32 v11, s24, v11
	s_delay_alu instid0(VALU_DEP_1) | instskip(NEXT) | instid1(VALU_DEP_1)
	v_ashrrev_i32_e32 v12, 31, v11
	v_lshlrev_b64 v[11:12], 3, v[11:12]
	s_delay_alu instid0(VALU_DEP_1) | instskip(NEXT) | instid1(VALU_DEP_2)
	v_add_co_u32 v11, vcc_lo, s22, v11
	v_add_co_ci_u32_e32 v12, vcc_lo, s23, v12, vcc_lo
	global_load_b128 v[13:16], v[11:12], off
	s_waitcnt vmcnt(0)
	v_sub_co_u32 v11, vcc_lo, v15, s16
	v_subrev_co_ci_u32_e32 v12, vcc_lo, 0, v16, vcc_lo
	v_add_co_u32 v13, vcc_lo, v13, v28
	v_add_co_ci_u32_e32 v14, vcc_lo, v14, v29, vcc_lo
	s_delay_alu instid0(VALU_DEP_1)
	v_cmpx_lt_i64_e64 v[13:14], v[11:12]
	s_cbranch_execz .LBB227_11
; %bb.13:                               ;   in Loop: Header=BB227_12 Depth=1
	v_lshlrev_b64 v[15:16], 4, v[9:10]
	s_mov_b32 s34, 0
	s_delay_alu instid0(VALU_DEP_1) | instskip(NEXT) | instid1(VALU_DEP_2)
	v_add_co_u32 v15, vcc_lo, s20, v15
	v_add_co_ci_u32_e32 v16, vcc_lo, s21, v16, vcc_lo
	global_load_b128 v[17:20], v[15:16], off
	s_waitcnt vmcnt(0)
	v_mul_f64 v[15:16], v[19:20], -v[7:8]
	v_mul_f64 v[19:20], v[5:6], v[19:20]
	s_delay_alu instid0(VALU_DEP_2) | instskip(NEXT) | instid1(VALU_DEP_2)
	v_fma_f64 v[15:16], v[5:6], v[17:18], v[15:16]
	v_fma_f64 v[17:18], v[7:8], v[17:18], v[19:20]
	s_branch .LBB227_15
.LBB227_14:                             ;   in Loop: Header=BB227_15 Depth=2
	s_or_b32 exec_lo, exec_lo, s35
	v_add_co_u32 v13, vcc_lo, v13, 32
	v_add_co_ci_u32_e32 v14, vcc_lo, 0, v14, vcc_lo
	s_delay_alu instid0(VALU_DEP_1) | instskip(SKIP_1) | instid1(SALU_CYCLE_1)
	v_cmp_ge_i64_e32 vcc_lo, v[13:14], v[11:12]
	s_or_b32 s34, vcc_lo, s34
	s_and_not1_b32 exec_lo, exec_lo, s34
	s_cbranch_execz .LBB227_11
.LBB227_15:                             ;   Parent Loop BB227_12 Depth=1
                                        ; =>  This Loop Header: Depth=2
                                        ;       Child Loop BB227_17 Depth 3
                                        ;         Child Loop BB227_23 Depth 4
                                        ;         Child Loop BB227_25 Depth 4
	;; [unrolled: 1-line block ×4, first 2 shown]
	v_lshlrev_b64 v[19:20], 4, v[13:14]
	s_mov_b32 s35, 0
	s_delay_alu instid0(VALU_DEP_1) | instskip(NEXT) | instid1(VALU_DEP_2)
	v_add_co_u32 v19, vcc_lo, s30, v19
	v_add_co_ci_u32_e32 v20, vcc_lo, s31, v20, vcc_lo
	global_load_b128 v[21:24], v[19:20], off
	v_lshlrev_b64 v[19:20], 2, v[13:14]
	s_delay_alu instid0(VALU_DEP_1) | instskip(NEXT) | instid1(VALU_DEP_2)
	v_add_co_u32 v19, vcc_lo, s28, v19
	v_add_co_ci_u32_e32 v20, vcc_lo, s29, v20, vcc_lo
	global_load_b32 v30, v[19:20], off
	s_waitcnt vmcnt(1)
	v_mul_f64 v[19:20], v[23:24], -v[17:18]
	v_mul_f64 v[23:24], v[15:16], v[23:24]
	s_waitcnt vmcnt(0)
	v_subrev_nc_u32_e32 v30, s25, v30
	s_delay_alu instid0(VALU_DEP_3) | instskip(NEXT) | instid1(VALU_DEP_3)
	v_fma_f64 v[19:20], v[15:16], v[21:22], v[19:20]
	v_fma_f64 v[21:22], v[17:18], v[21:22], v[23:24]
	s_delay_alu instid0(VALU_DEP_3) | instskip(NEXT) | instid1(VALU_DEP_1)
	v_mul_lo_u32 v23, 0x89, v30
	v_and_b32_e32 v31, 0x3ff, v23
	s_branch .LBB227_17
.LBB227_16:                             ;   in Loop: Header=BB227_17 Depth=3
	s_or_b32 exec_lo, exec_lo, s36
	s_xor_b32 s36, s37, -1
	s_delay_alu instid0(SALU_CYCLE_1) | instskip(NEXT) | instid1(SALU_CYCLE_1)
	s_and_b32 s36, exec_lo, s36
	s_or_b32 s35, s36, s35
	s_delay_alu instid0(SALU_CYCLE_1)
	s_and_not1_b32 exec_lo, exec_lo, s35
	s_cbranch_execz .LBB227_14
.LBB227_17:                             ;   Parent Loop BB227_12 Depth=1
                                        ;     Parent Loop BB227_15 Depth=2
                                        ; =>    This Loop Header: Depth=3
                                        ;         Child Loop BB227_23 Depth 4
                                        ;         Child Loop BB227_25 Depth 4
	;; [unrolled: 1-line block ×4, first 2 shown]
	s_delay_alu instid0(VALU_DEP_1)
	v_lshl_add_u32 v23, v31, 2, 0
	s_mov_b32 s36, exec_lo
                                        ; implicit-def: $sgpr37
	ds_load_b32 v24, v23
	s_waitcnt lgkmcnt(0)
	v_cmpx_ne_u32_e64 v24, v30
	s_xor_b32 s36, exec_lo, s36
	s_cbranch_execz .LBB227_29
; %bb.18:                               ;   in Loop: Header=BB227_17 Depth=3
	s_mov_b32 s38, exec_lo
                                        ; implicit-def: $sgpr37
	v_cmpx_ne_u32_e64 s33, v24
	s_xor_b32 s38, exec_lo, s38
; %bb.19:                               ;   in Loop: Header=BB227_17 Depth=3
	v_add_nc_u32_e32 v23, 1, v31
	s_mov_b32 s37, -1
	s_delay_alu instid0(VALU_DEP_1)
	v_and_b32_e32 v31, 0x3ff, v23
                                        ; implicit-def: $vgpr23
; %bb.20:                               ;   in Loop: Header=BB227_17 Depth=3
	s_and_not1_saveexec_b32 s38, s38
	s_cbranch_execz .LBB227_28
; %bb.21:                               ;   in Loop: Header=BB227_17 Depth=3
	v_mov_b32_e32 v24, s33
	s_mov_b32 s40, -1
	s_mov_b32 s39, exec_lo
	ds_cmpstore_rtn_b32 v24, v23, v30, v24
	s_waitcnt lgkmcnt(0)
	v_cmpx_eq_u32_e64 s33, v24
	s_cbranch_execz .LBB227_27
; %bb.22:                               ;   in Loop: Header=BB227_17 Depth=3
	v_mul_lo_u32 v24, v31, 12
	s_mov_b32 s40, 0
	s_delay_alu instid0(VALU_DEP_1)
	v_add_nc_u32_e32 v32, v23, v24
	ds_load_b64 v[23:24], v32 offset:4096
.LBB227_23:                             ;   Parent Loop BB227_12 Depth=1
                                        ;     Parent Loop BB227_15 Depth=2
                                        ;       Parent Loop BB227_17 Depth=3
                                        ; =>      This Inner Loop Header: Depth=4
	s_waitcnt lgkmcnt(0)
	v_add_f64 v[33:34], v[23:24], v[19:20]
	ds_cmpstore_rtn_b64 v[33:34], v32, v[33:34], v[23:24] offset:4096
	s_waitcnt lgkmcnt(0)
	v_cmp_eq_u64_e32 vcc_lo, v[33:34], v[23:24]
	v_dual_mov_b32 v23, v33 :: v_dual_mov_b32 v24, v34
	s_or_b32 s40, vcc_lo, s40
	s_delay_alu instid0(SALU_CYCLE_1)
	s_and_not1_b32 exec_lo, exec_lo, s40
	s_cbranch_execnz .LBB227_23
; %bb.24:                               ;   in Loop: Header=BB227_17 Depth=3
	s_or_b32 exec_lo, exec_lo, s40
	ds_load_b64 v[23:24], v32 offset:4104
	s_mov_b32 s40, 0
.LBB227_25:                             ;   Parent Loop BB227_12 Depth=1
                                        ;     Parent Loop BB227_15 Depth=2
                                        ;       Parent Loop BB227_17 Depth=3
                                        ; =>      This Inner Loop Header: Depth=4
	s_waitcnt lgkmcnt(0)
	v_add_f64 v[33:34], v[23:24], v[21:22]
	ds_cmpstore_rtn_b64 v[33:34], v32, v[33:34], v[23:24] offset:4104
	s_waitcnt lgkmcnt(0)
	v_cmp_eq_u64_e32 vcc_lo, v[33:34], v[23:24]
	v_dual_mov_b32 v23, v33 :: v_dual_mov_b32 v24, v34
	s_or_b32 s40, vcc_lo, s40
	s_delay_alu instid0(SALU_CYCLE_1)
	s_and_not1_b32 exec_lo, exec_lo, s40
	s_cbranch_execnz .LBB227_25
; %bb.26:                               ;   in Loop: Header=BB227_17 Depth=3
	s_or_b32 exec_lo, exec_lo, s40
	s_delay_alu instid0(SALU_CYCLE_1)
	s_xor_b32 s40, exec_lo, -1
.LBB227_27:                             ;   in Loop: Header=BB227_17 Depth=3
	s_or_b32 exec_lo, exec_lo, s39
	s_delay_alu instid0(SALU_CYCLE_1) | instskip(SKIP_1) | instid1(SALU_CYCLE_1)
	s_and_not1_b32 s37, s37, exec_lo
	s_and_b32 s39, s40, exec_lo
	s_or_b32 s37, s37, s39
.LBB227_28:                             ;   in Loop: Header=BB227_17 Depth=3
	s_or_b32 exec_lo, exec_lo, s38
	s_delay_alu instid0(SALU_CYCLE_1)
	s_and_b32 s37, s37, exec_lo
                                        ; implicit-def: $vgpr23
.LBB227_29:                             ;   in Loop: Header=BB227_17 Depth=3
	s_and_not1_saveexec_b32 s36, s36
	s_cbranch_execz .LBB227_16
; %bb.30:                               ;   in Loop: Header=BB227_17 Depth=3
	v_mul_lo_u32 v24, v31, 12
	s_mov_b32 s38, 0
	s_delay_alu instid0(VALU_DEP_1)
	v_add_nc_u32_e32 v32, v23, v24
	ds_load_b64 v[23:24], v32 offset:4096
.LBB227_31:                             ;   Parent Loop BB227_12 Depth=1
                                        ;     Parent Loop BB227_15 Depth=2
                                        ;       Parent Loop BB227_17 Depth=3
                                        ; =>      This Inner Loop Header: Depth=4
	s_waitcnt lgkmcnt(0)
	v_add_f64 v[33:34], v[23:24], v[19:20]
	ds_cmpstore_rtn_b64 v[33:34], v32, v[33:34], v[23:24] offset:4096
	s_waitcnt lgkmcnt(0)
	v_cmp_eq_u64_e32 vcc_lo, v[33:34], v[23:24]
	v_dual_mov_b32 v23, v33 :: v_dual_mov_b32 v24, v34
	s_or_b32 s38, vcc_lo, s38
	s_delay_alu instid0(SALU_CYCLE_1)
	s_and_not1_b32 exec_lo, exec_lo, s38
	s_cbranch_execnz .LBB227_31
; %bb.32:                               ;   in Loop: Header=BB227_17 Depth=3
	s_or_b32 exec_lo, exec_lo, s38
	ds_load_b64 v[23:24], v32 offset:4104
	s_mov_b32 s38, 0
.LBB227_33:                             ;   Parent Loop BB227_12 Depth=1
                                        ;     Parent Loop BB227_15 Depth=2
                                        ;       Parent Loop BB227_17 Depth=3
                                        ; =>      This Inner Loop Header: Depth=4
	s_waitcnt lgkmcnt(0)
	v_add_f64 v[33:34], v[23:24], v[21:22]
	ds_cmpstore_rtn_b64 v[33:34], v32, v[33:34], v[23:24] offset:4104
	s_waitcnt lgkmcnt(0)
	v_cmp_eq_u64_e32 vcc_lo, v[33:34], v[23:24]
	v_dual_mov_b32 v23, v33 :: v_dual_mov_b32 v24, v34
	s_or_b32 s38, vcc_lo, s38
	s_delay_alu instid0(SALU_CYCLE_1)
	s_and_not1_b32 exec_lo, exec_lo, s38
	s_cbranch_execnz .LBB227_33
; %bb.34:                               ;   in Loop: Header=BB227_17 Depth=3
	s_or_b32 exec_lo, exec_lo, s38
	s_delay_alu instid0(SALU_CYCLE_1)
	s_and_not1_b32 s37, s37, exec_lo
	s_branch .LBB227_16
.LBB227_35:
	s_or_b32 exec_lo, exec_lo, s2
.LBB227_36:
	s_delay_alu instid0(SALU_CYCLE_1)
	s_and_not1_b32 vcc_lo, exec_lo, s3
	s_cbranch_vccnz .LBB227_39
; %bb.37:
	s_waitcnt lgkmcnt(0)
	s_ashr_i32 s15, s14, 31
	s_delay_alu instid0(SALU_CYCLE_1) | instskip(NEXT) | instid1(SALU_CYCLE_1)
	s_lshl_b64 s[0:1], s[14:15], 3
	s_add_u32 s0, s4, s0
	s_addc_u32 s1, s5, s1
	v_sub_co_u32 v5, s4, v0, s27
	s_load_b128 s[0:3], s[0:1], 0x0
	v_sub_co_ci_u32_e64 v6, null, 0, 0, s4
	s_waitcnt lgkmcnt(0)
	s_delay_alu instid0(VALU_DEP_2) | instskip(NEXT) | instid1(VALU_DEP_2)
	v_add_co_u32 v5, vcc_lo, s0, v5
	v_add_co_ci_u32_e32 v6, vcc_lo, s1, v6, vcc_lo
	s_sub_u32 s0, s2, s27
	s_subb_u32 s1, s3, 0
	s_mov_b32 s3, 0
	s_mov_b32 s2, exec_lo
	v_cmpx_gt_i64_e64 s[0:1], v[5:6]
	s_cbranch_execnz .LBB227_60
.LBB227_38:
	s_or_b32 exec_lo, exec_lo, s2
.LBB227_39:
	v_mbcnt_lo_u32_b32 v1, -1, 0
	v_lshrrev_b32_e32 v2, 4, v0
	v_cmp_eq_u32_e32 vcc_lo, 0x1ff, v0
	v_cmp_lt_u32_e64 s0, 63, v0
	v_cmp_lt_u32_e64 s1, 0x7f, v0
	v_xor_b32_e32 v1, 63, v1
	v_dual_mov_b32 v4, 0 :: v_dual_and_b32 v3, 28, v2
	v_cmp_lt_u32_e64 s2, 0xbf, v0
	v_cmp_lt_u32_e64 s3, 0xff, v0
	s_delay_alu instid0(VALU_DEP_4) | instskip(NEXT) | instid1(VALU_DEP_4)
	v_lshrrev_b64 v[1:2], v1, -1
	v_dual_mov_b32 v3, 0 :: v_dual_add_nc_u32 v2, 0, v3
	v_cmp_lt_u32_e64 s4, 0x13f, v0
	v_cmp_lt_u32_e64 s5, 0x17f, v0
	v_cmp_lt_u32_e64 s6, 0x1bf, v0
	s_mov_b32 s8, 0
	s_waitcnt lgkmcnt(0)
	s_barrier
	buffer_gl0_inv
	s_branch .LBB227_41
.LBB227_40:                             ;   in Loop: Header=BB227_41 Depth=1
	s_or_b32 exec_lo, exec_lo, s7
	s_waitcnt lgkmcnt(0)
	s_barrier
	buffer_gl0_inv
	ds_load_b32 v5, v3 offset:20508
	v_add_co_u32 v25, s7, 0x200, v25
	s_delay_alu instid0(VALU_DEP_1) | instskip(SKIP_3) | instid1(SALU_CYCLE_1)
	s_xor_b32 s7, s7, -1
	v_add_nc_u32_e32 v27, 0x2000, v27
	v_add_nc_u32_e32 v26, 0x800, v26
	s_and_b32 s7, exec_lo, s7
	s_or_b32 s8, s7, s8
	s_waitcnt lgkmcnt(0)
	v_add_nc_u32_e32 v4, v5, v4
	s_and_not1_b32 exec_lo, exec_lo, s8
	s_cbranch_execz .LBB227_80
.LBB227_41:                             ; =>This Inner Loop Header: Depth=1
	ds_load_b32 v5, v26
	ds_load_2addr_b64 v[6:9], v27 offset1:1
	s_waitcnt lgkmcnt(1)
	v_cmp_gt_i32_e64 s7, s33, v5
	s_waitcnt lgkmcnt(0)
	scratch_store_b128 off, v[6:9], off
	s_waitcnt_vscnt null, 0x0
	s_barrier
	buffer_gl0_inv
	s_bcnt1_i32_b32 s9, s7
	s_delay_alu instid0(SALU_CYCLE_1) | instskip(NEXT) | instid1(VALU_DEP_1)
	v_dual_mov_b32 v7, s9 :: v_dual_and_b32 v6, s7, v1
	v_bcnt_u32_b32 v6, v6, 0
	ds_store_b32 v2, v7 offset:20480
	s_waitcnt lgkmcnt(0)
	s_barrier
	buffer_gl0_inv
	s_and_saveexec_b32 s9, s0
	s_cbranch_execnz .LBB227_50
; %bb.42:                               ;   in Loop: Header=BB227_41 Depth=1
	s_or_b32 exec_lo, exec_lo, s9
	s_and_saveexec_b32 s9, s1
	s_cbranch_execnz .LBB227_51
.LBB227_43:                             ;   in Loop: Header=BB227_41 Depth=1
	s_or_b32 exec_lo, exec_lo, s9
	s_and_saveexec_b32 s9, s2
	s_cbranch_execnz .LBB227_52
.LBB227_44:                             ;   in Loop: Header=BB227_41 Depth=1
	s_or_b32 exec_lo, exec_lo, s9
	s_and_saveexec_b32 s9, s3
	s_cbranch_execnz .LBB227_53
.LBB227_45:                             ;   in Loop: Header=BB227_41 Depth=1
	s_or_b32 exec_lo, exec_lo, s9
	s_and_saveexec_b32 s9, s4
	s_cbranch_execnz .LBB227_54
.LBB227_46:                             ;   in Loop: Header=BB227_41 Depth=1
	s_or_b32 exec_lo, exec_lo, s9
	s_and_saveexec_b32 s9, s5
	s_cbranch_execnz .LBB227_55
.LBB227_47:                             ;   in Loop: Header=BB227_41 Depth=1
	s_or_b32 exec_lo, exec_lo, s9
	s_and_saveexec_b32 s9, s6
	s_cbranch_execnz .LBB227_56
.LBB227_48:                             ;   in Loop: Header=BB227_41 Depth=1
	s_or_b32 exec_lo, exec_lo, s9
	s_and_saveexec_b32 s9, s7
	s_cbranch_execnz .LBB227_57
.LBB227_49:                             ;   in Loop: Header=BB227_41 Depth=1
	s_or_b32 exec_lo, exec_lo, s9
	s_and_saveexec_b32 s7, vcc_lo
	s_cbranch_execz .LBB227_40
	s_branch .LBB227_58
.LBB227_50:                             ;   in Loop: Header=BB227_41 Depth=1
	ds_load_b32 v7, v3 offset:20480
	s_waitcnt lgkmcnt(0)
	v_add_nc_u32_e32 v6, v7, v6
	s_or_b32 exec_lo, exec_lo, s9
	s_and_saveexec_b32 s9, s1
	s_cbranch_execz .LBB227_43
.LBB227_51:                             ;   in Loop: Header=BB227_41 Depth=1
	ds_load_b32 v7, v3 offset:20484
	s_waitcnt lgkmcnt(0)
	v_add_nc_u32_e32 v6, v7, v6
	s_or_b32 exec_lo, exec_lo, s9
	s_and_saveexec_b32 s9, s2
	s_cbranch_execz .LBB227_44
.LBB227_52:                             ;   in Loop: Header=BB227_41 Depth=1
	ds_load_b32 v7, v3 offset:20488
	s_waitcnt lgkmcnt(0)
	v_add_nc_u32_e32 v6, v7, v6
	s_or_b32 exec_lo, exec_lo, s9
	s_and_saveexec_b32 s9, s3
	s_cbranch_execz .LBB227_45
.LBB227_53:                             ;   in Loop: Header=BB227_41 Depth=1
	ds_load_b32 v7, v3 offset:20492
	s_waitcnt lgkmcnt(0)
	v_add_nc_u32_e32 v6, v7, v6
	s_or_b32 exec_lo, exec_lo, s9
	s_and_saveexec_b32 s9, s4
	s_cbranch_execz .LBB227_46
.LBB227_54:                             ;   in Loop: Header=BB227_41 Depth=1
	ds_load_b32 v7, v3 offset:20496
	s_waitcnt lgkmcnt(0)
	v_add_nc_u32_e32 v6, v7, v6
	s_or_b32 exec_lo, exec_lo, s9
	s_and_saveexec_b32 s9, s5
	s_cbranch_execz .LBB227_47
.LBB227_55:                             ;   in Loop: Header=BB227_41 Depth=1
	ds_load_b32 v7, v3 offset:20500
	s_waitcnt lgkmcnt(0)
	v_add_nc_u32_e32 v6, v7, v6
	s_or_b32 exec_lo, exec_lo, s9
	s_and_saveexec_b32 s9, s6
	s_cbranch_execz .LBB227_48
.LBB227_56:                             ;   in Loop: Header=BB227_41 Depth=1
	ds_load_b32 v7, v3 offset:20504
	s_waitcnt lgkmcnt(0)
	v_add_nc_u32_e32 v6, v7, v6
	s_or_b32 exec_lo, exec_lo, s9
	s_and_saveexec_b32 s9, s7
	s_cbranch_execz .LBB227_49
.LBB227_57:                             ;   in Loop: Header=BB227_41 Depth=1
	scratch_load_b128 v[7:10], off, off
	v_add3_u32 v11, v4, -1, v6
	s_delay_alu instid0(VALU_DEP_1) | instskip(SKIP_1) | instid1(VALU_DEP_2)
	v_lshlrev_b32_e32 v12, 4, v11
	v_lshl_add_u32 v11, v11, 2, 0
	v_add3_u32 v12, 0, v12, 0x1000
	ds_store_b32 v11, v5
	s_waitcnt vmcnt(0)
	ds_store_2addr_b64 v12, v[7:8], v[9:10] offset1:1
	s_or_b32 exec_lo, exec_lo, s9
	s_and_saveexec_b32 s7, vcc_lo
	s_cbranch_execz .LBB227_40
.LBB227_58:                             ;   in Loop: Header=BB227_41 Depth=1
	ds_store_b32 v3, v6 offset:20508
	s_branch .LBB227_40
.LBB227_59:                             ;   in Loop: Header=BB227_60 Depth=1
	s_or_b32 exec_lo, exec_lo, s4
	v_add_co_u32 v5, vcc_lo, 0x200, v5
	v_add_co_ci_u32_e32 v6, vcc_lo, 0, v6, vcc_lo
	s_delay_alu instid0(VALU_DEP_1) | instskip(SKIP_1) | instid1(SALU_CYCLE_1)
	v_cmp_le_i64_e32 vcc_lo, s[0:1], v[5:6]
	s_or_b32 s3, vcc_lo, s3
	s_and_not1_b32 exec_lo, exec_lo, s3
	s_cbranch_execz .LBB227_38
.LBB227_60:                             ; =>This Loop Header: Depth=1
                                        ;     Child Loop BB227_62 Depth 2
                                        ;       Child Loop BB227_68 Depth 3
                                        ;       Child Loop BB227_70 Depth 3
	;; [unrolled: 1-line block ×4, first 2 shown]
	v_lshlrev_b64 v[7:8], 4, v[5:6]
	s_mov_b32 s4, 0
	s_delay_alu instid0(VALU_DEP_1) | instskip(NEXT) | instid1(VALU_DEP_2)
	v_add_co_u32 v7, vcc_lo, s8, v7
	v_add_co_ci_u32_e32 v8, vcc_lo, s9, v8, vcc_lo
	global_load_b128 v[9:12], v[7:8], off
	v_lshlrev_b64 v[7:8], 2, v[5:6]
	s_delay_alu instid0(VALU_DEP_1) | instskip(NEXT) | instid1(VALU_DEP_2)
	v_add_co_u32 v7, vcc_lo, s6, v7
	v_add_co_ci_u32_e32 v8, vcc_lo, s7, v8, vcc_lo
	global_load_b32 v13, v[7:8], off
	s_waitcnt vmcnt(1)
	v_mul_f64 v[7:8], v[11:12], -v[1:2]
	v_mul_f64 v[11:12], v[3:4], v[11:12]
	s_waitcnt vmcnt(0)
	v_subrev_nc_u32_e32 v13, s27, v13
	s_delay_alu instid0(VALU_DEP_3) | instskip(NEXT) | instid1(VALU_DEP_3)
	v_fma_f64 v[7:8], v[3:4], v[9:10], v[7:8]
	v_fma_f64 v[9:10], v[1:2], v[9:10], v[11:12]
	s_delay_alu instid0(VALU_DEP_3) | instskip(NEXT) | instid1(VALU_DEP_1)
	v_mul_lo_u32 v11, 0x89, v13
	v_and_b32_e32 v14, 0x3ff, v11
	s_branch .LBB227_62
.LBB227_61:                             ;   in Loop: Header=BB227_62 Depth=2
	s_or_b32 exec_lo, exec_lo, s5
	s_xor_b32 s5, s15, -1
	s_delay_alu instid0(SALU_CYCLE_1) | instskip(NEXT) | instid1(SALU_CYCLE_1)
	s_and_b32 s5, exec_lo, s5
	s_or_b32 s4, s5, s4
	s_delay_alu instid0(SALU_CYCLE_1)
	s_and_not1_b32 exec_lo, exec_lo, s4
	s_cbranch_execz .LBB227_59
.LBB227_62:                             ;   Parent Loop BB227_60 Depth=1
                                        ; =>  This Loop Header: Depth=2
                                        ;       Child Loop BB227_68 Depth 3
                                        ;       Child Loop BB227_70 Depth 3
	;; [unrolled: 1-line block ×4, first 2 shown]
	s_delay_alu instid0(VALU_DEP_1)
	v_lshl_add_u32 v11, v14, 2, 0
	s_mov_b32 s5, exec_lo
                                        ; implicit-def: $sgpr15
	ds_load_b32 v12, v11
	s_waitcnt lgkmcnt(0)
	v_cmpx_ne_u32_e64 v12, v13
	s_xor_b32 s5, exec_lo, s5
	s_cbranch_execz .LBB227_74
; %bb.63:                               ;   in Loop: Header=BB227_62 Depth=2
	s_mov_b32 s16, exec_lo
                                        ; implicit-def: $sgpr15
	v_cmpx_ne_u32_e64 s33, v12
	s_xor_b32 s16, exec_lo, s16
; %bb.64:                               ;   in Loop: Header=BB227_62 Depth=2
	v_add_nc_u32_e32 v11, 1, v14
	s_mov_b32 s15, -1
	s_delay_alu instid0(VALU_DEP_1)
	v_and_b32_e32 v14, 0x3ff, v11
                                        ; implicit-def: $vgpr11
; %bb.65:                               ;   in Loop: Header=BB227_62 Depth=2
	s_and_not1_saveexec_b32 s16, s16
	s_cbranch_execz .LBB227_73
; %bb.66:                               ;   in Loop: Header=BB227_62 Depth=2
	v_mov_b32_e32 v12, s33
	s_mov_b32 s18, -1
	s_mov_b32 s17, exec_lo
	ds_cmpstore_rtn_b32 v12, v11, v13, v12
	s_waitcnt lgkmcnt(0)
	v_cmpx_eq_u32_e64 s33, v12
	s_cbranch_execz .LBB227_72
; %bb.67:                               ;   in Loop: Header=BB227_62 Depth=2
	v_mul_lo_u32 v12, v14, 12
	s_mov_b32 s18, 0
	s_delay_alu instid0(VALU_DEP_1)
	v_add_nc_u32_e32 v15, v11, v12
	ds_load_b64 v[11:12], v15 offset:4096
.LBB227_68:                             ;   Parent Loop BB227_60 Depth=1
                                        ;     Parent Loop BB227_62 Depth=2
                                        ; =>    This Inner Loop Header: Depth=3
	s_waitcnt lgkmcnt(0)
	v_add_f64 v[16:17], v[11:12], v[7:8]
	ds_cmpstore_rtn_b64 v[16:17], v15, v[16:17], v[11:12] offset:4096
	s_waitcnt lgkmcnt(0)
	v_cmp_eq_u64_e32 vcc_lo, v[16:17], v[11:12]
	v_dual_mov_b32 v11, v16 :: v_dual_mov_b32 v12, v17
	s_or_b32 s18, vcc_lo, s18
	s_delay_alu instid0(SALU_CYCLE_1)
	s_and_not1_b32 exec_lo, exec_lo, s18
	s_cbranch_execnz .LBB227_68
; %bb.69:                               ;   in Loop: Header=BB227_62 Depth=2
	s_or_b32 exec_lo, exec_lo, s18
	ds_load_b64 v[11:12], v15 offset:4104
	s_mov_b32 s18, 0
.LBB227_70:                             ;   Parent Loop BB227_60 Depth=1
                                        ;     Parent Loop BB227_62 Depth=2
                                        ; =>    This Inner Loop Header: Depth=3
	s_waitcnt lgkmcnt(0)
	v_add_f64 v[16:17], v[11:12], v[9:10]
	ds_cmpstore_rtn_b64 v[16:17], v15, v[16:17], v[11:12] offset:4104
	s_waitcnt lgkmcnt(0)
	v_cmp_eq_u64_e32 vcc_lo, v[16:17], v[11:12]
	v_dual_mov_b32 v11, v16 :: v_dual_mov_b32 v12, v17
	s_or_b32 s18, vcc_lo, s18
	s_delay_alu instid0(SALU_CYCLE_1)
	s_and_not1_b32 exec_lo, exec_lo, s18
	s_cbranch_execnz .LBB227_70
; %bb.71:                               ;   in Loop: Header=BB227_62 Depth=2
	s_or_b32 exec_lo, exec_lo, s18
	s_delay_alu instid0(SALU_CYCLE_1)
	s_xor_b32 s18, exec_lo, -1
.LBB227_72:                             ;   in Loop: Header=BB227_62 Depth=2
	s_or_b32 exec_lo, exec_lo, s17
	s_delay_alu instid0(SALU_CYCLE_1) | instskip(SKIP_1) | instid1(SALU_CYCLE_1)
	s_and_not1_b32 s15, s15, exec_lo
	s_and_b32 s17, s18, exec_lo
	s_or_b32 s15, s15, s17
.LBB227_73:                             ;   in Loop: Header=BB227_62 Depth=2
	s_or_b32 exec_lo, exec_lo, s16
	s_delay_alu instid0(SALU_CYCLE_1)
	s_and_b32 s15, s15, exec_lo
                                        ; implicit-def: $vgpr11
.LBB227_74:                             ;   in Loop: Header=BB227_62 Depth=2
	s_and_not1_saveexec_b32 s5, s5
	s_cbranch_execz .LBB227_61
; %bb.75:                               ;   in Loop: Header=BB227_62 Depth=2
	v_mul_lo_u32 v12, v14, 12
	s_mov_b32 s16, 0
	s_delay_alu instid0(VALU_DEP_1)
	v_add_nc_u32_e32 v15, v11, v12
	ds_load_b64 v[11:12], v15 offset:4096
.LBB227_76:                             ;   Parent Loop BB227_60 Depth=1
                                        ;     Parent Loop BB227_62 Depth=2
                                        ; =>    This Inner Loop Header: Depth=3
	s_waitcnt lgkmcnt(0)
	v_add_f64 v[16:17], v[11:12], v[7:8]
	ds_cmpstore_rtn_b64 v[16:17], v15, v[16:17], v[11:12] offset:4096
	s_waitcnt lgkmcnt(0)
	v_cmp_eq_u64_e32 vcc_lo, v[16:17], v[11:12]
	v_dual_mov_b32 v11, v16 :: v_dual_mov_b32 v12, v17
	s_or_b32 s16, vcc_lo, s16
	s_delay_alu instid0(SALU_CYCLE_1)
	s_and_not1_b32 exec_lo, exec_lo, s16
	s_cbranch_execnz .LBB227_76
; %bb.77:                               ;   in Loop: Header=BB227_62 Depth=2
	s_or_b32 exec_lo, exec_lo, s16
	ds_load_b64 v[11:12], v15 offset:4104
	s_mov_b32 s16, 0
.LBB227_78:                             ;   Parent Loop BB227_60 Depth=1
                                        ;     Parent Loop BB227_62 Depth=2
                                        ; =>    This Inner Loop Header: Depth=3
	s_waitcnt lgkmcnt(0)
	v_add_f64 v[16:17], v[11:12], v[9:10]
	ds_cmpstore_rtn_b64 v[16:17], v15, v[16:17], v[11:12] offset:4104
	s_waitcnt lgkmcnt(0)
	v_cmp_eq_u64_e32 vcc_lo, v[16:17], v[11:12]
	v_dual_mov_b32 v11, v16 :: v_dual_mov_b32 v12, v17
	s_or_b32 s16, vcc_lo, s16
	s_delay_alu instid0(SALU_CYCLE_1)
	s_and_not1_b32 exec_lo, exec_lo, s16
	s_cbranch_execnz .LBB227_78
; %bb.79:                               ;   in Loop: Header=BB227_62 Depth=2
	s_or_b32 exec_lo, exec_lo, s16
	s_delay_alu instid0(SALU_CYCLE_1)
	s_and_not1_b32 s15, s15, exec_lo
	s_branch .LBB227_61
.LBB227_80:
	s_or_b32 exec_lo, exec_lo, s8
	s_ashr_i32 s15, s14, 31
	s_mov_b32 s4, exec_lo
	s_lshl_b64 s[0:1], s[14:15], 3
	s_delay_alu instid0(SALU_CYCLE_1) | instskip(SKIP_4) | instid1(SALU_CYCLE_1)
	s_add_u32 s0, s10, s0
	s_addc_u32 s1, s11, s1
	s_load_b128 s[0:3], s[0:1], 0x0
	s_waitcnt lgkmcnt(0)
	s_sub_i32 s3, s2, s0
	v_cmpx_gt_i32_e64 s3, v0
	s_cbranch_execz .LBB227_90
; %bb.81:
	s_sub_u32 s4, s0, s26
	s_subb_u32 s5, s1, 0
	s_sub_i32 s0, s0, s2
	s_and_b32 s1, s3, 7
	s_cmp_lt_u32 s0, -7
	s_mov_b32 s8, 0
	s_cselect_b32 s2, -1, 0
	s_and_b32 s6, s3, -8
	s_cmp_lg_u32 s1, 0
	s_cselect_b32 s7, -1, 0
	s_branch .LBB227_83
.LBB227_82:                             ;   in Loop: Header=BB227_83 Depth=1
	s_waitcnt lgkmcnt(0)
	v_mul_lo_u32 v4, v0, 12
	v_lshlrev_b64 v[1:2], 4, v[1:2]
	v_add_nc_u32_e32 v0, 0x200, v0
	s_delay_alu instid0(VALU_DEP_1) | instskip(NEXT) | instid1(VALU_DEP_4)
	v_cmp_le_i32_e32 vcc_lo, s3, v0
	v_add3_u32 v3, v3, v4, 0x1000
	s_delay_alu instid0(VALU_DEP_4) | instskip(NEXT) | instid1(VALU_DEP_1)
	v_add_co_u32 v1, s0, s12, v1
	v_add_co_ci_u32_e64 v2, s0, s13, v2, s0
	ds_load_2addr_b64 v[3:6], v3 offset1:1
	s_or_b32 s8, vcc_lo, s8
	s_waitcnt lgkmcnt(0)
	global_store_b128 v[1:2], v[3:6], off
	s_and_not1_b32 exec_lo, exec_lo, s8
	s_cbranch_execz .LBB227_90
.LBB227_83:                             ; =>This Loop Header: Depth=1
                                        ;     Child Loop BB227_85 Depth 2
                                        ;     Child Loop BB227_89 Depth 2
	v_lshl_add_u32 v3, v0, 2, 0
	v_dual_mov_b32 v1, s4 :: v_dual_mov_b32 v2, s5
	s_and_not1_b32 vcc_lo, exec_lo, s2
	s_mov_b32 s0, 0
	ds_load_b32 v4, v3
	s_cbranch_vccnz .LBB227_87
; %bb.84:                               ;   in Loop: Header=BB227_83 Depth=1
	v_dual_mov_b32 v1, s4 :: v_dual_mov_b32 v2, s5
	s_mov_b32 s9, 0
	s_mov_b32 s10, 0
.LBB227_85:                             ;   Parent Loop BB227_83 Depth=1
                                        ; =>  This Inner Loop Header: Depth=2
	s_delay_alu instid0(SALU_CYCLE_1)
	v_mov_b32_e32 v11, s10
	s_add_i32 s9, s9, 8
	s_add_i32 s10, s10, 32
	s_cmp_eq_u32 s6, s9
	ds_load_2addr_b32 v[5:6], v11 offset1:1
	ds_load_2addr_b32 v[7:8], v11 offset0:2 offset1:3
	ds_load_2addr_b32 v[9:10], v11 offset0:4 offset1:5
	;; [unrolled: 1-line block ×3, first 2 shown]
	s_waitcnt lgkmcnt(3)
	v_cmp_gt_i32_e32 vcc_lo, v4, v5
	v_cndmask_b32_e64 v5, 0, 1, vcc_lo
	v_cmp_gt_i32_e32 vcc_lo, v4, v6
	v_cndmask_b32_e64 v6, 0, 1, vcc_lo
	s_waitcnt lgkmcnt(2)
	v_cmp_gt_i32_e32 vcc_lo, v4, v7
	v_cndmask_b32_e64 v7, 0, 1, vcc_lo
	v_cmp_gt_i32_e32 vcc_lo, v4, v8
	v_cndmask_b32_e64 v8, 0, 1, vcc_lo
	s_waitcnt lgkmcnt(1)
	v_cmp_gt_i32_e32 vcc_lo, v4, v9
	v_cndmask_b32_e64 v9, 0, 1, vcc_lo
	v_add_co_u32 v1, vcc_lo, v1, v5
	v_add_co_ci_u32_e32 v2, vcc_lo, 0, v2, vcc_lo
	v_cmp_gt_i32_e32 vcc_lo, v4, v10
	s_delay_alu instid0(VALU_DEP_3) | instskip(NEXT) | instid1(VALU_DEP_1)
	v_add_co_u32 v1, s0, v1, v6
	v_add_co_ci_u32_e64 v2, s0, 0, v2, s0
	v_cndmask_b32_e64 v5, 0, 1, vcc_lo
	s_delay_alu instid0(VALU_DEP_3) | instskip(NEXT) | instid1(VALU_DEP_3)
	v_add_co_u32 v1, vcc_lo, v1, v7
	v_add_co_ci_u32_e32 v2, vcc_lo, 0, v2, vcc_lo
	s_waitcnt lgkmcnt(0)
	v_cmp_gt_i32_e32 vcc_lo, v4, v11
	s_delay_alu instid0(VALU_DEP_3) | instskip(NEXT) | instid1(VALU_DEP_1)
	v_add_co_u32 v1, s0, v1, v8
	v_add_co_ci_u32_e64 v2, s0, 0, v2, s0
	v_cndmask_b32_e64 v6, 0, 1, vcc_lo
	s_delay_alu instid0(VALU_DEP_3) | instskip(NEXT) | instid1(VALU_DEP_3)
	v_add_co_u32 v1, vcc_lo, v1, v9
	v_add_co_ci_u32_e32 v2, vcc_lo, 0, v2, vcc_lo
	v_cmp_gt_i32_e32 vcc_lo, v4, v12
	s_delay_alu instid0(VALU_DEP_3) | instskip(NEXT) | instid1(VALU_DEP_1)
	v_add_co_u32 v1, s0, v1, v5
	v_add_co_ci_u32_e64 v2, s0, 0, v2, s0
	v_cndmask_b32_e64 v5, 0, 1, vcc_lo
	s_delay_alu instid0(VALU_DEP_3) | instskip(NEXT) | instid1(VALU_DEP_3)
	v_add_co_u32 v1, vcc_lo, v1, v6
	v_add_co_ci_u32_e32 v2, vcc_lo, 0, v2, vcc_lo
	s_delay_alu instid0(VALU_DEP_2) | instskip(NEXT) | instid1(VALU_DEP_2)
	v_add_co_u32 v1, vcc_lo, v1, v5
	v_add_co_ci_u32_e32 v2, vcc_lo, 0, v2, vcc_lo
	s_cbranch_scc0 .LBB227_85
; %bb.86:                               ;   in Loop: Header=BB227_83 Depth=1
	s_mov_b32 s0, s6
.LBB227_87:                             ;   in Loop: Header=BB227_83 Depth=1
	s_and_not1_b32 vcc_lo, exec_lo, s7
	s_cbranch_vccnz .LBB227_82
; %bb.88:                               ;   in Loop: Header=BB227_83 Depth=1
	s_lshl_b32 s0, s0, 2
	s_mov_b32 s9, s1
	s_add_i32 s0, s0, 0
.LBB227_89:                             ;   Parent Loop BB227_83 Depth=1
                                        ; =>  This Inner Loop Header: Depth=2
	s_delay_alu instid0(SALU_CYCLE_1)
	v_mov_b32_e32 v5, s0
	s_add_i32 s9, s9, -1
	s_add_i32 s0, s0, 4
	s_cmp_lg_u32 s9, 0
	ds_load_b32 v5, v5
	s_waitcnt lgkmcnt(0)
	v_cmp_gt_i32_e32 vcc_lo, v4, v5
	v_cndmask_b32_e64 v5, 0, 1, vcc_lo
	s_delay_alu instid0(VALU_DEP_1)
	v_add_co_u32 v1, vcc_lo, v1, v5
	v_add_co_ci_u32_e32 v2, vcc_lo, 0, v2, vcc_lo
	s_cbranch_scc1 .LBB227_89
	s_branch .LBB227_82
.LBB227_90:
	s_nop 0
	s_sendmsg sendmsg(MSG_DEALLOC_VGPRS)
	s_endpgm
	.section	.rodata,"a",@progbits
	.p2align	6, 0x0
	.amdhsa_kernel _ZN9rocsparseL41csrgemm_numeric_fill_block_per_row_kernelILj512ELj32ELj1024ELj137ELj64Eli21rocsparse_complex_numIdEEEvT5_PKS3_S5_NS_24const_host_device_scalarIT6_EEPKT4_S5_PKS7_SB_S5_SD_S8_SB_S5_SD_SB_S5_PS7_21rocsparse_index_base_SF_SF_SF_bbb
		.amdhsa_group_segment_fixed_size 0
		.amdhsa_private_segment_fixed_size 40
		.amdhsa_kernarg_size 172
		.amdhsa_user_sgpr_count 15
		.amdhsa_user_sgpr_dispatch_ptr 0
		.amdhsa_user_sgpr_queue_ptr 0
		.amdhsa_user_sgpr_kernarg_segment_ptr 1
		.amdhsa_user_sgpr_dispatch_id 0
		.amdhsa_user_sgpr_private_segment_size 0
		.amdhsa_wavefront_size32 1
		.amdhsa_uses_dynamic_stack 0
		.amdhsa_enable_private_segment 1
		.amdhsa_system_sgpr_workgroup_id_x 1
		.amdhsa_system_sgpr_workgroup_id_y 0
		.amdhsa_system_sgpr_workgroup_id_z 0
		.amdhsa_system_sgpr_workgroup_info 0
		.amdhsa_system_vgpr_workitem_id 0
		.amdhsa_next_free_vgpr 35
		.amdhsa_next_free_sgpr 46
		.amdhsa_reserve_vcc 1
		.amdhsa_float_round_mode_32 0
		.amdhsa_float_round_mode_16_64 0
		.amdhsa_float_denorm_mode_32 3
		.amdhsa_float_denorm_mode_16_64 3
		.amdhsa_dx10_clamp 1
		.amdhsa_ieee_mode 1
		.amdhsa_fp16_overflow 0
		.amdhsa_workgroup_processor_mode 1
		.amdhsa_memory_ordered 1
		.amdhsa_forward_progress 0
		.amdhsa_shared_vgpr_count 0
		.amdhsa_exception_fp_ieee_invalid_op 0
		.amdhsa_exception_fp_denorm_src 0
		.amdhsa_exception_fp_ieee_div_zero 0
		.amdhsa_exception_fp_ieee_overflow 0
		.amdhsa_exception_fp_ieee_underflow 0
		.amdhsa_exception_fp_ieee_inexact 0
		.amdhsa_exception_int_div_zero 0
	.end_amdhsa_kernel
	.section	.text._ZN9rocsparseL41csrgemm_numeric_fill_block_per_row_kernelILj512ELj32ELj1024ELj137ELj64Eli21rocsparse_complex_numIdEEEvT5_PKS3_S5_NS_24const_host_device_scalarIT6_EEPKT4_S5_PKS7_SB_S5_SD_S8_SB_S5_SD_SB_S5_PS7_21rocsparse_index_base_SF_SF_SF_bbb,"axG",@progbits,_ZN9rocsparseL41csrgemm_numeric_fill_block_per_row_kernelILj512ELj32ELj1024ELj137ELj64Eli21rocsparse_complex_numIdEEEvT5_PKS3_S5_NS_24const_host_device_scalarIT6_EEPKT4_S5_PKS7_SB_S5_SD_S8_SB_S5_SD_SB_S5_PS7_21rocsparse_index_base_SF_SF_SF_bbb,comdat
.Lfunc_end227:
	.size	_ZN9rocsparseL41csrgemm_numeric_fill_block_per_row_kernelILj512ELj32ELj1024ELj137ELj64Eli21rocsparse_complex_numIdEEEvT5_PKS3_S5_NS_24const_host_device_scalarIT6_EEPKT4_S5_PKS7_SB_S5_SD_S8_SB_S5_SD_SB_S5_PS7_21rocsparse_index_base_SF_SF_SF_bbb, .Lfunc_end227-_ZN9rocsparseL41csrgemm_numeric_fill_block_per_row_kernelILj512ELj32ELj1024ELj137ELj64Eli21rocsparse_complex_numIdEEEvT5_PKS3_S5_NS_24const_host_device_scalarIT6_EEPKT4_S5_PKS7_SB_S5_SD_S8_SB_S5_SD_SB_S5_PS7_21rocsparse_index_base_SF_SF_SF_bbb
                                        ; -- End function
	.section	.AMDGPU.csdata,"",@progbits
; Kernel info:
; codeLenInByte = 3912
; NumSgprs: 48
; NumVgprs: 35
; ScratchSize: 40
; MemoryBound: 0
; FloatMode: 240
; IeeeMode: 1
; LDSByteSize: 0 bytes/workgroup (compile time only)
; SGPRBlocks: 5
; VGPRBlocks: 4
; NumSGPRsForWavesPerEU: 48
; NumVGPRsForWavesPerEU: 35
; Occupancy: 16
; WaveLimiterHint : 1
; COMPUTE_PGM_RSRC2:SCRATCH_EN: 1
; COMPUTE_PGM_RSRC2:USER_SGPR: 15
; COMPUTE_PGM_RSRC2:TRAP_HANDLER: 0
; COMPUTE_PGM_RSRC2:TGID_X_EN: 1
; COMPUTE_PGM_RSRC2:TGID_Y_EN: 0
; COMPUTE_PGM_RSRC2:TGID_Z_EN: 0
; COMPUTE_PGM_RSRC2:TIDIG_COMP_CNT: 0
	.section	.text._ZN9rocsparseL41csrgemm_numeric_fill_block_per_row_kernelILj1024ELj32ELj2048ELj137ELj32Eli21rocsparse_complex_numIdEEEvT5_PKS3_S5_NS_24const_host_device_scalarIT6_EEPKT4_S5_PKS7_SB_S5_SD_S8_SB_S5_SD_SB_S5_PS7_21rocsparse_index_base_SF_SF_SF_bbb,"axG",@progbits,_ZN9rocsparseL41csrgemm_numeric_fill_block_per_row_kernelILj1024ELj32ELj2048ELj137ELj32Eli21rocsparse_complex_numIdEEEvT5_PKS3_S5_NS_24const_host_device_scalarIT6_EEPKT4_S5_PKS7_SB_S5_SD_S8_SB_S5_SD_SB_S5_PS7_21rocsparse_index_base_SF_SF_SF_bbb,comdat
	.globl	_ZN9rocsparseL41csrgemm_numeric_fill_block_per_row_kernelILj1024ELj32ELj2048ELj137ELj32Eli21rocsparse_complex_numIdEEEvT5_PKS3_S5_NS_24const_host_device_scalarIT6_EEPKT4_S5_PKS7_SB_S5_SD_S8_SB_S5_SD_SB_S5_PS7_21rocsparse_index_base_SF_SF_SF_bbb ; -- Begin function _ZN9rocsparseL41csrgemm_numeric_fill_block_per_row_kernelILj1024ELj32ELj2048ELj137ELj32Eli21rocsparse_complex_numIdEEEvT5_PKS3_S5_NS_24const_host_device_scalarIT6_EEPKT4_S5_PKS7_SB_S5_SD_S8_SB_S5_SD_SB_S5_PS7_21rocsparse_index_base_SF_SF_SF_bbb
	.p2align	8
	.type	_ZN9rocsparseL41csrgemm_numeric_fill_block_per_row_kernelILj1024ELj32ELj2048ELj137ELj32Eli21rocsparse_complex_numIdEEEvT5_PKS3_S5_NS_24const_host_device_scalarIT6_EEPKT4_S5_PKS7_SB_S5_SD_S8_SB_S5_SD_SB_S5_PS7_21rocsparse_index_base_SF_SF_SF_bbb,@function
_ZN9rocsparseL41csrgemm_numeric_fill_block_per_row_kernelILj1024ELj32ELj2048ELj137ELj32Eli21rocsparse_complex_numIdEEEvT5_PKS3_S5_NS_24const_host_device_scalarIT6_EEPKT4_S5_PKS7_SB_S5_SD_S8_SB_S5_SD_SB_S5_PS7_21rocsparse_index_base_SF_SF_SF_bbb: ; @_ZN9rocsparseL41csrgemm_numeric_fill_block_per_row_kernelILj1024ELj32ELj2048ELj137ELj32Eli21rocsparse_complex_numIdEEEvT5_PKS3_S5_NS_24const_host_device_scalarIT6_EEPKT4_S5_PKS7_SB_S5_SD_S8_SB_S5_SD_SB_S5_PS7_21rocsparse_index_base_SF_SF_SF_bbb
; %bb.0:
	s_clause 0x3
	s_load_b32 s14, s[0:1], 0xa8
	s_load_b128 s[4:7], s[0:1], 0x18
	s_load_b128 s[20:23], s[0:1], 0x58
	;; [unrolled: 1-line block ×3, first 2 shown]
	v_mov_b32_e32 v1, 0
	v_mov_b32_e32 v2, 0
	s_waitcnt lgkmcnt(0)
	s_bitcmp1_b32 s14, 0
	v_mov_b32_e32 v3, s4
	s_cselect_b32 s12, -1, 0
	s_bitcmp1_b32 s14, 16
	v_dual_mov_b32 v6, v2 :: v_dual_mov_b32 v5, v1
	s_cselect_b32 s2, -1, 0
	v_mov_b32_e32 v4, s5
	s_xor_b32 s13, s2, -1
	v_dual_mov_b32 v9, s20 :: v_dual_mov_b32 v10, s21
	v_cndmask_b32_e64 v7, 0, 1, s13
	s_bitcmp0_b32 s14, 0
	s_clause 0x1
	scratch_store_b64 off, v[3:4], off offset:16
	scratch_store_b64 off, v[9:10], off offset:24
	v_cmp_ne_u32_e32 vcc_lo, 1, v7
	v_dual_mov_b32 v8, v2 :: v_dual_mov_b32 v7, v1
	s_cbranch_scc1 .LBB228_3
; %bb.1:
	s_mov_b64 s[8:9], src_private_base
	s_and_b32 s3, s2, exec_lo
	s_cselect_b32 s3, s9, s5
	s_delay_alu instid0(SALU_CYCLE_1) | instskip(SKIP_2) | instid1(VALU_DEP_2)
	v_dual_mov_b32 v3, 16 :: v_dual_mov_b32 v4, s3
	v_dual_mov_b32 v8, s7 :: v_dual_mov_b32 v7, s6
	s_and_b32 vcc_lo, exec_lo, vcc_lo
	v_cndmask_b32_e64 v3, s4, v3, s2
	flat_load_b64 v[5:6], v[3:4]
	s_cbranch_vccnz .LBB228_3
; %bb.2:
	v_dual_mov_b32 v3, s4 :: v_dual_mov_b32 v4, s5
	flat_load_b64 v[7:8], v[3:4] offset:8
.LBB228_3:
	s_clause 0x4
	s_load_b64 s[34:35], s[0:1], 0x90
	s_load_b256 s[36:43], s[0:1], 0x68
	s_load_b128 s[16:19], s[0:1], 0x48
	s_load_b128 s[24:27], s[0:1], 0x8
	s_load_b256 s[4:11], s[0:1], 0x28
	s_bitcmp1_b32 s14, 8
	v_dual_mov_b32 v4, v2 :: v_dual_mov_b32 v3, v1
	s_cselect_b32 s3, -1, 0
	s_bfe_u32 s14, s14, 0x10008
	s_delay_alu instid0(SALU_CYCLE_1)
	s_cmp_eq_u32 s14, 0
	s_cbranch_scc1 .LBB228_6
; %bb.4:
	s_mov_b64 s[28:29], src_private_base
	s_and_b32 s14, s2, exec_lo
	s_cselect_b32 s14, s29, s21
	s_delay_alu instid0(SALU_CYCLE_1) | instskip(SKIP_1) | instid1(VALU_DEP_1)
	v_dual_mov_b32 v1, 24 :: v_dual_mov_b32 v2, s14
	s_and_not1_b32 vcc_lo, exec_lo, s13
	v_cndmask_b32_e64 v1, s20, v1, s2
	flat_load_b64 v[3:4], v[1:2]
	v_dual_mov_b32 v1, s22 :: v_dual_mov_b32 v2, s23
	s_cbranch_vccnz .LBB228_6
; %bb.5:
	v_dual_mov_b32 v1, s20 :: v_dual_mov_b32 v2, s21
	flat_load_b64 v[1:2], v[1:2] offset:8
.LBB228_6:
	s_load_b32 s33, s[0:1], 0x0
	s_mov_b32 s0, 0
	v_or_b32_e32 v25, 0xfffffc00, v0
	s_mov_b32 s1, s0
	s_delay_alu instid0(SALU_CYCLE_1) | instskip(SKIP_3) | instid1(VALU_DEP_2)
	v_dual_mov_b32 v10, s1 :: v_dual_lshlrev_b32 v11, 4, v0
	v_lshl_add_u32 v26, v0, 2, 0
	s_mov_b32 s20, s0
	s_mov_b32 s21, s0
	v_add3_u32 v27, v11, 0, 0x2000
	v_dual_mov_b32 v11, s20 :: v_dual_mov_b32 v14, v25
	v_dual_mov_b32 v9, s0 :: v_dual_mov_b32 v12, s21
	s_delay_alu instid0(VALU_DEP_3)
	v_dual_mov_b32 v13, v26 :: v_dual_mov_b32 v16, v27
	s_waitcnt lgkmcnt(0)
	v_mov_b32_e32 v15, s33
.LBB228_7:                              ; =>This Inner Loop Header: Depth=1
	v_add_co_u32 v14, s1, 0x400, v14
	s_delay_alu instid0(VALU_DEP_1)
	s_xor_b32 s1, s1, -1
	ds_store_b32 v13, v15
	ds_store_2addr_b64 v16, v[9:10], v[11:12] offset1:1
	v_add_nc_u32_e32 v16, 0x4000, v16
	v_add_nc_u32_e32 v13, 0x1000, v13
	s_and_b32 s1, exec_lo, s1
	s_delay_alu instid0(SALU_CYCLE_1) | instskip(NEXT) | instid1(SALU_CYCLE_1)
	s_or_b32 s0, s1, s0
	s_and_not1_b32 exec_lo, exec_lo, s0
	s_cbranch_execnz .LBB228_7
; %bb.8:
	s_or_b32 exec_lo, exec_lo, s0
	s_waitcnt vmcnt(0) lgkmcnt(0)
	s_waitcnt_vscnt null, 0x0
	s_barrier
	buffer_gl0_inv
	s_load_b32 s0, s[24:25], 0x0
	s_mov_b32 s1, 0
	v_lshrrev_b32_e32 v28, 5, v0
	s_waitcnt lgkmcnt(0)
	s_add_i32 s0, s0, s15
	s_delay_alu instid0(SALU_CYCLE_1) | instskip(NEXT) | instid1(SALU_CYCLE_1)
	s_lshl_b64 s[0:1], s[0:1], 2
	s_add_u32 s0, s26, s0
	s_addc_u32 s1, s27, s1
	s_and_b32 vcc_lo, exec_lo, s12
	s_load_b32 s48, s[0:1], 0x0
	s_cbranch_vccz .LBB228_36
; %bb.9:
	s_waitcnt lgkmcnt(0)
	s_ashr_i32 s49, s48, 31
	s_mov_b32 s2, exec_lo
	s_lshl_b64 s[0:1], s[48:49], 3
	s_delay_alu instid0(SALU_CYCLE_1) | instskip(SKIP_3) | instid1(VALU_DEP_1)
	s_add_u32 s0, s4, s0
	s_addc_u32 s1, s5, s1
	s_load_b128 s[12:15], s[0:1], 0x0
	v_sub_co_u32 v9, s0, v28, s44
	v_sub_co_ci_u32_e64 v10, null, 0, 0, s0
	s_waitcnt lgkmcnt(0)
	s_delay_alu instid0(VALU_DEP_2) | instskip(NEXT) | instid1(VALU_DEP_2)
	v_add_co_u32 v9, vcc_lo, s12, v9
	v_add_co_ci_u32_e32 v10, vcc_lo, s13, v10, vcc_lo
	s_sub_u32 s0, s14, s44
	s_subb_u32 s1, s15, 0
	s_delay_alu instid0(VALU_DEP_1) | instid1(SALU_CYCLE_1)
	v_cmpx_gt_i64_e64 s[0:1], v[9:10]
	s_cbranch_execz .LBB228_35
; %bb.10:
	v_and_b32_e32 v11, 31, v0
	s_mov_b32 s5, s45
	s_delay_alu instid0(VALU_DEP_1) | instskip(NEXT) | instid1(VALU_DEP_1)
	v_sub_co_u32 v29, s4, v11, s45
	v_sub_co_ci_u32_e64 v30, null, 0, 0, s4
	s_mov_b32 s4, 0
	s_branch .LBB228_12
.LBB228_11:                             ;   in Loop: Header=BB228_12 Depth=1
	s_or_b32 exec_lo, exec_lo, s12
	v_add_co_u32 v9, vcc_lo, v9, 32
	v_add_co_ci_u32_e32 v10, vcc_lo, 0, v10, vcc_lo
	s_delay_alu instid0(VALU_DEP_1) | instskip(SKIP_1) | instid1(SALU_CYCLE_1)
	v_cmp_le_i64_e32 vcc_lo, s[0:1], v[9:10]
	s_or_b32 s4, vcc_lo, s4
	s_and_not1_b32 exec_lo, exec_lo, s4
	s_cbranch_execz .LBB228_35
.LBB228_12:                             ; =>This Loop Header: Depth=1
                                        ;     Child Loop BB228_15 Depth 2
                                        ;       Child Loop BB228_17 Depth 3
                                        ;         Child Loop BB228_23 Depth 4
                                        ;         Child Loop BB228_25 Depth 4
	;; [unrolled: 1-line block ×4, first 2 shown]
	v_lshlrev_b64 v[11:12], 2, v[9:10]
	s_mov_b32 s12, exec_lo
	s_delay_alu instid0(VALU_DEP_1) | instskip(NEXT) | instid1(VALU_DEP_2)
	v_add_co_u32 v11, vcc_lo, s6, v11
	v_add_co_ci_u32_e32 v12, vcc_lo, s7, v12, vcc_lo
	global_load_b32 v11, v[11:12], off
	s_waitcnt vmcnt(0)
	v_subrev_nc_u32_e32 v11, s44, v11
	s_delay_alu instid0(VALU_DEP_1) | instskip(NEXT) | instid1(VALU_DEP_1)
	v_ashrrev_i32_e32 v12, 31, v11
	v_lshlrev_b64 v[11:12], 3, v[11:12]
	s_delay_alu instid0(VALU_DEP_1) | instskip(NEXT) | instid1(VALU_DEP_2)
	v_add_co_u32 v11, vcc_lo, s10, v11
	v_add_co_ci_u32_e32 v12, vcc_lo, s11, v12, vcc_lo
	global_load_b128 v[13:16], v[11:12], off
	s_waitcnt vmcnt(0)
	v_sub_co_u32 v11, vcc_lo, v15, s5
	v_subrev_co_ci_u32_e32 v12, vcc_lo, 0, v16, vcc_lo
	v_add_co_u32 v13, vcc_lo, v13, v29
	v_add_co_ci_u32_e32 v14, vcc_lo, v14, v30, vcc_lo
	s_delay_alu instid0(VALU_DEP_1)
	v_cmpx_lt_i64_e64 v[13:14], v[11:12]
	s_cbranch_execz .LBB228_11
; %bb.13:                               ;   in Loop: Header=BB228_12 Depth=1
	v_lshlrev_b64 v[15:16], 4, v[9:10]
	s_mov_b32 s13, 0
	s_delay_alu instid0(VALU_DEP_1) | instskip(NEXT) | instid1(VALU_DEP_2)
	v_add_co_u32 v15, vcc_lo, s8, v15
	v_add_co_ci_u32_e32 v16, vcc_lo, s9, v16, vcc_lo
	global_load_b128 v[17:20], v[15:16], off
	s_waitcnt vmcnt(0)
	v_mul_f64 v[15:16], v[19:20], -v[7:8]
	v_mul_f64 v[19:20], v[5:6], v[19:20]
	s_delay_alu instid0(VALU_DEP_2) | instskip(NEXT) | instid1(VALU_DEP_2)
	v_fma_f64 v[15:16], v[5:6], v[17:18], v[15:16]
	v_fma_f64 v[17:18], v[7:8], v[17:18], v[19:20]
	s_branch .LBB228_15
.LBB228_14:                             ;   in Loop: Header=BB228_15 Depth=2
	s_or_b32 exec_lo, exec_lo, s14
	v_add_co_u32 v13, vcc_lo, v13, 32
	v_add_co_ci_u32_e32 v14, vcc_lo, 0, v14, vcc_lo
	s_delay_alu instid0(VALU_DEP_1) | instskip(SKIP_1) | instid1(SALU_CYCLE_1)
	v_cmp_ge_i64_e32 vcc_lo, v[13:14], v[11:12]
	s_or_b32 s13, vcc_lo, s13
	s_and_not1_b32 exec_lo, exec_lo, s13
	s_cbranch_execz .LBB228_11
.LBB228_15:                             ;   Parent Loop BB228_12 Depth=1
                                        ; =>  This Loop Header: Depth=2
                                        ;       Child Loop BB228_17 Depth 3
                                        ;         Child Loop BB228_23 Depth 4
                                        ;         Child Loop BB228_25 Depth 4
	;; [unrolled: 1-line block ×4, first 2 shown]
	v_lshlrev_b64 v[19:20], 4, v[13:14]
	s_mov_b32 s14, 0
	s_delay_alu instid0(VALU_DEP_1) | instskip(NEXT) | instid1(VALU_DEP_2)
	v_add_co_u32 v19, vcc_lo, s18, v19
	v_add_co_ci_u32_e32 v20, vcc_lo, s19, v20, vcc_lo
	global_load_b128 v[21:24], v[19:20], off
	v_lshlrev_b64 v[19:20], 2, v[13:14]
	s_delay_alu instid0(VALU_DEP_1) | instskip(NEXT) | instid1(VALU_DEP_2)
	v_add_co_u32 v19, vcc_lo, s16, v19
	v_add_co_ci_u32_e32 v20, vcc_lo, s17, v20, vcc_lo
	global_load_b32 v31, v[19:20], off
	s_waitcnt vmcnt(1)
	v_mul_f64 v[19:20], v[23:24], -v[17:18]
	v_mul_f64 v[23:24], v[15:16], v[23:24]
	s_waitcnt vmcnt(0)
	v_subrev_nc_u32_e32 v31, s45, v31
	s_delay_alu instid0(VALU_DEP_3) | instskip(NEXT) | instid1(VALU_DEP_3)
	v_fma_f64 v[19:20], v[15:16], v[21:22], v[19:20]
	v_fma_f64 v[21:22], v[17:18], v[21:22], v[23:24]
	s_delay_alu instid0(VALU_DEP_3) | instskip(NEXT) | instid1(VALU_DEP_1)
	v_mul_lo_u32 v23, 0x89, v31
	v_and_b32_e32 v32, 0x7ff, v23
	s_branch .LBB228_17
.LBB228_16:                             ;   in Loop: Header=BB228_17 Depth=3
	s_or_b32 exec_lo, exec_lo, s15
	s_xor_b32 s15, s20, -1
	s_delay_alu instid0(SALU_CYCLE_1) | instskip(NEXT) | instid1(SALU_CYCLE_1)
	s_and_b32 s15, exec_lo, s15
	s_or_b32 s14, s15, s14
	s_delay_alu instid0(SALU_CYCLE_1)
	s_and_not1_b32 exec_lo, exec_lo, s14
	s_cbranch_execz .LBB228_14
.LBB228_17:                             ;   Parent Loop BB228_12 Depth=1
                                        ;     Parent Loop BB228_15 Depth=2
                                        ; =>    This Loop Header: Depth=3
                                        ;         Child Loop BB228_23 Depth 4
                                        ;         Child Loop BB228_25 Depth 4
	;; [unrolled: 1-line block ×4, first 2 shown]
	s_delay_alu instid0(VALU_DEP_1)
	v_lshl_add_u32 v23, v32, 2, 0
	s_mov_b32 s15, exec_lo
                                        ; implicit-def: $sgpr20
	ds_load_b32 v24, v23
	s_waitcnt lgkmcnt(0)
	v_cmpx_ne_u32_e64 v24, v31
	s_xor_b32 s15, exec_lo, s15
	s_cbranch_execz .LBB228_29
; %bb.18:                               ;   in Loop: Header=BB228_17 Depth=3
	s_mov_b32 s21, exec_lo
                                        ; implicit-def: $sgpr20
	v_cmpx_ne_u32_e64 s33, v24
	s_xor_b32 s21, exec_lo, s21
; %bb.19:                               ;   in Loop: Header=BB228_17 Depth=3
	v_add_nc_u32_e32 v23, 1, v32
	s_mov_b32 s20, -1
	s_delay_alu instid0(VALU_DEP_1)
	v_and_b32_e32 v32, 0x7ff, v23
                                        ; implicit-def: $vgpr23
; %bb.20:                               ;   in Loop: Header=BB228_17 Depth=3
	s_and_not1_saveexec_b32 s21, s21
	s_cbranch_execz .LBB228_28
; %bb.21:                               ;   in Loop: Header=BB228_17 Depth=3
	v_mov_b32_e32 v24, s33
	s_mov_b32 s23, -1
	s_mov_b32 s22, exec_lo
	ds_cmpstore_rtn_b32 v24, v23, v31, v24
	s_waitcnt lgkmcnt(0)
	v_cmpx_eq_u32_e64 s33, v24
	s_cbranch_execz .LBB228_27
; %bb.22:                               ;   in Loop: Header=BB228_17 Depth=3
	v_mul_lo_u32 v24, v32, 12
	s_mov_b32 s23, 0
	s_delay_alu instid0(VALU_DEP_1)
	v_add_nc_u32_e32 v33, v23, v24
	ds_load_b64 v[23:24], v33 offset:8192
.LBB228_23:                             ;   Parent Loop BB228_12 Depth=1
                                        ;     Parent Loop BB228_15 Depth=2
                                        ;       Parent Loop BB228_17 Depth=3
                                        ; =>      This Inner Loop Header: Depth=4
	s_waitcnt lgkmcnt(0)
	v_add_f64 v[34:35], v[23:24], v[19:20]
	ds_cmpstore_rtn_b64 v[34:35], v33, v[34:35], v[23:24] offset:8192
	s_waitcnt lgkmcnt(0)
	v_cmp_eq_u64_e32 vcc_lo, v[34:35], v[23:24]
	v_dual_mov_b32 v23, v34 :: v_dual_mov_b32 v24, v35
	s_or_b32 s23, vcc_lo, s23
	s_delay_alu instid0(SALU_CYCLE_1)
	s_and_not1_b32 exec_lo, exec_lo, s23
	s_cbranch_execnz .LBB228_23
; %bb.24:                               ;   in Loop: Header=BB228_17 Depth=3
	s_or_b32 exec_lo, exec_lo, s23
	ds_load_b64 v[23:24], v33 offset:8200
	s_mov_b32 s23, 0
.LBB228_25:                             ;   Parent Loop BB228_12 Depth=1
                                        ;     Parent Loop BB228_15 Depth=2
                                        ;       Parent Loop BB228_17 Depth=3
                                        ; =>      This Inner Loop Header: Depth=4
	s_waitcnt lgkmcnt(0)
	v_add_f64 v[34:35], v[23:24], v[21:22]
	ds_cmpstore_rtn_b64 v[34:35], v33, v[34:35], v[23:24] offset:8200
	s_waitcnt lgkmcnt(0)
	v_cmp_eq_u64_e32 vcc_lo, v[34:35], v[23:24]
	v_dual_mov_b32 v23, v34 :: v_dual_mov_b32 v24, v35
	s_or_b32 s23, vcc_lo, s23
	s_delay_alu instid0(SALU_CYCLE_1)
	s_and_not1_b32 exec_lo, exec_lo, s23
	s_cbranch_execnz .LBB228_25
; %bb.26:                               ;   in Loop: Header=BB228_17 Depth=3
	s_or_b32 exec_lo, exec_lo, s23
	s_delay_alu instid0(SALU_CYCLE_1)
	s_xor_b32 s23, exec_lo, -1
.LBB228_27:                             ;   in Loop: Header=BB228_17 Depth=3
	s_or_b32 exec_lo, exec_lo, s22
	s_delay_alu instid0(SALU_CYCLE_1) | instskip(SKIP_1) | instid1(SALU_CYCLE_1)
	s_and_not1_b32 s20, s20, exec_lo
	s_and_b32 s22, s23, exec_lo
	s_or_b32 s20, s20, s22
.LBB228_28:                             ;   in Loop: Header=BB228_17 Depth=3
	s_or_b32 exec_lo, exec_lo, s21
	s_delay_alu instid0(SALU_CYCLE_1)
	s_and_b32 s20, s20, exec_lo
                                        ; implicit-def: $vgpr23
.LBB228_29:                             ;   in Loop: Header=BB228_17 Depth=3
	s_and_not1_saveexec_b32 s15, s15
	s_cbranch_execz .LBB228_16
; %bb.30:                               ;   in Loop: Header=BB228_17 Depth=3
	v_mul_lo_u32 v24, v32, 12
	s_mov_b32 s21, 0
	s_delay_alu instid0(VALU_DEP_1)
	v_add_nc_u32_e32 v33, v23, v24
	ds_load_b64 v[23:24], v33 offset:8192
.LBB228_31:                             ;   Parent Loop BB228_12 Depth=1
                                        ;     Parent Loop BB228_15 Depth=2
                                        ;       Parent Loop BB228_17 Depth=3
                                        ; =>      This Inner Loop Header: Depth=4
	s_waitcnt lgkmcnt(0)
	v_add_f64 v[34:35], v[23:24], v[19:20]
	ds_cmpstore_rtn_b64 v[34:35], v33, v[34:35], v[23:24] offset:8192
	s_waitcnt lgkmcnt(0)
	v_cmp_eq_u64_e32 vcc_lo, v[34:35], v[23:24]
	v_dual_mov_b32 v23, v34 :: v_dual_mov_b32 v24, v35
	s_or_b32 s21, vcc_lo, s21
	s_delay_alu instid0(SALU_CYCLE_1)
	s_and_not1_b32 exec_lo, exec_lo, s21
	s_cbranch_execnz .LBB228_31
; %bb.32:                               ;   in Loop: Header=BB228_17 Depth=3
	s_or_b32 exec_lo, exec_lo, s21
	ds_load_b64 v[23:24], v33 offset:8200
	s_mov_b32 s21, 0
.LBB228_33:                             ;   Parent Loop BB228_12 Depth=1
                                        ;     Parent Loop BB228_15 Depth=2
                                        ;       Parent Loop BB228_17 Depth=3
                                        ; =>      This Inner Loop Header: Depth=4
	s_waitcnt lgkmcnt(0)
	v_add_f64 v[34:35], v[23:24], v[21:22]
	ds_cmpstore_rtn_b64 v[34:35], v33, v[34:35], v[23:24] offset:8200
	s_waitcnt lgkmcnt(0)
	v_cmp_eq_u64_e32 vcc_lo, v[34:35], v[23:24]
	v_dual_mov_b32 v23, v34 :: v_dual_mov_b32 v24, v35
	s_or_b32 s21, vcc_lo, s21
	s_delay_alu instid0(SALU_CYCLE_1)
	s_and_not1_b32 exec_lo, exec_lo, s21
	s_cbranch_execnz .LBB228_33
; %bb.34:                               ;   in Loop: Header=BB228_17 Depth=3
	s_or_b32 exec_lo, exec_lo, s21
	s_delay_alu instid0(SALU_CYCLE_1)
	s_and_not1_b32 s20, s20, exec_lo
	s_branch .LBB228_16
.LBB228_35:
	s_or_b32 exec_lo, exec_lo, s2
.LBB228_36:
	s_delay_alu instid0(SALU_CYCLE_1)
	s_and_not1_b32 vcc_lo, exec_lo, s3
	s_cbranch_vccnz .LBB228_39
; %bb.37:
	s_waitcnt lgkmcnt(0)
	s_ashr_i32 s49, s48, 31
	v_sub_co_u32 v5, s4, v0, s47
	s_lshl_b64 s[0:1], s[48:49], 3
	v_sub_co_ci_u32_e64 v6, null, 0, 0, s4
	s_add_u32 s0, s36, s0
	s_addc_u32 s1, s37, s1
	s_load_b128 s[0:3], s[0:1], 0x0
	s_waitcnt lgkmcnt(0)
	v_add_co_u32 v5, vcc_lo, s0, v5
	v_add_co_ci_u32_e32 v6, vcc_lo, s1, v6, vcc_lo
	s_sub_u32 s0, s2, s47
	s_subb_u32 s1, s3, 0
	s_mov_b32 s3, 0
	s_mov_b32 s2, exec_lo
	v_cmpx_gt_i64_e64 s[0:1], v[5:6]
	s_cbranch_execnz .LBB228_108
.LBB228_38:
	s_or_b32 exec_lo, exec_lo, s2
.LBB228_39:
	v_mbcnt_lo_u32_b32 v1, -1, 0
	v_lshl_add_u32 v3, v28, 2, 0
	v_cmp_eq_u32_e32 vcc_lo, 0x3ff, v0
	v_cmp_lt_u32_e64 s0, 31, v0
	v_cmp_lt_u32_e64 s1, 63, v0
	v_xor_b32_e32 v1, 63, v1
	v_cmp_lt_u32_e64 s2, 0x5f, v0
	v_cmp_lt_u32_e64 s3, 0x7f, v0
	v_cmp_lt_u32_e64 s4, 0x9f, v0
	v_cmp_lt_u32_e64 s5, 0xbf, v0
	v_lshrrev_b64 v[1:2], v1, -1
	v_cmp_lt_u32_e64 s6, 0xdf, v0
	v_cmp_lt_u32_e64 s7, 0xff, v0
	;; [unrolled: 1-line block ×25, first 2 shown]
	v_mov_b32_e32 v2, 0
	v_mov_b32_e32 v4, 0
	s_mov_b32 s36, 0
	s_waitcnt lgkmcnt(0)
	s_barrier
	buffer_gl0_inv
	s_branch .LBB228_41
.LBB228_40:                             ;   in Loop: Header=BB228_41 Depth=1
	s_or_b32 exec_lo, exec_lo, s31
	s_waitcnt lgkmcnt(0)
	s_barrier
	buffer_gl0_inv
	ds_load_b32 v5, v2 offset:41084
	v_add_co_u32 v25, s31, 0x400, v25
	s_delay_alu instid0(VALU_DEP_1) | instskip(SKIP_3) | instid1(SALU_CYCLE_1)
	s_xor_b32 s31, s31, -1
	v_add_nc_u32_e32 v27, 0x4000, v27
	v_add_nc_u32_e32 v26, 0x1000, v26
	s_and_b32 s31, exec_lo, s31
	s_or_b32 s36, s31, s36
	s_waitcnt lgkmcnt(0)
	v_add_nc_u32_e32 v4, v5, v4
	s_and_not1_b32 exec_lo, exec_lo, s36
	s_cbranch_execz .LBB228_128
.LBB228_41:                             ; =>This Inner Loop Header: Depth=1
	ds_load_b32 v5, v26
	ds_load_2addr_b64 v[6:9], v27 offset1:1
	s_waitcnt lgkmcnt(1)
	v_cmp_gt_i32_e64 s31, s33, v5
	s_waitcnt lgkmcnt(0)
	scratch_store_b128 off, v[6:9], off
	s_waitcnt_vscnt null, 0x0
	s_barrier
	buffer_gl0_inv
	s_bcnt1_i32_b32 s37, s31
	s_delay_alu instid0(SALU_CYCLE_1) | instskip(NEXT) | instid1(VALU_DEP_1)
	v_dual_mov_b32 v7, s37 :: v_dual_and_b32 v6, s31, v1
	v_bcnt_u32_b32 v6, v6, 0
	ds_store_b32 v3, v7 offset:40960
	s_waitcnt lgkmcnt(0)
	s_barrier
	buffer_gl0_inv
	s_and_saveexec_b32 s37, s0
	s_cbranch_execnz .LBB228_74
; %bb.42:                               ;   in Loop: Header=BB228_41 Depth=1
	s_or_b32 exec_lo, exec_lo, s37
	s_and_saveexec_b32 s37, s1
	s_cbranch_execnz .LBB228_75
.LBB228_43:                             ;   in Loop: Header=BB228_41 Depth=1
	s_or_b32 exec_lo, exec_lo, s37
	s_and_saveexec_b32 s37, s2
	s_cbranch_execnz .LBB228_76
.LBB228_44:                             ;   in Loop: Header=BB228_41 Depth=1
	s_or_b32 exec_lo, exec_lo, s37
	s_and_saveexec_b32 s37, s3
	s_cbranch_execnz .LBB228_77
.LBB228_45:                             ;   in Loop: Header=BB228_41 Depth=1
	s_or_b32 exec_lo, exec_lo, s37
	s_and_saveexec_b32 s37, s4
	s_cbranch_execnz .LBB228_78
.LBB228_46:                             ;   in Loop: Header=BB228_41 Depth=1
	s_or_b32 exec_lo, exec_lo, s37
	s_and_saveexec_b32 s37, s5
	s_cbranch_execnz .LBB228_79
.LBB228_47:                             ;   in Loop: Header=BB228_41 Depth=1
	s_or_b32 exec_lo, exec_lo, s37
	s_and_saveexec_b32 s37, s6
	s_cbranch_execnz .LBB228_80
.LBB228_48:                             ;   in Loop: Header=BB228_41 Depth=1
	s_or_b32 exec_lo, exec_lo, s37
	s_and_saveexec_b32 s37, s7
	s_cbranch_execnz .LBB228_81
.LBB228_49:                             ;   in Loop: Header=BB228_41 Depth=1
	s_or_b32 exec_lo, exec_lo, s37
	s_and_saveexec_b32 s37, s8
	s_cbranch_execnz .LBB228_82
.LBB228_50:                             ;   in Loop: Header=BB228_41 Depth=1
	s_or_b32 exec_lo, exec_lo, s37
	s_and_saveexec_b32 s37, s9
	s_cbranch_execnz .LBB228_83
.LBB228_51:                             ;   in Loop: Header=BB228_41 Depth=1
	s_or_b32 exec_lo, exec_lo, s37
	s_and_saveexec_b32 s37, s10
	s_cbranch_execnz .LBB228_84
.LBB228_52:                             ;   in Loop: Header=BB228_41 Depth=1
	s_or_b32 exec_lo, exec_lo, s37
	s_and_saveexec_b32 s37, s11
	s_cbranch_execnz .LBB228_85
.LBB228_53:                             ;   in Loop: Header=BB228_41 Depth=1
	s_or_b32 exec_lo, exec_lo, s37
	s_and_saveexec_b32 s37, s12
	s_cbranch_execnz .LBB228_86
.LBB228_54:                             ;   in Loop: Header=BB228_41 Depth=1
	s_or_b32 exec_lo, exec_lo, s37
	s_and_saveexec_b32 s37, s13
	s_cbranch_execnz .LBB228_87
.LBB228_55:                             ;   in Loop: Header=BB228_41 Depth=1
	s_or_b32 exec_lo, exec_lo, s37
	s_and_saveexec_b32 s37, s14
	s_cbranch_execnz .LBB228_88
.LBB228_56:                             ;   in Loop: Header=BB228_41 Depth=1
	s_or_b32 exec_lo, exec_lo, s37
	s_and_saveexec_b32 s37, s15
	s_cbranch_execnz .LBB228_89
.LBB228_57:                             ;   in Loop: Header=BB228_41 Depth=1
	s_or_b32 exec_lo, exec_lo, s37
	s_and_saveexec_b32 s37, s16
	s_cbranch_execnz .LBB228_90
.LBB228_58:                             ;   in Loop: Header=BB228_41 Depth=1
	s_or_b32 exec_lo, exec_lo, s37
	s_and_saveexec_b32 s37, s17
	s_cbranch_execnz .LBB228_91
.LBB228_59:                             ;   in Loop: Header=BB228_41 Depth=1
	s_or_b32 exec_lo, exec_lo, s37
	s_and_saveexec_b32 s37, s18
	s_cbranch_execnz .LBB228_92
.LBB228_60:                             ;   in Loop: Header=BB228_41 Depth=1
	s_or_b32 exec_lo, exec_lo, s37
	s_and_saveexec_b32 s37, s19
	s_cbranch_execnz .LBB228_93
.LBB228_61:                             ;   in Loop: Header=BB228_41 Depth=1
	s_or_b32 exec_lo, exec_lo, s37
	s_and_saveexec_b32 s37, s20
	s_cbranch_execnz .LBB228_94
.LBB228_62:                             ;   in Loop: Header=BB228_41 Depth=1
	s_or_b32 exec_lo, exec_lo, s37
	s_and_saveexec_b32 s37, s21
	s_cbranch_execnz .LBB228_95
.LBB228_63:                             ;   in Loop: Header=BB228_41 Depth=1
	s_or_b32 exec_lo, exec_lo, s37
	s_and_saveexec_b32 s37, s22
	s_cbranch_execnz .LBB228_96
.LBB228_64:                             ;   in Loop: Header=BB228_41 Depth=1
	s_or_b32 exec_lo, exec_lo, s37
	s_and_saveexec_b32 s37, s23
	s_cbranch_execnz .LBB228_97
.LBB228_65:                             ;   in Loop: Header=BB228_41 Depth=1
	s_or_b32 exec_lo, exec_lo, s37
	s_and_saveexec_b32 s37, s24
	s_cbranch_execnz .LBB228_98
.LBB228_66:                             ;   in Loop: Header=BB228_41 Depth=1
	s_or_b32 exec_lo, exec_lo, s37
	s_and_saveexec_b32 s37, s25
	s_cbranch_execnz .LBB228_99
.LBB228_67:                             ;   in Loop: Header=BB228_41 Depth=1
	s_or_b32 exec_lo, exec_lo, s37
	s_and_saveexec_b32 s37, s26
	s_cbranch_execnz .LBB228_100
.LBB228_68:                             ;   in Loop: Header=BB228_41 Depth=1
	s_or_b32 exec_lo, exec_lo, s37
	s_and_saveexec_b32 s37, s27
	s_cbranch_execnz .LBB228_101
.LBB228_69:                             ;   in Loop: Header=BB228_41 Depth=1
	s_or_b32 exec_lo, exec_lo, s37
	s_and_saveexec_b32 s37, s28
	s_cbranch_execnz .LBB228_102
.LBB228_70:                             ;   in Loop: Header=BB228_41 Depth=1
	s_or_b32 exec_lo, exec_lo, s37
	s_and_saveexec_b32 s37, s29
	s_cbranch_execnz .LBB228_103
.LBB228_71:                             ;   in Loop: Header=BB228_41 Depth=1
	s_or_b32 exec_lo, exec_lo, s37
	s_and_saveexec_b32 s37, s30
	s_cbranch_execnz .LBB228_104
.LBB228_72:                             ;   in Loop: Header=BB228_41 Depth=1
	s_or_b32 exec_lo, exec_lo, s37
	s_and_saveexec_b32 s37, s31
	s_cbranch_execnz .LBB228_105
.LBB228_73:                             ;   in Loop: Header=BB228_41 Depth=1
	s_or_b32 exec_lo, exec_lo, s37
	s_and_saveexec_b32 s31, vcc_lo
	s_cbranch_execz .LBB228_40
	s_branch .LBB228_106
.LBB228_74:                             ;   in Loop: Header=BB228_41 Depth=1
	ds_load_b32 v7, v2 offset:40960
	s_waitcnt lgkmcnt(0)
	v_add_nc_u32_e32 v6, v7, v6
	s_or_b32 exec_lo, exec_lo, s37
	s_and_saveexec_b32 s37, s1
	s_cbranch_execz .LBB228_43
.LBB228_75:                             ;   in Loop: Header=BB228_41 Depth=1
	ds_load_b32 v7, v2 offset:40964
	s_waitcnt lgkmcnt(0)
	v_add_nc_u32_e32 v6, v7, v6
	s_or_b32 exec_lo, exec_lo, s37
	s_and_saveexec_b32 s37, s2
	s_cbranch_execz .LBB228_44
.LBB228_76:                             ;   in Loop: Header=BB228_41 Depth=1
	ds_load_b32 v7, v2 offset:40968
	s_waitcnt lgkmcnt(0)
	v_add_nc_u32_e32 v6, v7, v6
	s_or_b32 exec_lo, exec_lo, s37
	s_and_saveexec_b32 s37, s3
	s_cbranch_execz .LBB228_45
.LBB228_77:                             ;   in Loop: Header=BB228_41 Depth=1
	ds_load_b32 v7, v2 offset:40972
	s_waitcnt lgkmcnt(0)
	v_add_nc_u32_e32 v6, v7, v6
	s_or_b32 exec_lo, exec_lo, s37
	s_and_saveexec_b32 s37, s4
	s_cbranch_execz .LBB228_46
.LBB228_78:                             ;   in Loop: Header=BB228_41 Depth=1
	ds_load_b32 v7, v2 offset:40976
	s_waitcnt lgkmcnt(0)
	v_add_nc_u32_e32 v6, v7, v6
	s_or_b32 exec_lo, exec_lo, s37
	s_and_saveexec_b32 s37, s5
	s_cbranch_execz .LBB228_47
.LBB228_79:                             ;   in Loop: Header=BB228_41 Depth=1
	ds_load_b32 v7, v2 offset:40980
	s_waitcnt lgkmcnt(0)
	v_add_nc_u32_e32 v6, v7, v6
	s_or_b32 exec_lo, exec_lo, s37
	s_and_saveexec_b32 s37, s6
	s_cbranch_execz .LBB228_48
.LBB228_80:                             ;   in Loop: Header=BB228_41 Depth=1
	ds_load_b32 v7, v2 offset:40984
	s_waitcnt lgkmcnt(0)
	v_add_nc_u32_e32 v6, v7, v6
	s_or_b32 exec_lo, exec_lo, s37
	s_and_saveexec_b32 s37, s7
	s_cbranch_execz .LBB228_49
.LBB228_81:                             ;   in Loop: Header=BB228_41 Depth=1
	ds_load_b32 v7, v2 offset:40988
	s_waitcnt lgkmcnt(0)
	v_add_nc_u32_e32 v6, v7, v6
	s_or_b32 exec_lo, exec_lo, s37
	s_and_saveexec_b32 s37, s8
	s_cbranch_execz .LBB228_50
.LBB228_82:                             ;   in Loop: Header=BB228_41 Depth=1
	ds_load_b32 v7, v2 offset:40992
	s_waitcnt lgkmcnt(0)
	v_add_nc_u32_e32 v6, v7, v6
	s_or_b32 exec_lo, exec_lo, s37
	s_and_saveexec_b32 s37, s9
	s_cbranch_execz .LBB228_51
.LBB228_83:                             ;   in Loop: Header=BB228_41 Depth=1
	ds_load_b32 v7, v2 offset:40996
	s_waitcnt lgkmcnt(0)
	v_add_nc_u32_e32 v6, v7, v6
	s_or_b32 exec_lo, exec_lo, s37
	s_and_saveexec_b32 s37, s10
	s_cbranch_execz .LBB228_52
.LBB228_84:                             ;   in Loop: Header=BB228_41 Depth=1
	ds_load_b32 v7, v2 offset:41000
	s_waitcnt lgkmcnt(0)
	v_add_nc_u32_e32 v6, v7, v6
	s_or_b32 exec_lo, exec_lo, s37
	s_and_saveexec_b32 s37, s11
	s_cbranch_execz .LBB228_53
.LBB228_85:                             ;   in Loop: Header=BB228_41 Depth=1
	ds_load_b32 v7, v2 offset:41004
	s_waitcnt lgkmcnt(0)
	v_add_nc_u32_e32 v6, v7, v6
	s_or_b32 exec_lo, exec_lo, s37
	s_and_saveexec_b32 s37, s12
	s_cbranch_execz .LBB228_54
.LBB228_86:                             ;   in Loop: Header=BB228_41 Depth=1
	ds_load_b32 v7, v2 offset:41008
	s_waitcnt lgkmcnt(0)
	v_add_nc_u32_e32 v6, v7, v6
	s_or_b32 exec_lo, exec_lo, s37
	s_and_saveexec_b32 s37, s13
	s_cbranch_execz .LBB228_55
.LBB228_87:                             ;   in Loop: Header=BB228_41 Depth=1
	ds_load_b32 v7, v2 offset:41012
	s_waitcnt lgkmcnt(0)
	v_add_nc_u32_e32 v6, v7, v6
	s_or_b32 exec_lo, exec_lo, s37
	s_and_saveexec_b32 s37, s14
	s_cbranch_execz .LBB228_56
.LBB228_88:                             ;   in Loop: Header=BB228_41 Depth=1
	ds_load_b32 v7, v2 offset:41016
	s_waitcnt lgkmcnt(0)
	v_add_nc_u32_e32 v6, v7, v6
	s_or_b32 exec_lo, exec_lo, s37
	s_and_saveexec_b32 s37, s15
	s_cbranch_execz .LBB228_57
.LBB228_89:                             ;   in Loop: Header=BB228_41 Depth=1
	ds_load_b32 v7, v2 offset:41020
	s_waitcnt lgkmcnt(0)
	v_add_nc_u32_e32 v6, v7, v6
	s_or_b32 exec_lo, exec_lo, s37
	s_and_saveexec_b32 s37, s16
	s_cbranch_execz .LBB228_58
.LBB228_90:                             ;   in Loop: Header=BB228_41 Depth=1
	ds_load_b32 v7, v2 offset:41024
	s_waitcnt lgkmcnt(0)
	v_add_nc_u32_e32 v6, v7, v6
	s_or_b32 exec_lo, exec_lo, s37
	s_and_saveexec_b32 s37, s17
	s_cbranch_execz .LBB228_59
.LBB228_91:                             ;   in Loop: Header=BB228_41 Depth=1
	ds_load_b32 v7, v2 offset:41028
	s_waitcnt lgkmcnt(0)
	v_add_nc_u32_e32 v6, v7, v6
	s_or_b32 exec_lo, exec_lo, s37
	s_and_saveexec_b32 s37, s18
	s_cbranch_execz .LBB228_60
.LBB228_92:                             ;   in Loop: Header=BB228_41 Depth=1
	ds_load_b32 v7, v2 offset:41032
	s_waitcnt lgkmcnt(0)
	v_add_nc_u32_e32 v6, v7, v6
	s_or_b32 exec_lo, exec_lo, s37
	s_and_saveexec_b32 s37, s19
	s_cbranch_execz .LBB228_61
.LBB228_93:                             ;   in Loop: Header=BB228_41 Depth=1
	ds_load_b32 v7, v2 offset:41036
	s_waitcnt lgkmcnt(0)
	v_add_nc_u32_e32 v6, v7, v6
	s_or_b32 exec_lo, exec_lo, s37
	s_and_saveexec_b32 s37, s20
	s_cbranch_execz .LBB228_62
.LBB228_94:                             ;   in Loop: Header=BB228_41 Depth=1
	ds_load_b32 v7, v2 offset:41040
	s_waitcnt lgkmcnt(0)
	v_add_nc_u32_e32 v6, v7, v6
	s_or_b32 exec_lo, exec_lo, s37
	s_and_saveexec_b32 s37, s21
	s_cbranch_execz .LBB228_63
.LBB228_95:                             ;   in Loop: Header=BB228_41 Depth=1
	ds_load_b32 v7, v2 offset:41044
	s_waitcnt lgkmcnt(0)
	v_add_nc_u32_e32 v6, v7, v6
	s_or_b32 exec_lo, exec_lo, s37
	s_and_saveexec_b32 s37, s22
	s_cbranch_execz .LBB228_64
.LBB228_96:                             ;   in Loop: Header=BB228_41 Depth=1
	ds_load_b32 v7, v2 offset:41048
	s_waitcnt lgkmcnt(0)
	v_add_nc_u32_e32 v6, v7, v6
	s_or_b32 exec_lo, exec_lo, s37
	s_and_saveexec_b32 s37, s23
	s_cbranch_execz .LBB228_65
.LBB228_97:                             ;   in Loop: Header=BB228_41 Depth=1
	ds_load_b32 v7, v2 offset:41052
	s_waitcnt lgkmcnt(0)
	v_add_nc_u32_e32 v6, v7, v6
	s_or_b32 exec_lo, exec_lo, s37
	s_and_saveexec_b32 s37, s24
	s_cbranch_execz .LBB228_66
.LBB228_98:                             ;   in Loop: Header=BB228_41 Depth=1
	ds_load_b32 v7, v2 offset:41056
	s_waitcnt lgkmcnt(0)
	v_add_nc_u32_e32 v6, v7, v6
	s_or_b32 exec_lo, exec_lo, s37
	s_and_saveexec_b32 s37, s25
	s_cbranch_execz .LBB228_67
.LBB228_99:                             ;   in Loop: Header=BB228_41 Depth=1
	ds_load_b32 v7, v2 offset:41060
	s_waitcnt lgkmcnt(0)
	v_add_nc_u32_e32 v6, v7, v6
	s_or_b32 exec_lo, exec_lo, s37
	s_and_saveexec_b32 s37, s26
	s_cbranch_execz .LBB228_68
.LBB228_100:                            ;   in Loop: Header=BB228_41 Depth=1
	ds_load_b32 v7, v2 offset:41064
	s_waitcnt lgkmcnt(0)
	v_add_nc_u32_e32 v6, v7, v6
	s_or_b32 exec_lo, exec_lo, s37
	s_and_saveexec_b32 s37, s27
	s_cbranch_execz .LBB228_69
.LBB228_101:                            ;   in Loop: Header=BB228_41 Depth=1
	ds_load_b32 v7, v2 offset:41068
	s_waitcnt lgkmcnt(0)
	v_add_nc_u32_e32 v6, v7, v6
	s_or_b32 exec_lo, exec_lo, s37
	s_and_saveexec_b32 s37, s28
	s_cbranch_execz .LBB228_70
.LBB228_102:                            ;   in Loop: Header=BB228_41 Depth=1
	ds_load_b32 v7, v2 offset:41072
	s_waitcnt lgkmcnt(0)
	v_add_nc_u32_e32 v6, v7, v6
	s_or_b32 exec_lo, exec_lo, s37
	s_and_saveexec_b32 s37, s29
	s_cbranch_execz .LBB228_71
.LBB228_103:                            ;   in Loop: Header=BB228_41 Depth=1
	ds_load_b32 v7, v2 offset:41076
	s_waitcnt lgkmcnt(0)
	v_add_nc_u32_e32 v6, v7, v6
	s_or_b32 exec_lo, exec_lo, s37
	s_and_saveexec_b32 s37, s30
	s_cbranch_execz .LBB228_72
.LBB228_104:                            ;   in Loop: Header=BB228_41 Depth=1
	ds_load_b32 v7, v2 offset:41080
	s_waitcnt lgkmcnt(0)
	v_add_nc_u32_e32 v6, v7, v6
	s_or_b32 exec_lo, exec_lo, s37
	s_and_saveexec_b32 s37, s31
	s_cbranch_execz .LBB228_73
.LBB228_105:                            ;   in Loop: Header=BB228_41 Depth=1
	scratch_load_b128 v[7:10], off, off
	v_add3_u32 v11, v4, -1, v6
	s_delay_alu instid0(VALU_DEP_1) | instskip(SKIP_1) | instid1(VALU_DEP_2)
	v_lshlrev_b32_e32 v12, 4, v11
	v_lshl_add_u32 v11, v11, 2, 0
	v_add3_u32 v12, 0, v12, 0x2000
	ds_store_b32 v11, v5
	s_waitcnt vmcnt(0)
	ds_store_2addr_b64 v12, v[7:8], v[9:10] offset1:1
	s_or_b32 exec_lo, exec_lo, s37
	s_and_saveexec_b32 s31, vcc_lo
	s_cbranch_execz .LBB228_40
.LBB228_106:                            ;   in Loop: Header=BB228_41 Depth=1
	ds_store_b32 v2, v6 offset:41084
	s_branch .LBB228_40
.LBB228_107:                            ;   in Loop: Header=BB228_108 Depth=1
	s_or_b32 exec_lo, exec_lo, s4
	v_add_co_u32 v5, vcc_lo, 0x400, v5
	v_add_co_ci_u32_e32 v6, vcc_lo, 0, v6, vcc_lo
	s_delay_alu instid0(VALU_DEP_1) | instskip(SKIP_1) | instid1(SALU_CYCLE_1)
	v_cmp_le_i64_e32 vcc_lo, s[0:1], v[5:6]
	s_or_b32 s3, vcc_lo, s3
	s_and_not1_b32 exec_lo, exec_lo, s3
	s_cbranch_execz .LBB228_38
.LBB228_108:                            ; =>This Loop Header: Depth=1
                                        ;     Child Loop BB228_110 Depth 2
                                        ;       Child Loop BB228_116 Depth 3
                                        ;       Child Loop BB228_118 Depth 3
	;; [unrolled: 1-line block ×4, first 2 shown]
	v_lshlrev_b64 v[7:8], 4, v[5:6]
	s_mov_b32 s4, 0
	s_delay_alu instid0(VALU_DEP_1) | instskip(NEXT) | instid1(VALU_DEP_2)
	v_add_co_u32 v7, vcc_lo, s40, v7
	v_add_co_ci_u32_e32 v8, vcc_lo, s41, v8, vcc_lo
	global_load_b128 v[9:12], v[7:8], off
	v_lshlrev_b64 v[7:8], 2, v[5:6]
	s_delay_alu instid0(VALU_DEP_1) | instskip(NEXT) | instid1(VALU_DEP_2)
	v_add_co_u32 v7, vcc_lo, s38, v7
	v_add_co_ci_u32_e32 v8, vcc_lo, s39, v8, vcc_lo
	global_load_b32 v13, v[7:8], off
	s_waitcnt vmcnt(1)
	v_mul_f64 v[7:8], v[11:12], -v[1:2]
	v_mul_f64 v[11:12], v[3:4], v[11:12]
	s_waitcnt vmcnt(0)
	v_subrev_nc_u32_e32 v13, s47, v13
	s_delay_alu instid0(VALU_DEP_3) | instskip(NEXT) | instid1(VALU_DEP_3)
	v_fma_f64 v[7:8], v[3:4], v[9:10], v[7:8]
	v_fma_f64 v[9:10], v[1:2], v[9:10], v[11:12]
	s_delay_alu instid0(VALU_DEP_3) | instskip(NEXT) | instid1(VALU_DEP_1)
	v_mul_lo_u32 v11, 0x89, v13
	v_and_b32_e32 v14, 0x7ff, v11
	s_branch .LBB228_110
.LBB228_109:                            ;   in Loop: Header=BB228_110 Depth=2
	s_or_b32 exec_lo, exec_lo, s5
	s_xor_b32 s5, s6, -1
	s_delay_alu instid0(SALU_CYCLE_1) | instskip(NEXT) | instid1(SALU_CYCLE_1)
	s_and_b32 s5, exec_lo, s5
	s_or_b32 s4, s5, s4
	s_delay_alu instid0(SALU_CYCLE_1)
	s_and_not1_b32 exec_lo, exec_lo, s4
	s_cbranch_execz .LBB228_107
.LBB228_110:                            ;   Parent Loop BB228_108 Depth=1
                                        ; =>  This Loop Header: Depth=2
                                        ;       Child Loop BB228_116 Depth 3
                                        ;       Child Loop BB228_118 Depth 3
                                        ;       Child Loop BB228_124 Depth 3
                                        ;       Child Loop BB228_126 Depth 3
	s_delay_alu instid0(VALU_DEP_1)
	v_lshl_add_u32 v11, v14, 2, 0
	s_mov_b32 s5, exec_lo
                                        ; implicit-def: $sgpr6
	ds_load_b32 v12, v11
	s_waitcnt lgkmcnt(0)
	v_cmpx_ne_u32_e64 v12, v13
	s_xor_b32 s5, exec_lo, s5
	s_cbranch_execz .LBB228_122
; %bb.111:                              ;   in Loop: Header=BB228_110 Depth=2
	s_mov_b32 s7, exec_lo
                                        ; implicit-def: $sgpr6
	v_cmpx_ne_u32_e64 s33, v12
	s_xor_b32 s7, exec_lo, s7
; %bb.112:                              ;   in Loop: Header=BB228_110 Depth=2
	v_add_nc_u32_e32 v11, 1, v14
	s_mov_b32 s6, -1
	s_delay_alu instid0(VALU_DEP_1)
	v_and_b32_e32 v14, 0x7ff, v11
                                        ; implicit-def: $vgpr11
; %bb.113:                              ;   in Loop: Header=BB228_110 Depth=2
	s_and_not1_saveexec_b32 s7, s7
	s_cbranch_execz .LBB228_121
; %bb.114:                              ;   in Loop: Header=BB228_110 Depth=2
	v_mov_b32_e32 v12, s33
	s_mov_b32 s9, -1
	s_mov_b32 s8, exec_lo
	ds_cmpstore_rtn_b32 v12, v11, v13, v12
	s_waitcnt lgkmcnt(0)
	v_cmpx_eq_u32_e64 s33, v12
	s_cbranch_execz .LBB228_120
; %bb.115:                              ;   in Loop: Header=BB228_110 Depth=2
	v_mul_lo_u32 v12, v14, 12
	s_mov_b32 s9, 0
	s_delay_alu instid0(VALU_DEP_1)
	v_add_nc_u32_e32 v15, v11, v12
	ds_load_b64 v[11:12], v15 offset:8192
.LBB228_116:                            ;   Parent Loop BB228_108 Depth=1
                                        ;     Parent Loop BB228_110 Depth=2
                                        ; =>    This Inner Loop Header: Depth=3
	s_waitcnt lgkmcnt(0)
	v_add_f64 v[16:17], v[11:12], v[7:8]
	ds_cmpstore_rtn_b64 v[16:17], v15, v[16:17], v[11:12] offset:8192
	s_waitcnt lgkmcnt(0)
	v_cmp_eq_u64_e32 vcc_lo, v[16:17], v[11:12]
	v_dual_mov_b32 v11, v16 :: v_dual_mov_b32 v12, v17
	s_or_b32 s9, vcc_lo, s9
	s_delay_alu instid0(SALU_CYCLE_1)
	s_and_not1_b32 exec_lo, exec_lo, s9
	s_cbranch_execnz .LBB228_116
; %bb.117:                              ;   in Loop: Header=BB228_110 Depth=2
	s_or_b32 exec_lo, exec_lo, s9
	ds_load_b64 v[11:12], v15 offset:8200
	s_mov_b32 s9, 0
.LBB228_118:                            ;   Parent Loop BB228_108 Depth=1
                                        ;     Parent Loop BB228_110 Depth=2
                                        ; =>    This Inner Loop Header: Depth=3
	s_waitcnt lgkmcnt(0)
	v_add_f64 v[16:17], v[11:12], v[9:10]
	ds_cmpstore_rtn_b64 v[16:17], v15, v[16:17], v[11:12] offset:8200
	s_waitcnt lgkmcnt(0)
	v_cmp_eq_u64_e32 vcc_lo, v[16:17], v[11:12]
	v_dual_mov_b32 v11, v16 :: v_dual_mov_b32 v12, v17
	s_or_b32 s9, vcc_lo, s9
	s_delay_alu instid0(SALU_CYCLE_1)
	s_and_not1_b32 exec_lo, exec_lo, s9
	s_cbranch_execnz .LBB228_118
; %bb.119:                              ;   in Loop: Header=BB228_110 Depth=2
	s_or_b32 exec_lo, exec_lo, s9
	s_delay_alu instid0(SALU_CYCLE_1)
	s_xor_b32 s9, exec_lo, -1
.LBB228_120:                            ;   in Loop: Header=BB228_110 Depth=2
	s_or_b32 exec_lo, exec_lo, s8
	s_delay_alu instid0(SALU_CYCLE_1) | instskip(SKIP_1) | instid1(SALU_CYCLE_1)
	s_and_not1_b32 s6, s6, exec_lo
	s_and_b32 s8, s9, exec_lo
	s_or_b32 s6, s6, s8
.LBB228_121:                            ;   in Loop: Header=BB228_110 Depth=2
	s_or_b32 exec_lo, exec_lo, s7
	s_delay_alu instid0(SALU_CYCLE_1)
	s_and_b32 s6, s6, exec_lo
                                        ; implicit-def: $vgpr11
.LBB228_122:                            ;   in Loop: Header=BB228_110 Depth=2
	s_and_not1_saveexec_b32 s5, s5
	s_cbranch_execz .LBB228_109
; %bb.123:                              ;   in Loop: Header=BB228_110 Depth=2
	v_mul_lo_u32 v12, v14, 12
	s_mov_b32 s7, 0
	s_delay_alu instid0(VALU_DEP_1)
	v_add_nc_u32_e32 v15, v11, v12
	ds_load_b64 v[11:12], v15 offset:8192
.LBB228_124:                            ;   Parent Loop BB228_108 Depth=1
                                        ;     Parent Loop BB228_110 Depth=2
                                        ; =>    This Inner Loop Header: Depth=3
	s_waitcnt lgkmcnt(0)
	v_add_f64 v[16:17], v[11:12], v[7:8]
	ds_cmpstore_rtn_b64 v[16:17], v15, v[16:17], v[11:12] offset:8192
	s_waitcnt lgkmcnt(0)
	v_cmp_eq_u64_e32 vcc_lo, v[16:17], v[11:12]
	v_dual_mov_b32 v11, v16 :: v_dual_mov_b32 v12, v17
	s_or_b32 s7, vcc_lo, s7
	s_delay_alu instid0(SALU_CYCLE_1)
	s_and_not1_b32 exec_lo, exec_lo, s7
	s_cbranch_execnz .LBB228_124
; %bb.125:                              ;   in Loop: Header=BB228_110 Depth=2
	s_or_b32 exec_lo, exec_lo, s7
	ds_load_b64 v[11:12], v15 offset:8200
	s_mov_b32 s7, 0
.LBB228_126:                            ;   Parent Loop BB228_108 Depth=1
                                        ;     Parent Loop BB228_110 Depth=2
                                        ; =>    This Inner Loop Header: Depth=3
	s_waitcnt lgkmcnt(0)
	v_add_f64 v[16:17], v[11:12], v[9:10]
	ds_cmpstore_rtn_b64 v[16:17], v15, v[16:17], v[11:12] offset:8200
	s_waitcnt lgkmcnt(0)
	v_cmp_eq_u64_e32 vcc_lo, v[16:17], v[11:12]
	v_dual_mov_b32 v11, v16 :: v_dual_mov_b32 v12, v17
	s_or_b32 s7, vcc_lo, s7
	s_delay_alu instid0(SALU_CYCLE_1)
	s_and_not1_b32 exec_lo, exec_lo, s7
	s_cbranch_execnz .LBB228_126
; %bb.127:                              ;   in Loop: Header=BB228_110 Depth=2
	s_or_b32 exec_lo, exec_lo, s7
	s_delay_alu instid0(SALU_CYCLE_1)
	s_and_not1_b32 s6, s6, exec_lo
	s_branch .LBB228_109
.LBB228_128:
	s_or_b32 exec_lo, exec_lo, s36
	s_ashr_i32 s49, s48, 31
	s_mov_b32 s4, exec_lo
	s_lshl_b64 s[0:1], s[48:49], 3
	s_delay_alu instid0(SALU_CYCLE_1) | instskip(SKIP_4) | instid1(SALU_CYCLE_1)
	s_add_u32 s0, s42, s0
	s_addc_u32 s1, s43, s1
	s_load_b128 s[0:3], s[0:1], 0x0
	s_waitcnt lgkmcnt(0)
	s_sub_i32 s3, s2, s0
	v_cmpx_gt_i32_e64 s3, v0
	s_cbranch_execz .LBB228_138
; %bb.129:
	s_sub_u32 s4, s0, s46
	s_subb_u32 s5, s1, 0
	s_sub_i32 s0, s0, s2
	s_and_b32 s1, s3, 7
	s_cmp_lt_u32 s0, -7
	s_mov_b32 s8, 0
	s_cselect_b32 s2, -1, 0
	s_and_b32 s6, s3, -8
	s_cmp_lg_u32 s1, 0
	s_cselect_b32 s7, -1, 0
	s_branch .LBB228_131
.LBB228_130:                            ;   in Loop: Header=BB228_131 Depth=1
	s_waitcnt lgkmcnt(0)
	v_mul_lo_u32 v4, v0, 12
	v_lshlrev_b64 v[1:2], 4, v[1:2]
	v_add_nc_u32_e32 v0, 0x400, v0
	s_delay_alu instid0(VALU_DEP_1) | instskip(NEXT) | instid1(VALU_DEP_4)
	v_cmp_le_i32_e32 vcc_lo, s3, v0
	v_add3_u32 v3, v3, v4, 0x2000
	s_delay_alu instid0(VALU_DEP_4) | instskip(NEXT) | instid1(VALU_DEP_1)
	v_add_co_u32 v1, s0, s34, v1
	v_add_co_ci_u32_e64 v2, s0, s35, v2, s0
	ds_load_2addr_b64 v[3:6], v3 offset1:1
	s_or_b32 s8, vcc_lo, s8
	s_waitcnt lgkmcnt(0)
	global_store_b128 v[1:2], v[3:6], off
	s_and_not1_b32 exec_lo, exec_lo, s8
	s_cbranch_execz .LBB228_138
.LBB228_131:                            ; =>This Loop Header: Depth=1
                                        ;     Child Loop BB228_133 Depth 2
                                        ;     Child Loop BB228_137 Depth 2
	v_lshl_add_u32 v3, v0, 2, 0
	v_dual_mov_b32 v1, s4 :: v_dual_mov_b32 v2, s5
	s_and_not1_b32 vcc_lo, exec_lo, s2
	s_mov_b32 s0, 0
	ds_load_b32 v4, v3
	s_cbranch_vccnz .LBB228_135
; %bb.132:                              ;   in Loop: Header=BB228_131 Depth=1
	v_dual_mov_b32 v1, s4 :: v_dual_mov_b32 v2, s5
	s_mov_b32 s9, 0
	s_mov_b32 s10, 0
.LBB228_133:                            ;   Parent Loop BB228_131 Depth=1
                                        ; =>  This Inner Loop Header: Depth=2
	s_delay_alu instid0(SALU_CYCLE_1)
	v_mov_b32_e32 v11, s10
	s_add_i32 s9, s9, 8
	s_add_i32 s10, s10, 32
	s_cmp_eq_u32 s6, s9
	ds_load_2addr_b32 v[5:6], v11 offset1:1
	ds_load_2addr_b32 v[7:8], v11 offset0:2 offset1:3
	ds_load_2addr_b32 v[9:10], v11 offset0:4 offset1:5
	;; [unrolled: 1-line block ×3, first 2 shown]
	s_waitcnt lgkmcnt(3)
	v_cmp_gt_i32_e32 vcc_lo, v4, v5
	v_cndmask_b32_e64 v5, 0, 1, vcc_lo
	v_cmp_gt_i32_e32 vcc_lo, v4, v6
	v_cndmask_b32_e64 v6, 0, 1, vcc_lo
	s_waitcnt lgkmcnt(2)
	v_cmp_gt_i32_e32 vcc_lo, v4, v7
	v_cndmask_b32_e64 v7, 0, 1, vcc_lo
	v_cmp_gt_i32_e32 vcc_lo, v4, v8
	v_cndmask_b32_e64 v8, 0, 1, vcc_lo
	s_waitcnt lgkmcnt(1)
	v_cmp_gt_i32_e32 vcc_lo, v4, v9
	v_cndmask_b32_e64 v9, 0, 1, vcc_lo
	v_add_co_u32 v1, vcc_lo, v1, v5
	v_add_co_ci_u32_e32 v2, vcc_lo, 0, v2, vcc_lo
	v_cmp_gt_i32_e32 vcc_lo, v4, v10
	s_delay_alu instid0(VALU_DEP_3) | instskip(NEXT) | instid1(VALU_DEP_1)
	v_add_co_u32 v1, s0, v1, v6
	v_add_co_ci_u32_e64 v2, s0, 0, v2, s0
	v_cndmask_b32_e64 v5, 0, 1, vcc_lo
	s_delay_alu instid0(VALU_DEP_3) | instskip(NEXT) | instid1(VALU_DEP_3)
	v_add_co_u32 v1, vcc_lo, v1, v7
	v_add_co_ci_u32_e32 v2, vcc_lo, 0, v2, vcc_lo
	s_waitcnt lgkmcnt(0)
	v_cmp_gt_i32_e32 vcc_lo, v4, v11
	s_delay_alu instid0(VALU_DEP_3) | instskip(NEXT) | instid1(VALU_DEP_1)
	v_add_co_u32 v1, s0, v1, v8
	v_add_co_ci_u32_e64 v2, s0, 0, v2, s0
	v_cndmask_b32_e64 v6, 0, 1, vcc_lo
	s_delay_alu instid0(VALU_DEP_3) | instskip(NEXT) | instid1(VALU_DEP_3)
	v_add_co_u32 v1, vcc_lo, v1, v9
	v_add_co_ci_u32_e32 v2, vcc_lo, 0, v2, vcc_lo
	v_cmp_gt_i32_e32 vcc_lo, v4, v12
	s_delay_alu instid0(VALU_DEP_3) | instskip(NEXT) | instid1(VALU_DEP_1)
	v_add_co_u32 v1, s0, v1, v5
	v_add_co_ci_u32_e64 v2, s0, 0, v2, s0
	v_cndmask_b32_e64 v5, 0, 1, vcc_lo
	s_delay_alu instid0(VALU_DEP_3) | instskip(NEXT) | instid1(VALU_DEP_3)
	v_add_co_u32 v1, vcc_lo, v1, v6
	v_add_co_ci_u32_e32 v2, vcc_lo, 0, v2, vcc_lo
	s_delay_alu instid0(VALU_DEP_2) | instskip(NEXT) | instid1(VALU_DEP_2)
	v_add_co_u32 v1, vcc_lo, v1, v5
	v_add_co_ci_u32_e32 v2, vcc_lo, 0, v2, vcc_lo
	s_cbranch_scc0 .LBB228_133
; %bb.134:                              ;   in Loop: Header=BB228_131 Depth=1
	s_mov_b32 s0, s6
.LBB228_135:                            ;   in Loop: Header=BB228_131 Depth=1
	s_and_not1_b32 vcc_lo, exec_lo, s7
	s_cbranch_vccnz .LBB228_130
; %bb.136:                              ;   in Loop: Header=BB228_131 Depth=1
	s_lshl_b32 s0, s0, 2
	s_mov_b32 s9, s1
	s_add_i32 s0, s0, 0
.LBB228_137:                            ;   Parent Loop BB228_131 Depth=1
                                        ; =>  This Inner Loop Header: Depth=2
	s_delay_alu instid0(SALU_CYCLE_1)
	v_mov_b32_e32 v5, s0
	s_add_i32 s9, s9, -1
	s_add_i32 s0, s0, 4
	s_cmp_lg_u32 s9, 0
	ds_load_b32 v5, v5
	s_waitcnt lgkmcnt(0)
	v_cmp_gt_i32_e32 vcc_lo, v4, v5
	v_cndmask_b32_e64 v5, 0, 1, vcc_lo
	s_delay_alu instid0(VALU_DEP_1)
	v_add_co_u32 v1, vcc_lo, v1, v5
	v_add_co_ci_u32_e32 v2, vcc_lo, 0, v2, vcc_lo
	s_cbranch_scc1 .LBB228_137
	s_branch .LBB228_130
.LBB228_138:
	s_nop 0
	s_sendmsg sendmsg(MSG_DEALLOC_VGPRS)
	s_endpgm
	.section	.rodata,"a",@progbits
	.p2align	6, 0x0
	.amdhsa_kernel _ZN9rocsparseL41csrgemm_numeric_fill_block_per_row_kernelILj1024ELj32ELj2048ELj137ELj32Eli21rocsparse_complex_numIdEEEvT5_PKS3_S5_NS_24const_host_device_scalarIT6_EEPKT4_S5_PKS7_SB_S5_SD_S8_SB_S5_SD_SB_S5_PS7_21rocsparse_index_base_SF_SF_SF_bbb
		.amdhsa_group_segment_fixed_size 0
		.amdhsa_private_segment_fixed_size 40
		.amdhsa_kernarg_size 172
		.amdhsa_user_sgpr_count 15
		.amdhsa_user_sgpr_dispatch_ptr 0
		.amdhsa_user_sgpr_queue_ptr 0
		.amdhsa_user_sgpr_kernarg_segment_ptr 1
		.amdhsa_user_sgpr_dispatch_id 0
		.amdhsa_user_sgpr_private_segment_size 0
		.amdhsa_wavefront_size32 1
		.amdhsa_uses_dynamic_stack 0
		.amdhsa_enable_private_segment 1
		.amdhsa_system_sgpr_workgroup_id_x 1
		.amdhsa_system_sgpr_workgroup_id_y 0
		.amdhsa_system_sgpr_workgroup_id_z 0
		.amdhsa_system_sgpr_workgroup_info 0
		.amdhsa_system_vgpr_workitem_id 0
		.amdhsa_next_free_vgpr 36
		.amdhsa_next_free_sgpr 50
		.amdhsa_reserve_vcc 1
		.amdhsa_float_round_mode_32 0
		.amdhsa_float_round_mode_16_64 0
		.amdhsa_float_denorm_mode_32 3
		.amdhsa_float_denorm_mode_16_64 3
		.amdhsa_dx10_clamp 1
		.amdhsa_ieee_mode 1
		.amdhsa_fp16_overflow 0
		.amdhsa_workgroup_processor_mode 1
		.amdhsa_memory_ordered 1
		.amdhsa_forward_progress 0
		.amdhsa_shared_vgpr_count 0
		.amdhsa_exception_fp_ieee_invalid_op 0
		.amdhsa_exception_fp_denorm_src 0
		.amdhsa_exception_fp_ieee_div_zero 0
		.amdhsa_exception_fp_ieee_overflow 0
		.amdhsa_exception_fp_ieee_underflow 0
		.amdhsa_exception_fp_ieee_inexact 0
		.amdhsa_exception_int_div_zero 0
	.end_amdhsa_kernel
	.section	.text._ZN9rocsparseL41csrgemm_numeric_fill_block_per_row_kernelILj1024ELj32ELj2048ELj137ELj32Eli21rocsparse_complex_numIdEEEvT5_PKS3_S5_NS_24const_host_device_scalarIT6_EEPKT4_S5_PKS7_SB_S5_SD_S8_SB_S5_SD_SB_S5_PS7_21rocsparse_index_base_SF_SF_SF_bbb,"axG",@progbits,_ZN9rocsparseL41csrgemm_numeric_fill_block_per_row_kernelILj1024ELj32ELj2048ELj137ELj32Eli21rocsparse_complex_numIdEEEvT5_PKS3_S5_NS_24const_host_device_scalarIT6_EEPKT4_S5_PKS7_SB_S5_SD_S8_SB_S5_SD_SB_S5_PS7_21rocsparse_index_base_SF_SF_SF_bbb,comdat
.Lfunc_end228:
	.size	_ZN9rocsparseL41csrgemm_numeric_fill_block_per_row_kernelILj1024ELj32ELj2048ELj137ELj32Eli21rocsparse_complex_numIdEEEvT5_PKS3_S5_NS_24const_host_device_scalarIT6_EEPKT4_S5_PKS7_SB_S5_SD_S8_SB_S5_SD_SB_S5_PS7_21rocsparse_index_base_SF_SF_SF_bbb, .Lfunc_end228-_ZN9rocsparseL41csrgemm_numeric_fill_block_per_row_kernelILj1024ELj32ELj2048ELj137ELj32Eli21rocsparse_complex_numIdEEEvT5_PKS3_S5_NS_24const_host_device_scalarIT6_EEPKT4_S5_PKS7_SB_S5_SD_S8_SB_S5_SD_SB_S5_PS7_21rocsparse_index_base_SF_SF_SF_bbb
                                        ; -- End function
	.section	.AMDGPU.csdata,"",@progbits
; Kernel info:
; codeLenInByte = 5140
; NumSgprs: 52
; NumVgprs: 36
; ScratchSize: 40
; MemoryBound: 0
; FloatMode: 240
; IeeeMode: 1
; LDSByteSize: 0 bytes/workgroup (compile time only)
; SGPRBlocks: 6
; VGPRBlocks: 4
; NumSGPRsForWavesPerEU: 52
; NumVGPRsForWavesPerEU: 36
; Occupancy: 16
; WaveLimiterHint : 1
; COMPUTE_PGM_RSRC2:SCRATCH_EN: 1
; COMPUTE_PGM_RSRC2:USER_SGPR: 15
; COMPUTE_PGM_RSRC2:TRAP_HANDLER: 0
; COMPUTE_PGM_RSRC2:TGID_X_EN: 1
; COMPUTE_PGM_RSRC2:TGID_Y_EN: 0
; COMPUTE_PGM_RSRC2:TGID_Z_EN: 0
; COMPUTE_PGM_RSRC2:TIDIG_COMP_CNT: 0
	.section	.text._ZN9rocsparseL41csrgemm_numeric_fill_block_per_row_kernelILj1024ELj32ELj2048ELj137ELj64Eli21rocsparse_complex_numIdEEEvT5_PKS3_S5_NS_24const_host_device_scalarIT6_EEPKT4_S5_PKS7_SB_S5_SD_S8_SB_S5_SD_SB_S5_PS7_21rocsparse_index_base_SF_SF_SF_bbb,"axG",@progbits,_ZN9rocsparseL41csrgemm_numeric_fill_block_per_row_kernelILj1024ELj32ELj2048ELj137ELj64Eli21rocsparse_complex_numIdEEEvT5_PKS3_S5_NS_24const_host_device_scalarIT6_EEPKT4_S5_PKS7_SB_S5_SD_S8_SB_S5_SD_SB_S5_PS7_21rocsparse_index_base_SF_SF_SF_bbb,comdat
	.globl	_ZN9rocsparseL41csrgemm_numeric_fill_block_per_row_kernelILj1024ELj32ELj2048ELj137ELj64Eli21rocsparse_complex_numIdEEEvT5_PKS3_S5_NS_24const_host_device_scalarIT6_EEPKT4_S5_PKS7_SB_S5_SD_S8_SB_S5_SD_SB_S5_PS7_21rocsparse_index_base_SF_SF_SF_bbb ; -- Begin function _ZN9rocsparseL41csrgemm_numeric_fill_block_per_row_kernelILj1024ELj32ELj2048ELj137ELj64Eli21rocsparse_complex_numIdEEEvT5_PKS3_S5_NS_24const_host_device_scalarIT6_EEPKT4_S5_PKS7_SB_S5_SD_S8_SB_S5_SD_SB_S5_PS7_21rocsparse_index_base_SF_SF_SF_bbb
	.p2align	8
	.type	_ZN9rocsparseL41csrgemm_numeric_fill_block_per_row_kernelILj1024ELj32ELj2048ELj137ELj64Eli21rocsparse_complex_numIdEEEvT5_PKS3_S5_NS_24const_host_device_scalarIT6_EEPKT4_S5_PKS7_SB_S5_SD_S8_SB_S5_SD_SB_S5_PS7_21rocsparse_index_base_SF_SF_SF_bbb,@function
_ZN9rocsparseL41csrgemm_numeric_fill_block_per_row_kernelILj1024ELj32ELj2048ELj137ELj64Eli21rocsparse_complex_numIdEEEvT5_PKS3_S5_NS_24const_host_device_scalarIT6_EEPKT4_S5_PKS7_SB_S5_SD_S8_SB_S5_SD_SB_S5_PS7_21rocsparse_index_base_SF_SF_SF_bbb: ; @_ZN9rocsparseL41csrgemm_numeric_fill_block_per_row_kernelILj1024ELj32ELj2048ELj137ELj64Eli21rocsparse_complex_numIdEEEvT5_PKS3_S5_NS_24const_host_device_scalarIT6_EEPKT4_S5_PKS7_SB_S5_SD_S8_SB_S5_SD_SB_S5_PS7_21rocsparse_index_base_SF_SF_SF_bbb
; %bb.0:
	s_clause 0x3
	s_load_b32 s14, s[0:1], 0xa8
	s_load_b128 s[4:7], s[0:1], 0x18
	s_load_b128 s[36:39], s[0:1], 0x58
	;; [unrolled: 1-line block ×3, first 2 shown]
	v_mov_b32_e32 v1, 0
	v_mov_b32_e32 v2, 0
	s_waitcnt lgkmcnt(0)
	s_bitcmp1_b32 s14, 0
	v_mov_b32_e32 v3, s4
	s_cselect_b32 s12, -1, 0
	s_bitcmp1_b32 s14, 16
	v_dual_mov_b32 v6, v2 :: v_dual_mov_b32 v5, v1
	s_cselect_b32 s2, -1, 0
	v_mov_b32_e32 v4, s5
	s_xor_b32 s13, s2, -1
	v_dual_mov_b32 v9, s36 :: v_dual_mov_b32 v10, s37
	v_cndmask_b32_e64 v7, 0, 1, s13
	s_bitcmp0_b32 s14, 0
	s_clause 0x1
	scratch_store_b64 off, v[3:4], off offset:16
	scratch_store_b64 off, v[9:10], off offset:24
	v_cmp_ne_u32_e32 vcc_lo, 1, v7
	v_dual_mov_b32 v8, v2 :: v_dual_mov_b32 v7, v1
	s_cbranch_scc1 .LBB229_3
; %bb.1:
	s_mov_b64 s[8:9], src_private_base
	s_and_b32 s3, s2, exec_lo
	s_cselect_b32 s3, s9, s5
	s_delay_alu instid0(SALU_CYCLE_1) | instskip(SKIP_2) | instid1(VALU_DEP_2)
	v_dual_mov_b32 v3, 16 :: v_dual_mov_b32 v4, s3
	v_dual_mov_b32 v8, s7 :: v_dual_mov_b32 v7, s6
	s_and_b32 vcc_lo, exec_lo, vcc_lo
	v_cndmask_b32_e64 v3, s4, v3, s2
	flat_load_b64 v[5:6], v[3:4]
	s_cbranch_vccnz .LBB229_3
; %bb.2:
	v_dual_mov_b32 v3, s4 :: v_dual_mov_b32 v4, s5
	flat_load_b64 v[7:8], v[3:4] offset:8
.LBB229_3:
	s_clause 0x4
	s_load_b64 s[34:35], s[0:1], 0x90
	s_load_b256 s[16:23], s[0:1], 0x68
	s_load_b128 s[28:31], s[0:1], 0x48
	s_load_b128 s[40:43], s[0:1], 0x8
	s_load_b256 s[4:11], s[0:1], 0x28
	s_bitcmp1_b32 s14, 8
	v_dual_mov_b32 v4, v2 :: v_dual_mov_b32 v3, v1
	s_cselect_b32 s3, -1, 0
	s_bfe_u32 s14, s14, 0x10008
	s_delay_alu instid0(SALU_CYCLE_1)
	s_cmp_eq_u32 s14, 0
	s_cbranch_scc1 .LBB229_6
; %bb.4:
	s_mov_b64 s[44:45], src_private_base
	s_and_b32 s14, s2, exec_lo
	s_cselect_b32 s14, s45, s37
	s_delay_alu instid0(SALU_CYCLE_1) | instskip(SKIP_1) | instid1(VALU_DEP_1)
	v_dual_mov_b32 v1, 24 :: v_dual_mov_b32 v2, s14
	s_and_not1_b32 vcc_lo, exec_lo, s13
	v_cndmask_b32_e64 v1, s36, v1, s2
	flat_load_b64 v[3:4], v[1:2]
	v_dual_mov_b32 v1, s38 :: v_dual_mov_b32 v2, s39
	s_cbranch_vccnz .LBB229_6
; %bb.5:
	v_dual_mov_b32 v1, s36 :: v_dual_mov_b32 v2, s37
	flat_load_b64 v[1:2], v[1:2] offset:8
.LBB229_6:
	s_load_b32 s33, s[0:1], 0x0
	s_mov_b32 s0, 0
	v_or_b32_e32 v25, 0xfffffc00, v0
	s_mov_b32 s1, s0
	s_delay_alu instid0(SALU_CYCLE_1) | instskip(SKIP_3) | instid1(VALU_DEP_2)
	v_dual_mov_b32 v10, s1 :: v_dual_lshlrev_b32 v11, 4, v0
	v_lshl_add_u32 v26, v0, 2, 0
	s_mov_b32 s36, s0
	s_mov_b32 s37, s0
	v_add3_u32 v27, v11, 0, 0x2000
	v_dual_mov_b32 v11, s36 :: v_dual_mov_b32 v14, v25
	v_dual_mov_b32 v9, s0 :: v_dual_mov_b32 v12, s37
	s_delay_alu instid0(VALU_DEP_3)
	v_dual_mov_b32 v13, v26 :: v_dual_mov_b32 v16, v27
	s_waitcnt lgkmcnt(0)
	v_mov_b32_e32 v15, s33
.LBB229_7:                              ; =>This Inner Loop Header: Depth=1
	v_add_co_u32 v14, s1, 0x400, v14
	s_delay_alu instid0(VALU_DEP_1)
	s_xor_b32 s1, s1, -1
	ds_store_b32 v13, v15
	ds_store_2addr_b64 v16, v[9:10], v[11:12] offset1:1
	v_add_nc_u32_e32 v16, 0x4000, v16
	v_add_nc_u32_e32 v13, 0x1000, v13
	s_and_b32 s1, exec_lo, s1
	s_delay_alu instid0(SALU_CYCLE_1) | instskip(NEXT) | instid1(SALU_CYCLE_1)
	s_or_b32 s0, s1, s0
	s_and_not1_b32 exec_lo, exec_lo, s0
	s_cbranch_execnz .LBB229_7
; %bb.8:
	s_or_b32 exec_lo, exec_lo, s0
	s_waitcnt vmcnt(0) lgkmcnt(0)
	s_waitcnt_vscnt null, 0x0
	s_barrier
	buffer_gl0_inv
	s_load_b32 s0, s[40:41], 0x0
	s_mov_b32 s1, 0
	s_waitcnt lgkmcnt(0)
	s_add_i32 s0, s0, s15
	s_delay_alu instid0(SALU_CYCLE_1) | instskip(NEXT) | instid1(SALU_CYCLE_1)
	s_lshl_b64 s[0:1], s[0:1], 2
	s_add_u32 s0, s42, s0
	s_addc_u32 s1, s43, s1
	s_and_b32 vcc_lo, exec_lo, s12
	s_load_b32 s36, s[0:1], 0x0
	s_cbranch_vccz .LBB229_36
; %bb.9:
	s_waitcnt lgkmcnt(0)
	s_ashr_i32 s37, s36, 31
	v_lshrrev_b32_e32 v9, 5, v0
	s_lshl_b64 s[0:1], s[36:37], 3
	s_mov_b32 s2, exec_lo
	s_add_u32 s0, s4, s0
	s_addc_u32 s1, s5, s1
	s_load_b128 s[12:15], s[0:1], 0x0
	v_sub_co_u32 v9, s0, v9, s24
	s_delay_alu instid0(VALU_DEP_1) | instskip(SKIP_1) | instid1(VALU_DEP_2)
	v_sub_co_ci_u32_e64 v10, null, 0, 0, s0
	s_waitcnt lgkmcnt(0)
	v_add_co_u32 v9, vcc_lo, s12, v9
	s_delay_alu instid0(VALU_DEP_2)
	v_add_co_ci_u32_e32 v10, vcc_lo, s13, v10, vcc_lo
	s_sub_u32 s0, s14, s24
	s_subb_u32 s1, s15, 0
	s_delay_alu instid0(VALU_DEP_1) | instid1(SALU_CYCLE_1)
	v_cmpx_gt_i64_e64 s[0:1], v[9:10]
	s_cbranch_execz .LBB229_35
; %bb.10:
	v_and_b32_e32 v11, 31, v0
	s_mov_b32 s5, s25
	s_delay_alu instid0(VALU_DEP_1) | instskip(NEXT) | instid1(VALU_DEP_1)
	v_sub_co_u32 v28, s4, v11, s25
	v_sub_co_ci_u32_e64 v29, null, 0, 0, s4
	s_mov_b32 s4, 0
	s_branch .LBB229_12
.LBB229_11:                             ;   in Loop: Header=BB229_12 Depth=1
	s_or_b32 exec_lo, exec_lo, s12
	v_add_co_u32 v9, vcc_lo, v9, 32
	v_add_co_ci_u32_e32 v10, vcc_lo, 0, v10, vcc_lo
	s_delay_alu instid0(VALU_DEP_1) | instskip(SKIP_1) | instid1(SALU_CYCLE_1)
	v_cmp_le_i64_e32 vcc_lo, s[0:1], v[9:10]
	s_or_b32 s4, vcc_lo, s4
	s_and_not1_b32 exec_lo, exec_lo, s4
	s_cbranch_execz .LBB229_35
.LBB229_12:                             ; =>This Loop Header: Depth=1
                                        ;     Child Loop BB229_15 Depth 2
                                        ;       Child Loop BB229_17 Depth 3
                                        ;         Child Loop BB229_23 Depth 4
                                        ;         Child Loop BB229_25 Depth 4
	;; [unrolled: 1-line block ×4, first 2 shown]
	v_lshlrev_b64 v[11:12], 2, v[9:10]
	s_mov_b32 s12, exec_lo
	s_delay_alu instid0(VALU_DEP_1) | instskip(NEXT) | instid1(VALU_DEP_2)
	v_add_co_u32 v11, vcc_lo, s6, v11
	v_add_co_ci_u32_e32 v12, vcc_lo, s7, v12, vcc_lo
	global_load_b32 v11, v[11:12], off
	s_waitcnt vmcnt(0)
	v_subrev_nc_u32_e32 v11, s24, v11
	s_delay_alu instid0(VALU_DEP_1) | instskip(NEXT) | instid1(VALU_DEP_1)
	v_ashrrev_i32_e32 v12, 31, v11
	v_lshlrev_b64 v[11:12], 3, v[11:12]
	s_delay_alu instid0(VALU_DEP_1) | instskip(NEXT) | instid1(VALU_DEP_2)
	v_add_co_u32 v11, vcc_lo, s10, v11
	v_add_co_ci_u32_e32 v12, vcc_lo, s11, v12, vcc_lo
	global_load_b128 v[13:16], v[11:12], off
	s_waitcnt vmcnt(0)
	v_sub_co_u32 v11, vcc_lo, v15, s5
	v_subrev_co_ci_u32_e32 v12, vcc_lo, 0, v16, vcc_lo
	v_add_co_u32 v13, vcc_lo, v13, v28
	v_add_co_ci_u32_e32 v14, vcc_lo, v14, v29, vcc_lo
	s_delay_alu instid0(VALU_DEP_1)
	v_cmpx_lt_i64_e64 v[13:14], v[11:12]
	s_cbranch_execz .LBB229_11
; %bb.13:                               ;   in Loop: Header=BB229_12 Depth=1
	v_lshlrev_b64 v[15:16], 4, v[9:10]
	s_mov_b32 s13, 0
	s_delay_alu instid0(VALU_DEP_1) | instskip(NEXT) | instid1(VALU_DEP_2)
	v_add_co_u32 v15, vcc_lo, s8, v15
	v_add_co_ci_u32_e32 v16, vcc_lo, s9, v16, vcc_lo
	global_load_b128 v[17:20], v[15:16], off
	s_waitcnt vmcnt(0)
	v_mul_f64 v[15:16], v[19:20], -v[7:8]
	v_mul_f64 v[19:20], v[5:6], v[19:20]
	s_delay_alu instid0(VALU_DEP_2) | instskip(NEXT) | instid1(VALU_DEP_2)
	v_fma_f64 v[15:16], v[5:6], v[17:18], v[15:16]
	v_fma_f64 v[17:18], v[7:8], v[17:18], v[19:20]
	s_branch .LBB229_15
.LBB229_14:                             ;   in Loop: Header=BB229_15 Depth=2
	s_or_b32 exec_lo, exec_lo, s14
	v_add_co_u32 v13, vcc_lo, v13, 32
	v_add_co_ci_u32_e32 v14, vcc_lo, 0, v14, vcc_lo
	s_delay_alu instid0(VALU_DEP_1) | instskip(SKIP_1) | instid1(SALU_CYCLE_1)
	v_cmp_ge_i64_e32 vcc_lo, v[13:14], v[11:12]
	s_or_b32 s13, vcc_lo, s13
	s_and_not1_b32 exec_lo, exec_lo, s13
	s_cbranch_execz .LBB229_11
.LBB229_15:                             ;   Parent Loop BB229_12 Depth=1
                                        ; =>  This Loop Header: Depth=2
                                        ;       Child Loop BB229_17 Depth 3
                                        ;         Child Loop BB229_23 Depth 4
                                        ;         Child Loop BB229_25 Depth 4
	;; [unrolled: 1-line block ×4, first 2 shown]
	v_lshlrev_b64 v[19:20], 4, v[13:14]
	s_mov_b32 s14, 0
	s_delay_alu instid0(VALU_DEP_1) | instskip(NEXT) | instid1(VALU_DEP_2)
	v_add_co_u32 v19, vcc_lo, s30, v19
	v_add_co_ci_u32_e32 v20, vcc_lo, s31, v20, vcc_lo
	global_load_b128 v[21:24], v[19:20], off
	v_lshlrev_b64 v[19:20], 2, v[13:14]
	s_delay_alu instid0(VALU_DEP_1) | instskip(NEXT) | instid1(VALU_DEP_2)
	v_add_co_u32 v19, vcc_lo, s28, v19
	v_add_co_ci_u32_e32 v20, vcc_lo, s29, v20, vcc_lo
	global_load_b32 v30, v[19:20], off
	s_waitcnt vmcnt(1)
	v_mul_f64 v[19:20], v[23:24], -v[17:18]
	v_mul_f64 v[23:24], v[15:16], v[23:24]
	s_waitcnt vmcnt(0)
	v_subrev_nc_u32_e32 v30, s25, v30
	s_delay_alu instid0(VALU_DEP_3) | instskip(NEXT) | instid1(VALU_DEP_3)
	v_fma_f64 v[19:20], v[15:16], v[21:22], v[19:20]
	v_fma_f64 v[21:22], v[17:18], v[21:22], v[23:24]
	s_delay_alu instid0(VALU_DEP_3) | instskip(NEXT) | instid1(VALU_DEP_1)
	v_mul_lo_u32 v23, 0x89, v30
	v_and_b32_e32 v31, 0x7ff, v23
	s_branch .LBB229_17
.LBB229_16:                             ;   in Loop: Header=BB229_17 Depth=3
	s_or_b32 exec_lo, exec_lo, s15
	s_xor_b32 s15, s37, -1
	s_delay_alu instid0(SALU_CYCLE_1) | instskip(NEXT) | instid1(SALU_CYCLE_1)
	s_and_b32 s15, exec_lo, s15
	s_or_b32 s14, s15, s14
	s_delay_alu instid0(SALU_CYCLE_1)
	s_and_not1_b32 exec_lo, exec_lo, s14
	s_cbranch_execz .LBB229_14
.LBB229_17:                             ;   Parent Loop BB229_12 Depth=1
                                        ;     Parent Loop BB229_15 Depth=2
                                        ; =>    This Loop Header: Depth=3
                                        ;         Child Loop BB229_23 Depth 4
                                        ;         Child Loop BB229_25 Depth 4
	;; [unrolled: 1-line block ×4, first 2 shown]
	s_delay_alu instid0(VALU_DEP_1)
	v_lshl_add_u32 v23, v31, 2, 0
	s_mov_b32 s15, exec_lo
                                        ; implicit-def: $sgpr37
	ds_load_b32 v24, v23
	s_waitcnt lgkmcnt(0)
	v_cmpx_ne_u32_e64 v24, v30
	s_xor_b32 s15, exec_lo, s15
	s_cbranch_execz .LBB229_29
; %bb.18:                               ;   in Loop: Header=BB229_17 Depth=3
	s_mov_b32 s38, exec_lo
                                        ; implicit-def: $sgpr37
	v_cmpx_ne_u32_e64 s33, v24
	s_xor_b32 s38, exec_lo, s38
; %bb.19:                               ;   in Loop: Header=BB229_17 Depth=3
	v_add_nc_u32_e32 v23, 1, v31
	s_mov_b32 s37, -1
	s_delay_alu instid0(VALU_DEP_1)
	v_and_b32_e32 v31, 0x7ff, v23
                                        ; implicit-def: $vgpr23
; %bb.20:                               ;   in Loop: Header=BB229_17 Depth=3
	s_and_not1_saveexec_b32 s38, s38
	s_cbranch_execz .LBB229_28
; %bb.21:                               ;   in Loop: Header=BB229_17 Depth=3
	v_mov_b32_e32 v24, s33
	s_mov_b32 s40, -1
	s_mov_b32 s39, exec_lo
	ds_cmpstore_rtn_b32 v24, v23, v30, v24
	s_waitcnt lgkmcnt(0)
	v_cmpx_eq_u32_e64 s33, v24
	s_cbranch_execz .LBB229_27
; %bb.22:                               ;   in Loop: Header=BB229_17 Depth=3
	v_mul_lo_u32 v24, v31, 12
	s_mov_b32 s40, 0
	s_delay_alu instid0(VALU_DEP_1)
	v_add_nc_u32_e32 v32, v23, v24
	ds_load_b64 v[23:24], v32 offset:8192
.LBB229_23:                             ;   Parent Loop BB229_12 Depth=1
                                        ;     Parent Loop BB229_15 Depth=2
                                        ;       Parent Loop BB229_17 Depth=3
                                        ; =>      This Inner Loop Header: Depth=4
	s_waitcnt lgkmcnt(0)
	v_add_f64 v[33:34], v[23:24], v[19:20]
	ds_cmpstore_rtn_b64 v[33:34], v32, v[33:34], v[23:24] offset:8192
	s_waitcnt lgkmcnt(0)
	v_cmp_eq_u64_e32 vcc_lo, v[33:34], v[23:24]
	v_dual_mov_b32 v23, v33 :: v_dual_mov_b32 v24, v34
	s_or_b32 s40, vcc_lo, s40
	s_delay_alu instid0(SALU_CYCLE_1)
	s_and_not1_b32 exec_lo, exec_lo, s40
	s_cbranch_execnz .LBB229_23
; %bb.24:                               ;   in Loop: Header=BB229_17 Depth=3
	s_or_b32 exec_lo, exec_lo, s40
	ds_load_b64 v[23:24], v32 offset:8200
	s_mov_b32 s40, 0
.LBB229_25:                             ;   Parent Loop BB229_12 Depth=1
                                        ;     Parent Loop BB229_15 Depth=2
                                        ;       Parent Loop BB229_17 Depth=3
                                        ; =>      This Inner Loop Header: Depth=4
	s_waitcnt lgkmcnt(0)
	v_add_f64 v[33:34], v[23:24], v[21:22]
	ds_cmpstore_rtn_b64 v[33:34], v32, v[33:34], v[23:24] offset:8200
	s_waitcnt lgkmcnt(0)
	v_cmp_eq_u64_e32 vcc_lo, v[33:34], v[23:24]
	v_dual_mov_b32 v23, v33 :: v_dual_mov_b32 v24, v34
	s_or_b32 s40, vcc_lo, s40
	s_delay_alu instid0(SALU_CYCLE_1)
	s_and_not1_b32 exec_lo, exec_lo, s40
	s_cbranch_execnz .LBB229_25
; %bb.26:                               ;   in Loop: Header=BB229_17 Depth=3
	s_or_b32 exec_lo, exec_lo, s40
	s_delay_alu instid0(SALU_CYCLE_1)
	s_xor_b32 s40, exec_lo, -1
.LBB229_27:                             ;   in Loop: Header=BB229_17 Depth=3
	s_or_b32 exec_lo, exec_lo, s39
	s_delay_alu instid0(SALU_CYCLE_1) | instskip(SKIP_1) | instid1(SALU_CYCLE_1)
	s_and_not1_b32 s37, s37, exec_lo
	s_and_b32 s39, s40, exec_lo
	s_or_b32 s37, s37, s39
.LBB229_28:                             ;   in Loop: Header=BB229_17 Depth=3
	s_or_b32 exec_lo, exec_lo, s38
	s_delay_alu instid0(SALU_CYCLE_1)
	s_and_b32 s37, s37, exec_lo
                                        ; implicit-def: $vgpr23
.LBB229_29:                             ;   in Loop: Header=BB229_17 Depth=3
	s_and_not1_saveexec_b32 s15, s15
	s_cbranch_execz .LBB229_16
; %bb.30:                               ;   in Loop: Header=BB229_17 Depth=3
	v_mul_lo_u32 v24, v31, 12
	s_mov_b32 s38, 0
	s_delay_alu instid0(VALU_DEP_1)
	v_add_nc_u32_e32 v32, v23, v24
	ds_load_b64 v[23:24], v32 offset:8192
.LBB229_31:                             ;   Parent Loop BB229_12 Depth=1
                                        ;     Parent Loop BB229_15 Depth=2
                                        ;       Parent Loop BB229_17 Depth=3
                                        ; =>      This Inner Loop Header: Depth=4
	s_waitcnt lgkmcnt(0)
	v_add_f64 v[33:34], v[23:24], v[19:20]
	ds_cmpstore_rtn_b64 v[33:34], v32, v[33:34], v[23:24] offset:8192
	s_waitcnt lgkmcnt(0)
	v_cmp_eq_u64_e32 vcc_lo, v[33:34], v[23:24]
	v_dual_mov_b32 v23, v33 :: v_dual_mov_b32 v24, v34
	s_or_b32 s38, vcc_lo, s38
	s_delay_alu instid0(SALU_CYCLE_1)
	s_and_not1_b32 exec_lo, exec_lo, s38
	s_cbranch_execnz .LBB229_31
; %bb.32:                               ;   in Loop: Header=BB229_17 Depth=3
	s_or_b32 exec_lo, exec_lo, s38
	ds_load_b64 v[23:24], v32 offset:8200
	s_mov_b32 s38, 0
.LBB229_33:                             ;   Parent Loop BB229_12 Depth=1
                                        ;     Parent Loop BB229_15 Depth=2
                                        ;       Parent Loop BB229_17 Depth=3
                                        ; =>      This Inner Loop Header: Depth=4
	s_waitcnt lgkmcnt(0)
	v_add_f64 v[33:34], v[23:24], v[21:22]
	ds_cmpstore_rtn_b64 v[33:34], v32, v[33:34], v[23:24] offset:8200
	s_waitcnt lgkmcnt(0)
	v_cmp_eq_u64_e32 vcc_lo, v[33:34], v[23:24]
	v_dual_mov_b32 v23, v33 :: v_dual_mov_b32 v24, v34
	s_or_b32 s38, vcc_lo, s38
	s_delay_alu instid0(SALU_CYCLE_1)
	s_and_not1_b32 exec_lo, exec_lo, s38
	s_cbranch_execnz .LBB229_33
; %bb.34:                               ;   in Loop: Header=BB229_17 Depth=3
	s_or_b32 exec_lo, exec_lo, s38
	s_delay_alu instid0(SALU_CYCLE_1)
	s_and_not1_b32 s37, s37, exec_lo
	s_branch .LBB229_16
.LBB229_35:
	s_or_b32 exec_lo, exec_lo, s2
.LBB229_36:
	s_delay_alu instid0(SALU_CYCLE_1)
	s_and_not1_b32 vcc_lo, exec_lo, s3
	s_cbranch_vccnz .LBB229_39
; %bb.37:
	s_waitcnt lgkmcnt(0)
	s_ashr_i32 s37, s36, 31
	v_sub_co_u32 v5, s4, v0, s27
	s_lshl_b64 s[0:1], s[36:37], 3
	v_sub_co_ci_u32_e64 v6, null, 0, 0, s4
	s_add_u32 s0, s16, s0
	s_addc_u32 s1, s17, s1
	s_load_b128 s[0:3], s[0:1], 0x0
	s_waitcnt lgkmcnt(0)
	v_add_co_u32 v5, vcc_lo, s0, v5
	v_add_co_ci_u32_e32 v6, vcc_lo, s1, v6, vcc_lo
	s_sub_u32 s0, s2, s27
	s_subb_u32 s1, s3, 0
	s_mov_b32 s3, 0
	s_mov_b32 s2, exec_lo
	v_cmpx_gt_i64_e64 s[0:1], v[5:6]
	s_cbranch_execnz .LBB229_76
.LBB229_38:
	s_or_b32 exec_lo, exec_lo, s2
.LBB229_39:
	v_mbcnt_lo_u32_b32 v1, -1, 0
	v_lshrrev_b32_e32 v2, 4, v0
	v_cmp_eq_u32_e32 vcc_lo, 0x3ff, v0
	v_cmp_lt_u32_e64 s0, 63, v0
	v_cmp_lt_u32_e64 s1, 0x7f, v0
	v_xor_b32_e32 v1, 63, v1
	v_dual_mov_b32 v4, 0 :: v_dual_and_b32 v3, 60, v2
	v_cmp_lt_u32_e64 s2, 0xbf, v0
	v_cmp_lt_u32_e64 s3, 0xff, v0
	s_delay_alu instid0(VALU_DEP_4) | instskip(NEXT) | instid1(VALU_DEP_4)
	v_lshrrev_b64 v[1:2], v1, -1
	v_dual_mov_b32 v3, 0 :: v_dual_add_nc_u32 v2, 0, v3
	v_cmp_lt_u32_e64 s4, 0x13f, v0
	v_cmp_lt_u32_e64 s5, 0x17f, v0
	;; [unrolled: 1-line block ×11, first 2 shown]
	s_mov_b32 s16, 0
	s_waitcnt lgkmcnt(0)
	s_barrier
	buffer_gl0_inv
	s_branch .LBB229_41
.LBB229_40:                             ;   in Loop: Header=BB229_41 Depth=1
	s_or_b32 exec_lo, exec_lo, s15
	s_waitcnt lgkmcnt(0)
	s_barrier
	buffer_gl0_inv
	ds_load_b32 v5, v3 offset:41020
	v_add_co_u32 v25, s15, 0x400, v25
	s_delay_alu instid0(VALU_DEP_1) | instskip(SKIP_3) | instid1(SALU_CYCLE_1)
	s_xor_b32 s15, s15, -1
	v_add_nc_u32_e32 v27, 0x4000, v27
	v_add_nc_u32_e32 v26, 0x1000, v26
	s_and_b32 s15, exec_lo, s15
	s_or_b32 s16, s15, s16
	s_waitcnt lgkmcnt(0)
	v_add_nc_u32_e32 v4, v5, v4
	s_and_not1_b32 exec_lo, exec_lo, s16
	s_cbranch_execz .LBB229_96
.LBB229_41:                             ; =>This Inner Loop Header: Depth=1
	ds_load_b32 v5, v26
	ds_load_2addr_b64 v[6:9], v27 offset1:1
	s_waitcnt lgkmcnt(1)
	v_cmp_gt_i32_e64 s15, s33, v5
	s_waitcnt lgkmcnt(0)
	scratch_store_b128 off, v[6:9], off
	s_waitcnt_vscnt null, 0x0
	s_barrier
	buffer_gl0_inv
	s_bcnt1_i32_b32 s17, s15
	s_delay_alu instid0(SALU_CYCLE_1) | instskip(NEXT) | instid1(VALU_DEP_1)
	v_dual_mov_b32 v7, s17 :: v_dual_and_b32 v6, s15, v1
	v_bcnt_u32_b32 v6, v6, 0
	ds_store_b32 v2, v7 offset:40960
	s_waitcnt lgkmcnt(0)
	s_barrier
	buffer_gl0_inv
	s_and_saveexec_b32 s17, s0
	s_cbranch_execnz .LBB229_58
; %bb.42:                               ;   in Loop: Header=BB229_41 Depth=1
	s_or_b32 exec_lo, exec_lo, s17
	s_and_saveexec_b32 s17, s1
	s_cbranch_execnz .LBB229_59
.LBB229_43:                             ;   in Loop: Header=BB229_41 Depth=1
	s_or_b32 exec_lo, exec_lo, s17
	s_and_saveexec_b32 s17, s2
	s_cbranch_execnz .LBB229_60
.LBB229_44:                             ;   in Loop: Header=BB229_41 Depth=1
	s_or_b32 exec_lo, exec_lo, s17
	s_and_saveexec_b32 s17, s3
	s_cbranch_execnz .LBB229_61
.LBB229_45:                             ;   in Loop: Header=BB229_41 Depth=1
	s_or_b32 exec_lo, exec_lo, s17
	s_and_saveexec_b32 s17, s4
	s_cbranch_execnz .LBB229_62
.LBB229_46:                             ;   in Loop: Header=BB229_41 Depth=1
	s_or_b32 exec_lo, exec_lo, s17
	s_and_saveexec_b32 s17, s5
	s_cbranch_execnz .LBB229_63
.LBB229_47:                             ;   in Loop: Header=BB229_41 Depth=1
	s_or_b32 exec_lo, exec_lo, s17
	s_and_saveexec_b32 s17, s6
	s_cbranch_execnz .LBB229_64
.LBB229_48:                             ;   in Loop: Header=BB229_41 Depth=1
	s_or_b32 exec_lo, exec_lo, s17
	s_and_saveexec_b32 s17, s7
	s_cbranch_execnz .LBB229_65
.LBB229_49:                             ;   in Loop: Header=BB229_41 Depth=1
	s_or_b32 exec_lo, exec_lo, s17
	s_and_saveexec_b32 s17, s8
	s_cbranch_execnz .LBB229_66
.LBB229_50:                             ;   in Loop: Header=BB229_41 Depth=1
	s_or_b32 exec_lo, exec_lo, s17
	s_and_saveexec_b32 s17, s9
	s_cbranch_execnz .LBB229_67
.LBB229_51:                             ;   in Loop: Header=BB229_41 Depth=1
	s_or_b32 exec_lo, exec_lo, s17
	s_and_saveexec_b32 s17, s10
	s_cbranch_execnz .LBB229_68
.LBB229_52:                             ;   in Loop: Header=BB229_41 Depth=1
	s_or_b32 exec_lo, exec_lo, s17
	s_and_saveexec_b32 s17, s11
	s_cbranch_execnz .LBB229_69
.LBB229_53:                             ;   in Loop: Header=BB229_41 Depth=1
	s_or_b32 exec_lo, exec_lo, s17
	s_and_saveexec_b32 s17, s12
	s_cbranch_execnz .LBB229_70
.LBB229_54:                             ;   in Loop: Header=BB229_41 Depth=1
	s_or_b32 exec_lo, exec_lo, s17
	s_and_saveexec_b32 s17, s13
	s_cbranch_execnz .LBB229_71
.LBB229_55:                             ;   in Loop: Header=BB229_41 Depth=1
	s_or_b32 exec_lo, exec_lo, s17
	s_and_saveexec_b32 s17, s14
	s_cbranch_execnz .LBB229_72
.LBB229_56:                             ;   in Loop: Header=BB229_41 Depth=1
	s_or_b32 exec_lo, exec_lo, s17
	s_and_saveexec_b32 s17, s15
	s_cbranch_execnz .LBB229_73
.LBB229_57:                             ;   in Loop: Header=BB229_41 Depth=1
	s_or_b32 exec_lo, exec_lo, s17
	s_and_saveexec_b32 s15, vcc_lo
	s_cbranch_execz .LBB229_40
	s_branch .LBB229_74
.LBB229_58:                             ;   in Loop: Header=BB229_41 Depth=1
	ds_load_b32 v7, v3 offset:40960
	s_waitcnt lgkmcnt(0)
	v_add_nc_u32_e32 v6, v7, v6
	s_or_b32 exec_lo, exec_lo, s17
	s_and_saveexec_b32 s17, s1
	s_cbranch_execz .LBB229_43
.LBB229_59:                             ;   in Loop: Header=BB229_41 Depth=1
	ds_load_b32 v7, v3 offset:40964
	s_waitcnt lgkmcnt(0)
	v_add_nc_u32_e32 v6, v7, v6
	s_or_b32 exec_lo, exec_lo, s17
	s_and_saveexec_b32 s17, s2
	s_cbranch_execz .LBB229_44
.LBB229_60:                             ;   in Loop: Header=BB229_41 Depth=1
	ds_load_b32 v7, v3 offset:40968
	s_waitcnt lgkmcnt(0)
	v_add_nc_u32_e32 v6, v7, v6
	s_or_b32 exec_lo, exec_lo, s17
	s_and_saveexec_b32 s17, s3
	s_cbranch_execz .LBB229_45
.LBB229_61:                             ;   in Loop: Header=BB229_41 Depth=1
	ds_load_b32 v7, v3 offset:40972
	s_waitcnt lgkmcnt(0)
	v_add_nc_u32_e32 v6, v7, v6
	s_or_b32 exec_lo, exec_lo, s17
	s_and_saveexec_b32 s17, s4
	s_cbranch_execz .LBB229_46
.LBB229_62:                             ;   in Loop: Header=BB229_41 Depth=1
	ds_load_b32 v7, v3 offset:40976
	s_waitcnt lgkmcnt(0)
	v_add_nc_u32_e32 v6, v7, v6
	s_or_b32 exec_lo, exec_lo, s17
	s_and_saveexec_b32 s17, s5
	s_cbranch_execz .LBB229_47
.LBB229_63:                             ;   in Loop: Header=BB229_41 Depth=1
	ds_load_b32 v7, v3 offset:40980
	s_waitcnt lgkmcnt(0)
	v_add_nc_u32_e32 v6, v7, v6
	s_or_b32 exec_lo, exec_lo, s17
	s_and_saveexec_b32 s17, s6
	s_cbranch_execz .LBB229_48
.LBB229_64:                             ;   in Loop: Header=BB229_41 Depth=1
	ds_load_b32 v7, v3 offset:40984
	s_waitcnt lgkmcnt(0)
	v_add_nc_u32_e32 v6, v7, v6
	s_or_b32 exec_lo, exec_lo, s17
	s_and_saveexec_b32 s17, s7
	s_cbranch_execz .LBB229_49
.LBB229_65:                             ;   in Loop: Header=BB229_41 Depth=1
	ds_load_b32 v7, v3 offset:40988
	s_waitcnt lgkmcnt(0)
	v_add_nc_u32_e32 v6, v7, v6
	s_or_b32 exec_lo, exec_lo, s17
	s_and_saveexec_b32 s17, s8
	s_cbranch_execz .LBB229_50
.LBB229_66:                             ;   in Loop: Header=BB229_41 Depth=1
	ds_load_b32 v7, v3 offset:40992
	s_waitcnt lgkmcnt(0)
	v_add_nc_u32_e32 v6, v7, v6
	s_or_b32 exec_lo, exec_lo, s17
	s_and_saveexec_b32 s17, s9
	s_cbranch_execz .LBB229_51
.LBB229_67:                             ;   in Loop: Header=BB229_41 Depth=1
	ds_load_b32 v7, v3 offset:40996
	s_waitcnt lgkmcnt(0)
	v_add_nc_u32_e32 v6, v7, v6
	s_or_b32 exec_lo, exec_lo, s17
	s_and_saveexec_b32 s17, s10
	s_cbranch_execz .LBB229_52
.LBB229_68:                             ;   in Loop: Header=BB229_41 Depth=1
	ds_load_b32 v7, v3 offset:41000
	s_waitcnt lgkmcnt(0)
	v_add_nc_u32_e32 v6, v7, v6
	s_or_b32 exec_lo, exec_lo, s17
	s_and_saveexec_b32 s17, s11
	s_cbranch_execz .LBB229_53
.LBB229_69:                             ;   in Loop: Header=BB229_41 Depth=1
	ds_load_b32 v7, v3 offset:41004
	s_waitcnt lgkmcnt(0)
	v_add_nc_u32_e32 v6, v7, v6
	s_or_b32 exec_lo, exec_lo, s17
	s_and_saveexec_b32 s17, s12
	s_cbranch_execz .LBB229_54
.LBB229_70:                             ;   in Loop: Header=BB229_41 Depth=1
	ds_load_b32 v7, v3 offset:41008
	s_waitcnt lgkmcnt(0)
	v_add_nc_u32_e32 v6, v7, v6
	s_or_b32 exec_lo, exec_lo, s17
	s_and_saveexec_b32 s17, s13
	s_cbranch_execz .LBB229_55
.LBB229_71:                             ;   in Loop: Header=BB229_41 Depth=1
	ds_load_b32 v7, v3 offset:41012
	s_waitcnt lgkmcnt(0)
	v_add_nc_u32_e32 v6, v7, v6
	s_or_b32 exec_lo, exec_lo, s17
	s_and_saveexec_b32 s17, s14
	s_cbranch_execz .LBB229_56
.LBB229_72:                             ;   in Loop: Header=BB229_41 Depth=1
	ds_load_b32 v7, v3 offset:41016
	s_waitcnt lgkmcnt(0)
	v_add_nc_u32_e32 v6, v7, v6
	s_or_b32 exec_lo, exec_lo, s17
	s_and_saveexec_b32 s17, s15
	s_cbranch_execz .LBB229_57
.LBB229_73:                             ;   in Loop: Header=BB229_41 Depth=1
	scratch_load_b128 v[7:10], off, off
	v_add3_u32 v11, v4, -1, v6
	s_delay_alu instid0(VALU_DEP_1) | instskip(SKIP_1) | instid1(VALU_DEP_2)
	v_lshlrev_b32_e32 v12, 4, v11
	v_lshl_add_u32 v11, v11, 2, 0
	v_add3_u32 v12, 0, v12, 0x2000
	ds_store_b32 v11, v5
	s_waitcnt vmcnt(0)
	ds_store_2addr_b64 v12, v[7:8], v[9:10] offset1:1
	s_or_b32 exec_lo, exec_lo, s17
	s_and_saveexec_b32 s15, vcc_lo
	s_cbranch_execz .LBB229_40
.LBB229_74:                             ;   in Loop: Header=BB229_41 Depth=1
	ds_store_b32 v3, v6 offset:41020
	s_branch .LBB229_40
.LBB229_75:                             ;   in Loop: Header=BB229_76 Depth=1
	s_or_b32 exec_lo, exec_lo, s4
	v_add_co_u32 v5, vcc_lo, 0x400, v5
	v_add_co_ci_u32_e32 v6, vcc_lo, 0, v6, vcc_lo
	s_delay_alu instid0(VALU_DEP_1) | instskip(SKIP_1) | instid1(SALU_CYCLE_1)
	v_cmp_le_i64_e32 vcc_lo, s[0:1], v[5:6]
	s_or_b32 s3, vcc_lo, s3
	s_and_not1_b32 exec_lo, exec_lo, s3
	s_cbranch_execz .LBB229_38
.LBB229_76:                             ; =>This Loop Header: Depth=1
                                        ;     Child Loop BB229_78 Depth 2
                                        ;       Child Loop BB229_84 Depth 3
                                        ;       Child Loop BB229_86 Depth 3
	;; [unrolled: 1-line block ×4, first 2 shown]
	v_lshlrev_b64 v[7:8], 4, v[5:6]
	s_mov_b32 s4, 0
	s_delay_alu instid0(VALU_DEP_1) | instskip(NEXT) | instid1(VALU_DEP_2)
	v_add_co_u32 v7, vcc_lo, s20, v7
	v_add_co_ci_u32_e32 v8, vcc_lo, s21, v8, vcc_lo
	global_load_b128 v[9:12], v[7:8], off
	v_lshlrev_b64 v[7:8], 2, v[5:6]
	s_delay_alu instid0(VALU_DEP_1) | instskip(NEXT) | instid1(VALU_DEP_2)
	v_add_co_u32 v7, vcc_lo, s18, v7
	v_add_co_ci_u32_e32 v8, vcc_lo, s19, v8, vcc_lo
	global_load_b32 v13, v[7:8], off
	s_waitcnt vmcnt(1)
	v_mul_f64 v[7:8], v[11:12], -v[1:2]
	v_mul_f64 v[11:12], v[3:4], v[11:12]
	s_waitcnt vmcnt(0)
	v_subrev_nc_u32_e32 v13, s27, v13
	s_delay_alu instid0(VALU_DEP_3) | instskip(NEXT) | instid1(VALU_DEP_3)
	v_fma_f64 v[7:8], v[3:4], v[9:10], v[7:8]
	v_fma_f64 v[9:10], v[1:2], v[9:10], v[11:12]
	s_delay_alu instid0(VALU_DEP_3) | instskip(NEXT) | instid1(VALU_DEP_1)
	v_mul_lo_u32 v11, 0x89, v13
	v_and_b32_e32 v14, 0x7ff, v11
	s_branch .LBB229_78
.LBB229_77:                             ;   in Loop: Header=BB229_78 Depth=2
	s_or_b32 exec_lo, exec_lo, s5
	s_xor_b32 s5, s6, -1
	s_delay_alu instid0(SALU_CYCLE_1) | instskip(NEXT) | instid1(SALU_CYCLE_1)
	s_and_b32 s5, exec_lo, s5
	s_or_b32 s4, s5, s4
	s_delay_alu instid0(SALU_CYCLE_1)
	s_and_not1_b32 exec_lo, exec_lo, s4
	s_cbranch_execz .LBB229_75
.LBB229_78:                             ;   Parent Loop BB229_76 Depth=1
                                        ; =>  This Loop Header: Depth=2
                                        ;       Child Loop BB229_84 Depth 3
                                        ;       Child Loop BB229_86 Depth 3
	;; [unrolled: 1-line block ×4, first 2 shown]
	s_delay_alu instid0(VALU_DEP_1)
	v_lshl_add_u32 v11, v14, 2, 0
	s_mov_b32 s5, exec_lo
                                        ; implicit-def: $sgpr6
	ds_load_b32 v12, v11
	s_waitcnt lgkmcnt(0)
	v_cmpx_ne_u32_e64 v12, v13
	s_xor_b32 s5, exec_lo, s5
	s_cbranch_execz .LBB229_90
; %bb.79:                               ;   in Loop: Header=BB229_78 Depth=2
	s_mov_b32 s7, exec_lo
                                        ; implicit-def: $sgpr6
	v_cmpx_ne_u32_e64 s33, v12
	s_xor_b32 s7, exec_lo, s7
; %bb.80:                               ;   in Loop: Header=BB229_78 Depth=2
	v_add_nc_u32_e32 v11, 1, v14
	s_mov_b32 s6, -1
	s_delay_alu instid0(VALU_DEP_1)
	v_and_b32_e32 v14, 0x7ff, v11
                                        ; implicit-def: $vgpr11
; %bb.81:                               ;   in Loop: Header=BB229_78 Depth=2
	s_and_not1_saveexec_b32 s7, s7
	s_cbranch_execz .LBB229_89
; %bb.82:                               ;   in Loop: Header=BB229_78 Depth=2
	v_mov_b32_e32 v12, s33
	s_mov_b32 s9, -1
	s_mov_b32 s8, exec_lo
	ds_cmpstore_rtn_b32 v12, v11, v13, v12
	s_waitcnt lgkmcnt(0)
	v_cmpx_eq_u32_e64 s33, v12
	s_cbranch_execz .LBB229_88
; %bb.83:                               ;   in Loop: Header=BB229_78 Depth=2
	v_mul_lo_u32 v12, v14, 12
	s_mov_b32 s9, 0
	s_delay_alu instid0(VALU_DEP_1)
	v_add_nc_u32_e32 v15, v11, v12
	ds_load_b64 v[11:12], v15 offset:8192
.LBB229_84:                             ;   Parent Loop BB229_76 Depth=1
                                        ;     Parent Loop BB229_78 Depth=2
                                        ; =>    This Inner Loop Header: Depth=3
	s_waitcnt lgkmcnt(0)
	v_add_f64 v[16:17], v[11:12], v[7:8]
	ds_cmpstore_rtn_b64 v[16:17], v15, v[16:17], v[11:12] offset:8192
	s_waitcnt lgkmcnt(0)
	v_cmp_eq_u64_e32 vcc_lo, v[16:17], v[11:12]
	v_dual_mov_b32 v11, v16 :: v_dual_mov_b32 v12, v17
	s_or_b32 s9, vcc_lo, s9
	s_delay_alu instid0(SALU_CYCLE_1)
	s_and_not1_b32 exec_lo, exec_lo, s9
	s_cbranch_execnz .LBB229_84
; %bb.85:                               ;   in Loop: Header=BB229_78 Depth=2
	s_or_b32 exec_lo, exec_lo, s9
	ds_load_b64 v[11:12], v15 offset:8200
	s_mov_b32 s9, 0
.LBB229_86:                             ;   Parent Loop BB229_76 Depth=1
                                        ;     Parent Loop BB229_78 Depth=2
                                        ; =>    This Inner Loop Header: Depth=3
	s_waitcnt lgkmcnt(0)
	v_add_f64 v[16:17], v[11:12], v[9:10]
	ds_cmpstore_rtn_b64 v[16:17], v15, v[16:17], v[11:12] offset:8200
	s_waitcnt lgkmcnt(0)
	v_cmp_eq_u64_e32 vcc_lo, v[16:17], v[11:12]
	v_dual_mov_b32 v11, v16 :: v_dual_mov_b32 v12, v17
	s_or_b32 s9, vcc_lo, s9
	s_delay_alu instid0(SALU_CYCLE_1)
	s_and_not1_b32 exec_lo, exec_lo, s9
	s_cbranch_execnz .LBB229_86
; %bb.87:                               ;   in Loop: Header=BB229_78 Depth=2
	s_or_b32 exec_lo, exec_lo, s9
	s_delay_alu instid0(SALU_CYCLE_1)
	s_xor_b32 s9, exec_lo, -1
.LBB229_88:                             ;   in Loop: Header=BB229_78 Depth=2
	s_or_b32 exec_lo, exec_lo, s8
	s_delay_alu instid0(SALU_CYCLE_1) | instskip(SKIP_1) | instid1(SALU_CYCLE_1)
	s_and_not1_b32 s6, s6, exec_lo
	s_and_b32 s8, s9, exec_lo
	s_or_b32 s6, s6, s8
.LBB229_89:                             ;   in Loop: Header=BB229_78 Depth=2
	s_or_b32 exec_lo, exec_lo, s7
	s_delay_alu instid0(SALU_CYCLE_1)
	s_and_b32 s6, s6, exec_lo
                                        ; implicit-def: $vgpr11
.LBB229_90:                             ;   in Loop: Header=BB229_78 Depth=2
	s_and_not1_saveexec_b32 s5, s5
	s_cbranch_execz .LBB229_77
; %bb.91:                               ;   in Loop: Header=BB229_78 Depth=2
	v_mul_lo_u32 v12, v14, 12
	s_mov_b32 s7, 0
	s_delay_alu instid0(VALU_DEP_1)
	v_add_nc_u32_e32 v15, v11, v12
	ds_load_b64 v[11:12], v15 offset:8192
.LBB229_92:                             ;   Parent Loop BB229_76 Depth=1
                                        ;     Parent Loop BB229_78 Depth=2
                                        ; =>    This Inner Loop Header: Depth=3
	s_waitcnt lgkmcnt(0)
	v_add_f64 v[16:17], v[11:12], v[7:8]
	ds_cmpstore_rtn_b64 v[16:17], v15, v[16:17], v[11:12] offset:8192
	s_waitcnt lgkmcnt(0)
	v_cmp_eq_u64_e32 vcc_lo, v[16:17], v[11:12]
	v_dual_mov_b32 v11, v16 :: v_dual_mov_b32 v12, v17
	s_or_b32 s7, vcc_lo, s7
	s_delay_alu instid0(SALU_CYCLE_1)
	s_and_not1_b32 exec_lo, exec_lo, s7
	s_cbranch_execnz .LBB229_92
; %bb.93:                               ;   in Loop: Header=BB229_78 Depth=2
	s_or_b32 exec_lo, exec_lo, s7
	ds_load_b64 v[11:12], v15 offset:8200
	s_mov_b32 s7, 0
.LBB229_94:                             ;   Parent Loop BB229_76 Depth=1
                                        ;     Parent Loop BB229_78 Depth=2
                                        ; =>    This Inner Loop Header: Depth=3
	s_waitcnt lgkmcnt(0)
	v_add_f64 v[16:17], v[11:12], v[9:10]
	ds_cmpstore_rtn_b64 v[16:17], v15, v[16:17], v[11:12] offset:8200
	s_waitcnt lgkmcnt(0)
	v_cmp_eq_u64_e32 vcc_lo, v[16:17], v[11:12]
	v_dual_mov_b32 v11, v16 :: v_dual_mov_b32 v12, v17
	s_or_b32 s7, vcc_lo, s7
	s_delay_alu instid0(SALU_CYCLE_1)
	s_and_not1_b32 exec_lo, exec_lo, s7
	s_cbranch_execnz .LBB229_94
; %bb.95:                               ;   in Loop: Header=BB229_78 Depth=2
	s_or_b32 exec_lo, exec_lo, s7
	s_delay_alu instid0(SALU_CYCLE_1)
	s_and_not1_b32 s6, s6, exec_lo
	s_branch .LBB229_77
.LBB229_96:
	s_or_b32 exec_lo, exec_lo, s16
	s_ashr_i32 s37, s36, 31
	s_mov_b32 s4, exec_lo
	s_lshl_b64 s[0:1], s[36:37], 3
	s_delay_alu instid0(SALU_CYCLE_1) | instskip(SKIP_4) | instid1(SALU_CYCLE_1)
	s_add_u32 s0, s22, s0
	s_addc_u32 s1, s23, s1
	s_load_b128 s[0:3], s[0:1], 0x0
	s_waitcnt lgkmcnt(0)
	s_sub_i32 s3, s2, s0
	v_cmpx_gt_i32_e64 s3, v0
	s_cbranch_execz .LBB229_106
; %bb.97:
	s_sub_u32 s4, s0, s26
	s_subb_u32 s5, s1, 0
	s_sub_i32 s0, s0, s2
	s_and_b32 s1, s3, 7
	s_cmp_lt_u32 s0, -7
	s_mov_b32 s8, 0
	s_cselect_b32 s2, -1, 0
	s_and_b32 s6, s3, -8
	s_cmp_lg_u32 s1, 0
	s_cselect_b32 s7, -1, 0
	s_branch .LBB229_99
.LBB229_98:                             ;   in Loop: Header=BB229_99 Depth=1
	s_waitcnt lgkmcnt(0)
	v_mul_lo_u32 v4, v0, 12
	v_lshlrev_b64 v[1:2], 4, v[1:2]
	v_add_nc_u32_e32 v0, 0x400, v0
	s_delay_alu instid0(VALU_DEP_1) | instskip(NEXT) | instid1(VALU_DEP_4)
	v_cmp_le_i32_e32 vcc_lo, s3, v0
	v_add3_u32 v3, v3, v4, 0x2000
	s_delay_alu instid0(VALU_DEP_4) | instskip(NEXT) | instid1(VALU_DEP_1)
	v_add_co_u32 v1, s0, s34, v1
	v_add_co_ci_u32_e64 v2, s0, s35, v2, s0
	ds_load_2addr_b64 v[3:6], v3 offset1:1
	s_or_b32 s8, vcc_lo, s8
	s_waitcnt lgkmcnt(0)
	global_store_b128 v[1:2], v[3:6], off
	s_and_not1_b32 exec_lo, exec_lo, s8
	s_cbranch_execz .LBB229_106
.LBB229_99:                             ; =>This Loop Header: Depth=1
                                        ;     Child Loop BB229_101 Depth 2
                                        ;     Child Loop BB229_105 Depth 2
	v_lshl_add_u32 v3, v0, 2, 0
	v_dual_mov_b32 v1, s4 :: v_dual_mov_b32 v2, s5
	s_and_not1_b32 vcc_lo, exec_lo, s2
	s_mov_b32 s0, 0
	ds_load_b32 v4, v3
	s_cbranch_vccnz .LBB229_103
; %bb.100:                              ;   in Loop: Header=BB229_99 Depth=1
	v_dual_mov_b32 v1, s4 :: v_dual_mov_b32 v2, s5
	s_mov_b32 s9, 0
	s_mov_b32 s10, 0
.LBB229_101:                            ;   Parent Loop BB229_99 Depth=1
                                        ; =>  This Inner Loop Header: Depth=2
	s_delay_alu instid0(SALU_CYCLE_1)
	v_mov_b32_e32 v11, s10
	s_add_i32 s9, s9, 8
	s_add_i32 s10, s10, 32
	s_cmp_eq_u32 s6, s9
	ds_load_2addr_b32 v[5:6], v11 offset1:1
	ds_load_2addr_b32 v[7:8], v11 offset0:2 offset1:3
	ds_load_2addr_b32 v[9:10], v11 offset0:4 offset1:5
	;; [unrolled: 1-line block ×3, first 2 shown]
	s_waitcnt lgkmcnt(3)
	v_cmp_gt_i32_e32 vcc_lo, v4, v5
	v_cndmask_b32_e64 v5, 0, 1, vcc_lo
	v_cmp_gt_i32_e32 vcc_lo, v4, v6
	v_cndmask_b32_e64 v6, 0, 1, vcc_lo
	s_waitcnt lgkmcnt(2)
	v_cmp_gt_i32_e32 vcc_lo, v4, v7
	v_cndmask_b32_e64 v7, 0, 1, vcc_lo
	v_cmp_gt_i32_e32 vcc_lo, v4, v8
	v_cndmask_b32_e64 v8, 0, 1, vcc_lo
	s_waitcnt lgkmcnt(1)
	v_cmp_gt_i32_e32 vcc_lo, v4, v9
	v_cndmask_b32_e64 v9, 0, 1, vcc_lo
	v_add_co_u32 v1, vcc_lo, v1, v5
	v_add_co_ci_u32_e32 v2, vcc_lo, 0, v2, vcc_lo
	v_cmp_gt_i32_e32 vcc_lo, v4, v10
	s_delay_alu instid0(VALU_DEP_3) | instskip(NEXT) | instid1(VALU_DEP_1)
	v_add_co_u32 v1, s0, v1, v6
	v_add_co_ci_u32_e64 v2, s0, 0, v2, s0
	v_cndmask_b32_e64 v5, 0, 1, vcc_lo
	s_delay_alu instid0(VALU_DEP_3) | instskip(NEXT) | instid1(VALU_DEP_3)
	v_add_co_u32 v1, vcc_lo, v1, v7
	v_add_co_ci_u32_e32 v2, vcc_lo, 0, v2, vcc_lo
	s_waitcnt lgkmcnt(0)
	v_cmp_gt_i32_e32 vcc_lo, v4, v11
	s_delay_alu instid0(VALU_DEP_3) | instskip(NEXT) | instid1(VALU_DEP_1)
	v_add_co_u32 v1, s0, v1, v8
	v_add_co_ci_u32_e64 v2, s0, 0, v2, s0
	v_cndmask_b32_e64 v6, 0, 1, vcc_lo
	s_delay_alu instid0(VALU_DEP_3) | instskip(NEXT) | instid1(VALU_DEP_3)
	v_add_co_u32 v1, vcc_lo, v1, v9
	v_add_co_ci_u32_e32 v2, vcc_lo, 0, v2, vcc_lo
	v_cmp_gt_i32_e32 vcc_lo, v4, v12
	s_delay_alu instid0(VALU_DEP_3) | instskip(NEXT) | instid1(VALU_DEP_1)
	v_add_co_u32 v1, s0, v1, v5
	v_add_co_ci_u32_e64 v2, s0, 0, v2, s0
	v_cndmask_b32_e64 v5, 0, 1, vcc_lo
	s_delay_alu instid0(VALU_DEP_3) | instskip(NEXT) | instid1(VALU_DEP_3)
	v_add_co_u32 v1, vcc_lo, v1, v6
	v_add_co_ci_u32_e32 v2, vcc_lo, 0, v2, vcc_lo
	s_delay_alu instid0(VALU_DEP_2) | instskip(NEXT) | instid1(VALU_DEP_2)
	v_add_co_u32 v1, vcc_lo, v1, v5
	v_add_co_ci_u32_e32 v2, vcc_lo, 0, v2, vcc_lo
	s_cbranch_scc0 .LBB229_101
; %bb.102:                              ;   in Loop: Header=BB229_99 Depth=1
	s_mov_b32 s0, s6
.LBB229_103:                            ;   in Loop: Header=BB229_99 Depth=1
	s_and_not1_b32 vcc_lo, exec_lo, s7
	s_cbranch_vccnz .LBB229_98
; %bb.104:                              ;   in Loop: Header=BB229_99 Depth=1
	s_lshl_b32 s0, s0, 2
	s_mov_b32 s9, s1
	s_add_i32 s0, s0, 0
.LBB229_105:                            ;   Parent Loop BB229_99 Depth=1
                                        ; =>  This Inner Loop Header: Depth=2
	s_delay_alu instid0(SALU_CYCLE_1)
	v_mov_b32_e32 v5, s0
	s_add_i32 s9, s9, -1
	s_add_i32 s0, s0, 4
	s_cmp_lg_u32 s9, 0
	ds_load_b32 v5, v5
	s_waitcnt lgkmcnt(0)
	v_cmp_gt_i32_e32 vcc_lo, v4, v5
	v_cndmask_b32_e64 v5, 0, 1, vcc_lo
	s_delay_alu instid0(VALU_DEP_1)
	v_add_co_u32 v1, vcc_lo, v1, v5
	v_add_co_ci_u32_e32 v2, vcc_lo, 0, v2, vcc_lo
	s_cbranch_scc1 .LBB229_105
	s_branch .LBB229_98
.LBB229_106:
	s_nop 0
	s_sendmsg sendmsg(MSG_DEALLOC_VGPRS)
	s_endpgm
	.section	.rodata,"a",@progbits
	.p2align	6, 0x0
	.amdhsa_kernel _ZN9rocsparseL41csrgemm_numeric_fill_block_per_row_kernelILj1024ELj32ELj2048ELj137ELj64Eli21rocsparse_complex_numIdEEEvT5_PKS3_S5_NS_24const_host_device_scalarIT6_EEPKT4_S5_PKS7_SB_S5_SD_S8_SB_S5_SD_SB_S5_PS7_21rocsparse_index_base_SF_SF_SF_bbb
		.amdhsa_group_segment_fixed_size 0
		.amdhsa_private_segment_fixed_size 40
		.amdhsa_kernarg_size 172
		.amdhsa_user_sgpr_count 15
		.amdhsa_user_sgpr_dispatch_ptr 0
		.amdhsa_user_sgpr_queue_ptr 0
		.amdhsa_user_sgpr_kernarg_segment_ptr 1
		.amdhsa_user_sgpr_dispatch_id 0
		.amdhsa_user_sgpr_private_segment_size 0
		.amdhsa_wavefront_size32 1
		.amdhsa_uses_dynamic_stack 0
		.amdhsa_enable_private_segment 1
		.amdhsa_system_sgpr_workgroup_id_x 1
		.amdhsa_system_sgpr_workgroup_id_y 0
		.amdhsa_system_sgpr_workgroup_id_z 0
		.amdhsa_system_sgpr_workgroup_info 0
		.amdhsa_system_vgpr_workitem_id 0
		.amdhsa_next_free_vgpr 35
		.amdhsa_next_free_sgpr 46
		.amdhsa_reserve_vcc 1
		.amdhsa_float_round_mode_32 0
		.amdhsa_float_round_mode_16_64 0
		.amdhsa_float_denorm_mode_32 3
		.amdhsa_float_denorm_mode_16_64 3
		.amdhsa_dx10_clamp 1
		.amdhsa_ieee_mode 1
		.amdhsa_fp16_overflow 0
		.amdhsa_workgroup_processor_mode 1
		.amdhsa_memory_ordered 1
		.amdhsa_forward_progress 0
		.amdhsa_shared_vgpr_count 0
		.amdhsa_exception_fp_ieee_invalid_op 0
		.amdhsa_exception_fp_denorm_src 0
		.amdhsa_exception_fp_ieee_div_zero 0
		.amdhsa_exception_fp_ieee_overflow 0
		.amdhsa_exception_fp_ieee_underflow 0
		.amdhsa_exception_fp_ieee_inexact 0
		.amdhsa_exception_int_div_zero 0
	.end_amdhsa_kernel
	.section	.text._ZN9rocsparseL41csrgemm_numeric_fill_block_per_row_kernelILj1024ELj32ELj2048ELj137ELj64Eli21rocsparse_complex_numIdEEEvT5_PKS3_S5_NS_24const_host_device_scalarIT6_EEPKT4_S5_PKS7_SB_S5_SD_S8_SB_S5_SD_SB_S5_PS7_21rocsparse_index_base_SF_SF_SF_bbb,"axG",@progbits,_ZN9rocsparseL41csrgemm_numeric_fill_block_per_row_kernelILj1024ELj32ELj2048ELj137ELj64Eli21rocsparse_complex_numIdEEEvT5_PKS3_S5_NS_24const_host_device_scalarIT6_EEPKT4_S5_PKS7_SB_S5_SD_S8_SB_S5_SD_SB_S5_PS7_21rocsparse_index_base_SF_SF_SF_bbb,comdat
.Lfunc_end229:
	.size	_ZN9rocsparseL41csrgemm_numeric_fill_block_per_row_kernelILj1024ELj32ELj2048ELj137ELj64Eli21rocsparse_complex_numIdEEEvT5_PKS3_S5_NS_24const_host_device_scalarIT6_EEPKT4_S5_PKS7_SB_S5_SD_S8_SB_S5_SD_SB_S5_PS7_21rocsparse_index_base_SF_SF_SF_bbb, .Lfunc_end229-_ZN9rocsparseL41csrgemm_numeric_fill_block_per_row_kernelILj1024ELj32ELj2048ELj137ELj64Eli21rocsparse_complex_numIdEEEvT5_PKS3_S5_NS_24const_host_device_scalarIT6_EEPKT4_S5_PKS7_SB_S5_SD_S8_SB_S5_SD_SB_S5_PS7_21rocsparse_index_base_SF_SF_SF_bbb
                                        ; -- End function
	.section	.AMDGPU.csdata,"",@progbits
; Kernel info:
; codeLenInByte = 4320
; NumSgprs: 48
; NumVgprs: 35
; ScratchSize: 40
; MemoryBound: 0
; FloatMode: 240
; IeeeMode: 1
; LDSByteSize: 0 bytes/workgroup (compile time only)
; SGPRBlocks: 5
; VGPRBlocks: 4
; NumSGPRsForWavesPerEU: 48
; NumVGPRsForWavesPerEU: 35
; Occupancy: 16
; WaveLimiterHint : 1
; COMPUTE_PGM_RSRC2:SCRATCH_EN: 1
; COMPUTE_PGM_RSRC2:USER_SGPR: 15
; COMPUTE_PGM_RSRC2:TRAP_HANDLER: 0
; COMPUTE_PGM_RSRC2:TGID_X_EN: 1
; COMPUTE_PGM_RSRC2:TGID_Y_EN: 0
; COMPUTE_PGM_RSRC2:TGID_Z_EN: 0
; COMPUTE_PGM_RSRC2:TIDIG_COMP_CNT: 0
	.section	.text._ZN9rocsparseL41csrgemm_numeric_fill_block_per_row_kernelILj1024ELj64ELj4096ELj137ELj32Eli21rocsparse_complex_numIdEEEvT5_PKS3_S5_NS_24const_host_device_scalarIT6_EEPKT4_S5_PKS7_SB_S5_SD_S8_SB_S5_SD_SB_S5_PS7_21rocsparse_index_base_SF_SF_SF_bbb,"axG",@progbits,_ZN9rocsparseL41csrgemm_numeric_fill_block_per_row_kernelILj1024ELj64ELj4096ELj137ELj32Eli21rocsparse_complex_numIdEEEvT5_PKS3_S5_NS_24const_host_device_scalarIT6_EEPKT4_S5_PKS7_SB_S5_SD_S8_SB_S5_SD_SB_S5_PS7_21rocsparse_index_base_SF_SF_SF_bbb,comdat
	.globl	_ZN9rocsparseL41csrgemm_numeric_fill_block_per_row_kernelILj1024ELj64ELj4096ELj137ELj32Eli21rocsparse_complex_numIdEEEvT5_PKS3_S5_NS_24const_host_device_scalarIT6_EEPKT4_S5_PKS7_SB_S5_SD_S8_SB_S5_SD_SB_S5_PS7_21rocsparse_index_base_SF_SF_SF_bbb ; -- Begin function _ZN9rocsparseL41csrgemm_numeric_fill_block_per_row_kernelILj1024ELj64ELj4096ELj137ELj32Eli21rocsparse_complex_numIdEEEvT5_PKS3_S5_NS_24const_host_device_scalarIT6_EEPKT4_S5_PKS7_SB_S5_SD_S8_SB_S5_SD_SB_S5_PS7_21rocsparse_index_base_SF_SF_SF_bbb
	.p2align	8
	.type	_ZN9rocsparseL41csrgemm_numeric_fill_block_per_row_kernelILj1024ELj64ELj4096ELj137ELj32Eli21rocsparse_complex_numIdEEEvT5_PKS3_S5_NS_24const_host_device_scalarIT6_EEPKT4_S5_PKS7_SB_S5_SD_S8_SB_S5_SD_SB_S5_PS7_21rocsparse_index_base_SF_SF_SF_bbb,@function
_ZN9rocsparseL41csrgemm_numeric_fill_block_per_row_kernelILj1024ELj64ELj4096ELj137ELj32Eli21rocsparse_complex_numIdEEEvT5_PKS3_S5_NS_24const_host_device_scalarIT6_EEPKT4_S5_PKS7_SB_S5_SD_S8_SB_S5_SD_SB_S5_PS7_21rocsparse_index_base_SF_SF_SF_bbb: ; @_ZN9rocsparseL41csrgemm_numeric_fill_block_per_row_kernelILj1024ELj64ELj4096ELj137ELj32Eli21rocsparse_complex_numIdEEEvT5_PKS3_S5_NS_24const_host_device_scalarIT6_EEPKT4_S5_PKS7_SB_S5_SD_S8_SB_S5_SD_SB_S5_PS7_21rocsparse_index_base_SF_SF_SF_bbb
; %bb.0:
	s_clause 0x3
	s_load_b32 s14, s[0:1], 0xa8
	s_load_b128 s[4:7], s[0:1], 0x18
	s_load_b128 s[20:23], s[0:1], 0x58
	;; [unrolled: 1-line block ×3, first 2 shown]
	v_mov_b32_e32 v1, 0
	v_mov_b32_e32 v2, 0
	s_waitcnt lgkmcnt(0)
	s_bitcmp1_b32 s14, 0
	v_mov_b32_e32 v3, s4
	s_cselect_b32 s12, -1, 0
	s_bitcmp1_b32 s14, 16
	v_dual_mov_b32 v6, v2 :: v_dual_mov_b32 v5, v1
	s_cselect_b32 s2, -1, 0
	v_mov_b32_e32 v4, s5
	s_xor_b32 s13, s2, -1
	v_dual_mov_b32 v9, s20 :: v_dual_mov_b32 v10, s21
	v_cndmask_b32_e64 v7, 0, 1, s13
	s_bitcmp0_b32 s14, 0
	s_clause 0x1
	scratch_store_b64 off, v[3:4], off offset:16
	scratch_store_b64 off, v[9:10], off offset:24
	v_cmp_ne_u32_e32 vcc_lo, 1, v7
	v_dual_mov_b32 v8, v2 :: v_dual_mov_b32 v7, v1
	s_cbranch_scc1 .LBB230_3
; %bb.1:
	s_mov_b64 s[8:9], src_private_base
	s_and_b32 s3, s2, exec_lo
	s_cselect_b32 s3, s9, s5
	s_delay_alu instid0(SALU_CYCLE_1) | instskip(SKIP_2) | instid1(VALU_DEP_2)
	v_dual_mov_b32 v3, 16 :: v_dual_mov_b32 v4, s3
	v_dual_mov_b32 v8, s7 :: v_dual_mov_b32 v7, s6
	s_and_b32 vcc_lo, exec_lo, vcc_lo
	v_cndmask_b32_e64 v3, s4, v3, s2
	flat_load_b64 v[5:6], v[3:4]
	s_cbranch_vccnz .LBB230_3
; %bb.2:
	v_dual_mov_b32 v3, s4 :: v_dual_mov_b32 v4, s5
	flat_load_b64 v[7:8], v[3:4] offset:8
.LBB230_3:
	s_clause 0x4
	s_load_b64 s[34:35], s[0:1], 0x90
	s_load_b256 s[36:43], s[0:1], 0x68
	s_load_b128 s[16:19], s[0:1], 0x48
	s_load_b128 s[24:27], s[0:1], 0x8
	s_load_b256 s[4:11], s[0:1], 0x28
	s_bitcmp1_b32 s14, 8
	v_dual_mov_b32 v4, v2 :: v_dual_mov_b32 v3, v1
	s_cselect_b32 s3, -1, 0
	s_bfe_u32 s14, s14, 0x10008
	s_delay_alu instid0(SALU_CYCLE_1)
	s_cmp_eq_u32 s14, 0
	s_cbranch_scc1 .LBB230_6
; %bb.4:
	s_mov_b64 s[28:29], src_private_base
	s_and_b32 s14, s2, exec_lo
	s_cselect_b32 s14, s29, s21
	s_delay_alu instid0(SALU_CYCLE_1) | instskip(SKIP_1) | instid1(VALU_DEP_1)
	v_dual_mov_b32 v1, 24 :: v_dual_mov_b32 v2, s14
	s_and_not1_b32 vcc_lo, exec_lo, s13
	v_cndmask_b32_e64 v1, s20, v1, s2
	flat_load_b64 v[3:4], v[1:2]
	v_dual_mov_b32 v1, s22 :: v_dual_mov_b32 v2, s23
	s_cbranch_vccnz .LBB230_6
; %bb.5:
	v_dual_mov_b32 v1, s20 :: v_dual_mov_b32 v2, s21
	flat_load_b64 v[1:2], v[1:2] offset:8
.LBB230_6:
	s_load_b32 s33, s[0:1], 0x0
	s_mov_b32 s0, 0
	v_or_b32_e32 v25, 0xfffffc00, v0
	s_mov_b32 s1, s0
	s_delay_alu instid0(SALU_CYCLE_1) | instskip(SKIP_3) | instid1(VALU_DEP_2)
	v_dual_mov_b32 v10, s1 :: v_dual_lshlrev_b32 v11, 4, v0
	v_lshl_add_u32 v26, v0, 2, 0
	s_mov_b32 s20, s0
	s_mov_b32 s21, s0
	v_add3_u32 v27, v11, 0, 0x4000
	v_dual_mov_b32 v11, s20 :: v_dual_mov_b32 v14, v25
	v_dual_mov_b32 v9, s0 :: v_dual_mov_b32 v12, s21
	s_delay_alu instid0(VALU_DEP_3)
	v_dual_mov_b32 v13, v26 :: v_dual_mov_b32 v16, v27
	s_waitcnt lgkmcnt(0)
	v_mov_b32_e32 v15, s33
.LBB230_7:                              ; =>This Inner Loop Header: Depth=1
	v_add_nc_u32_e32 v14, 0x400, v14
	ds_store_b32 v13, v15
	ds_store_2addr_b64 v16, v[9:10], v[11:12] offset1:1
	v_add_nc_u32_e32 v16, 0x4000, v16
	v_add_nc_u32_e32 v13, 0x1000, v13
	v_cmp_lt_u32_e32 vcc_lo, 0xbff, v14
	s_or_b32 s0, vcc_lo, s0
	s_delay_alu instid0(SALU_CYCLE_1)
	s_and_not1_b32 exec_lo, exec_lo, s0
	s_cbranch_execnz .LBB230_7
; %bb.8:
	s_or_b32 exec_lo, exec_lo, s0
	s_waitcnt vmcnt(0) lgkmcnt(0)
	s_waitcnt_vscnt null, 0x0
	s_barrier
	buffer_gl0_inv
	s_load_b32 s0, s[24:25], 0x0
	s_mov_b32 s1, 0
	s_waitcnt lgkmcnt(0)
	s_add_i32 s0, s0, s15
	s_delay_alu instid0(SALU_CYCLE_1) | instskip(NEXT) | instid1(SALU_CYCLE_1)
	s_lshl_b64 s[0:1], s[0:1], 2
	s_add_u32 s0, s26, s0
	s_addc_u32 s1, s27, s1
	s_and_b32 vcc_lo, exec_lo, s12
	s_load_b32 s48, s[0:1], 0x0
	s_cbranch_vccz .LBB230_36
; %bb.9:
	s_waitcnt lgkmcnt(0)
	s_ashr_i32 s49, s48, 31
	v_lshrrev_b32_e32 v9, 6, v0
	s_lshl_b64 s[0:1], s[48:49], 3
	s_mov_b32 s2, exec_lo
	s_add_u32 s0, s4, s0
	s_addc_u32 s1, s5, s1
	s_load_b128 s[12:15], s[0:1], 0x0
	v_sub_co_u32 v9, s0, v9, s44
	s_delay_alu instid0(VALU_DEP_1) | instskip(SKIP_1) | instid1(VALU_DEP_2)
	v_sub_co_ci_u32_e64 v10, null, 0, 0, s0
	s_waitcnt lgkmcnt(0)
	v_add_co_u32 v9, vcc_lo, s12, v9
	s_delay_alu instid0(VALU_DEP_2)
	v_add_co_ci_u32_e32 v10, vcc_lo, s13, v10, vcc_lo
	s_sub_u32 s0, s14, s44
	s_subb_u32 s1, s15, 0
	s_delay_alu instid0(VALU_DEP_1) | instid1(SALU_CYCLE_1)
	v_cmpx_gt_i64_e64 s[0:1], v[9:10]
	s_cbranch_execz .LBB230_35
; %bb.10:
	v_and_b32_e32 v11, 63, v0
	s_mov_b32 s5, s45
	s_delay_alu instid0(VALU_DEP_1) | instskip(NEXT) | instid1(VALU_DEP_1)
	v_sub_co_u32 v28, s4, v11, s45
	v_sub_co_ci_u32_e64 v29, null, 0, 0, s4
	s_mov_b32 s4, 0
	s_branch .LBB230_12
.LBB230_11:                             ;   in Loop: Header=BB230_12 Depth=1
	s_or_b32 exec_lo, exec_lo, s12
	v_add_co_u32 v9, vcc_lo, v9, 16
	v_add_co_ci_u32_e32 v10, vcc_lo, 0, v10, vcc_lo
	s_delay_alu instid0(VALU_DEP_1) | instskip(SKIP_1) | instid1(SALU_CYCLE_1)
	v_cmp_le_i64_e32 vcc_lo, s[0:1], v[9:10]
	s_or_b32 s4, vcc_lo, s4
	s_and_not1_b32 exec_lo, exec_lo, s4
	s_cbranch_execz .LBB230_35
.LBB230_12:                             ; =>This Loop Header: Depth=1
                                        ;     Child Loop BB230_15 Depth 2
                                        ;       Child Loop BB230_17 Depth 3
                                        ;         Child Loop BB230_23 Depth 4
                                        ;         Child Loop BB230_25 Depth 4
	;; [unrolled: 1-line block ×4, first 2 shown]
	v_lshlrev_b64 v[11:12], 2, v[9:10]
	s_mov_b32 s12, exec_lo
	s_delay_alu instid0(VALU_DEP_1) | instskip(NEXT) | instid1(VALU_DEP_2)
	v_add_co_u32 v11, vcc_lo, s6, v11
	v_add_co_ci_u32_e32 v12, vcc_lo, s7, v12, vcc_lo
	global_load_b32 v11, v[11:12], off
	s_waitcnt vmcnt(0)
	v_subrev_nc_u32_e32 v11, s44, v11
	s_delay_alu instid0(VALU_DEP_1) | instskip(NEXT) | instid1(VALU_DEP_1)
	v_ashrrev_i32_e32 v12, 31, v11
	v_lshlrev_b64 v[11:12], 3, v[11:12]
	s_delay_alu instid0(VALU_DEP_1) | instskip(NEXT) | instid1(VALU_DEP_2)
	v_add_co_u32 v11, vcc_lo, s10, v11
	v_add_co_ci_u32_e32 v12, vcc_lo, s11, v12, vcc_lo
	global_load_b128 v[13:16], v[11:12], off
	s_waitcnt vmcnt(0)
	v_sub_co_u32 v11, vcc_lo, v15, s5
	v_subrev_co_ci_u32_e32 v12, vcc_lo, 0, v16, vcc_lo
	v_add_co_u32 v13, vcc_lo, v13, v28
	v_add_co_ci_u32_e32 v14, vcc_lo, v14, v29, vcc_lo
	s_delay_alu instid0(VALU_DEP_1)
	v_cmpx_lt_i64_e64 v[13:14], v[11:12]
	s_cbranch_execz .LBB230_11
; %bb.13:                               ;   in Loop: Header=BB230_12 Depth=1
	v_lshlrev_b64 v[15:16], 4, v[9:10]
	s_mov_b32 s13, 0
	s_delay_alu instid0(VALU_DEP_1) | instskip(NEXT) | instid1(VALU_DEP_2)
	v_add_co_u32 v15, vcc_lo, s8, v15
	v_add_co_ci_u32_e32 v16, vcc_lo, s9, v16, vcc_lo
	global_load_b128 v[17:20], v[15:16], off
	s_waitcnt vmcnt(0)
	v_mul_f64 v[15:16], v[19:20], -v[7:8]
	v_mul_f64 v[19:20], v[5:6], v[19:20]
	s_delay_alu instid0(VALU_DEP_2) | instskip(NEXT) | instid1(VALU_DEP_2)
	v_fma_f64 v[15:16], v[5:6], v[17:18], v[15:16]
	v_fma_f64 v[17:18], v[7:8], v[17:18], v[19:20]
	s_branch .LBB230_15
.LBB230_14:                             ;   in Loop: Header=BB230_15 Depth=2
	s_or_b32 exec_lo, exec_lo, s14
	v_add_co_u32 v13, vcc_lo, v13, 64
	v_add_co_ci_u32_e32 v14, vcc_lo, 0, v14, vcc_lo
	s_delay_alu instid0(VALU_DEP_1) | instskip(SKIP_1) | instid1(SALU_CYCLE_1)
	v_cmp_ge_i64_e32 vcc_lo, v[13:14], v[11:12]
	s_or_b32 s13, vcc_lo, s13
	s_and_not1_b32 exec_lo, exec_lo, s13
	s_cbranch_execz .LBB230_11
.LBB230_15:                             ;   Parent Loop BB230_12 Depth=1
                                        ; =>  This Loop Header: Depth=2
                                        ;       Child Loop BB230_17 Depth 3
                                        ;         Child Loop BB230_23 Depth 4
                                        ;         Child Loop BB230_25 Depth 4
	;; [unrolled: 1-line block ×4, first 2 shown]
	v_lshlrev_b64 v[19:20], 4, v[13:14]
	s_mov_b32 s14, 0
	s_delay_alu instid0(VALU_DEP_1) | instskip(NEXT) | instid1(VALU_DEP_2)
	v_add_co_u32 v19, vcc_lo, s18, v19
	v_add_co_ci_u32_e32 v20, vcc_lo, s19, v20, vcc_lo
	global_load_b128 v[21:24], v[19:20], off
	v_lshlrev_b64 v[19:20], 2, v[13:14]
	s_delay_alu instid0(VALU_DEP_1) | instskip(NEXT) | instid1(VALU_DEP_2)
	v_add_co_u32 v19, vcc_lo, s16, v19
	v_add_co_ci_u32_e32 v20, vcc_lo, s17, v20, vcc_lo
	global_load_b32 v30, v[19:20], off
	s_waitcnt vmcnt(1)
	v_mul_f64 v[19:20], v[23:24], -v[17:18]
	v_mul_f64 v[23:24], v[15:16], v[23:24]
	s_waitcnt vmcnt(0)
	v_subrev_nc_u32_e32 v30, s45, v30
	s_delay_alu instid0(VALU_DEP_3) | instskip(NEXT) | instid1(VALU_DEP_3)
	v_fma_f64 v[19:20], v[15:16], v[21:22], v[19:20]
	v_fma_f64 v[21:22], v[17:18], v[21:22], v[23:24]
	s_delay_alu instid0(VALU_DEP_3) | instskip(NEXT) | instid1(VALU_DEP_1)
	v_mul_lo_u32 v23, 0x89, v30
	v_and_b32_e32 v31, 0xfff, v23
	s_branch .LBB230_17
.LBB230_16:                             ;   in Loop: Header=BB230_17 Depth=3
	s_or_b32 exec_lo, exec_lo, s15
	s_xor_b32 s15, s20, -1
	s_delay_alu instid0(SALU_CYCLE_1) | instskip(NEXT) | instid1(SALU_CYCLE_1)
	s_and_b32 s15, exec_lo, s15
	s_or_b32 s14, s15, s14
	s_delay_alu instid0(SALU_CYCLE_1)
	s_and_not1_b32 exec_lo, exec_lo, s14
	s_cbranch_execz .LBB230_14
.LBB230_17:                             ;   Parent Loop BB230_12 Depth=1
                                        ;     Parent Loop BB230_15 Depth=2
                                        ; =>    This Loop Header: Depth=3
                                        ;         Child Loop BB230_23 Depth 4
                                        ;         Child Loop BB230_25 Depth 4
	;; [unrolled: 1-line block ×4, first 2 shown]
	s_delay_alu instid0(VALU_DEP_1)
	v_lshl_add_u32 v23, v31, 2, 0
	s_mov_b32 s15, exec_lo
                                        ; implicit-def: $sgpr20
	ds_load_b32 v24, v23
	s_waitcnt lgkmcnt(0)
	v_cmpx_ne_u32_e64 v24, v30
	s_xor_b32 s15, exec_lo, s15
	s_cbranch_execz .LBB230_29
; %bb.18:                               ;   in Loop: Header=BB230_17 Depth=3
	s_mov_b32 s21, exec_lo
                                        ; implicit-def: $sgpr20
	v_cmpx_ne_u32_e64 s33, v24
	s_xor_b32 s21, exec_lo, s21
; %bb.19:                               ;   in Loop: Header=BB230_17 Depth=3
	v_add_nc_u32_e32 v23, 1, v31
	s_mov_b32 s20, -1
	s_delay_alu instid0(VALU_DEP_1)
	v_and_b32_e32 v31, 0xfff, v23
                                        ; implicit-def: $vgpr23
; %bb.20:                               ;   in Loop: Header=BB230_17 Depth=3
	s_and_not1_saveexec_b32 s21, s21
	s_cbranch_execz .LBB230_28
; %bb.21:                               ;   in Loop: Header=BB230_17 Depth=3
	v_mov_b32_e32 v24, s33
	s_mov_b32 s23, -1
	s_mov_b32 s22, exec_lo
	ds_cmpstore_rtn_b32 v24, v23, v30, v24
	s_waitcnt lgkmcnt(0)
	v_cmpx_eq_u32_e64 s33, v24
	s_cbranch_execz .LBB230_27
; %bb.22:                               ;   in Loop: Header=BB230_17 Depth=3
	v_mul_lo_u32 v24, v31, 12
	s_mov_b32 s23, 0
	s_delay_alu instid0(VALU_DEP_1)
	v_add_nc_u32_e32 v32, v23, v24
	ds_load_b64 v[23:24], v32 offset:16384
.LBB230_23:                             ;   Parent Loop BB230_12 Depth=1
                                        ;     Parent Loop BB230_15 Depth=2
                                        ;       Parent Loop BB230_17 Depth=3
                                        ; =>      This Inner Loop Header: Depth=4
	s_waitcnt lgkmcnt(0)
	v_add_f64 v[33:34], v[23:24], v[19:20]
	ds_cmpstore_rtn_b64 v[33:34], v32, v[33:34], v[23:24] offset:16384
	s_waitcnt lgkmcnt(0)
	v_cmp_eq_u64_e32 vcc_lo, v[33:34], v[23:24]
	v_dual_mov_b32 v23, v33 :: v_dual_mov_b32 v24, v34
	s_or_b32 s23, vcc_lo, s23
	s_delay_alu instid0(SALU_CYCLE_1)
	s_and_not1_b32 exec_lo, exec_lo, s23
	s_cbranch_execnz .LBB230_23
; %bb.24:                               ;   in Loop: Header=BB230_17 Depth=3
	s_or_b32 exec_lo, exec_lo, s23
	ds_load_b64 v[23:24], v32 offset:16392
	s_mov_b32 s23, 0
.LBB230_25:                             ;   Parent Loop BB230_12 Depth=1
                                        ;     Parent Loop BB230_15 Depth=2
                                        ;       Parent Loop BB230_17 Depth=3
                                        ; =>      This Inner Loop Header: Depth=4
	s_waitcnt lgkmcnt(0)
	v_add_f64 v[33:34], v[23:24], v[21:22]
	ds_cmpstore_rtn_b64 v[33:34], v32, v[33:34], v[23:24] offset:16392
	s_waitcnt lgkmcnt(0)
	v_cmp_eq_u64_e32 vcc_lo, v[33:34], v[23:24]
	v_dual_mov_b32 v23, v33 :: v_dual_mov_b32 v24, v34
	s_or_b32 s23, vcc_lo, s23
	s_delay_alu instid0(SALU_CYCLE_1)
	s_and_not1_b32 exec_lo, exec_lo, s23
	s_cbranch_execnz .LBB230_25
; %bb.26:                               ;   in Loop: Header=BB230_17 Depth=3
	s_or_b32 exec_lo, exec_lo, s23
	s_delay_alu instid0(SALU_CYCLE_1)
	s_xor_b32 s23, exec_lo, -1
.LBB230_27:                             ;   in Loop: Header=BB230_17 Depth=3
	s_or_b32 exec_lo, exec_lo, s22
	s_delay_alu instid0(SALU_CYCLE_1) | instskip(SKIP_1) | instid1(SALU_CYCLE_1)
	s_and_not1_b32 s20, s20, exec_lo
	s_and_b32 s22, s23, exec_lo
	s_or_b32 s20, s20, s22
.LBB230_28:                             ;   in Loop: Header=BB230_17 Depth=3
	s_or_b32 exec_lo, exec_lo, s21
	s_delay_alu instid0(SALU_CYCLE_1)
	s_and_b32 s20, s20, exec_lo
                                        ; implicit-def: $vgpr23
.LBB230_29:                             ;   in Loop: Header=BB230_17 Depth=3
	s_and_not1_saveexec_b32 s15, s15
	s_cbranch_execz .LBB230_16
; %bb.30:                               ;   in Loop: Header=BB230_17 Depth=3
	v_mul_lo_u32 v24, v31, 12
	s_mov_b32 s21, 0
	s_delay_alu instid0(VALU_DEP_1)
	v_add_nc_u32_e32 v32, v23, v24
	ds_load_b64 v[23:24], v32 offset:16384
.LBB230_31:                             ;   Parent Loop BB230_12 Depth=1
                                        ;     Parent Loop BB230_15 Depth=2
                                        ;       Parent Loop BB230_17 Depth=3
                                        ; =>      This Inner Loop Header: Depth=4
	s_waitcnt lgkmcnt(0)
	v_add_f64 v[33:34], v[23:24], v[19:20]
	ds_cmpstore_rtn_b64 v[33:34], v32, v[33:34], v[23:24] offset:16384
	s_waitcnt lgkmcnt(0)
	v_cmp_eq_u64_e32 vcc_lo, v[33:34], v[23:24]
	v_dual_mov_b32 v23, v33 :: v_dual_mov_b32 v24, v34
	s_or_b32 s21, vcc_lo, s21
	s_delay_alu instid0(SALU_CYCLE_1)
	s_and_not1_b32 exec_lo, exec_lo, s21
	s_cbranch_execnz .LBB230_31
; %bb.32:                               ;   in Loop: Header=BB230_17 Depth=3
	s_or_b32 exec_lo, exec_lo, s21
	ds_load_b64 v[23:24], v32 offset:16392
	s_mov_b32 s21, 0
.LBB230_33:                             ;   Parent Loop BB230_12 Depth=1
                                        ;     Parent Loop BB230_15 Depth=2
                                        ;       Parent Loop BB230_17 Depth=3
                                        ; =>      This Inner Loop Header: Depth=4
	s_waitcnt lgkmcnt(0)
	v_add_f64 v[33:34], v[23:24], v[21:22]
	ds_cmpstore_rtn_b64 v[33:34], v32, v[33:34], v[23:24] offset:16392
	s_waitcnt lgkmcnt(0)
	v_cmp_eq_u64_e32 vcc_lo, v[33:34], v[23:24]
	v_dual_mov_b32 v23, v33 :: v_dual_mov_b32 v24, v34
	s_or_b32 s21, vcc_lo, s21
	s_delay_alu instid0(SALU_CYCLE_1)
	s_and_not1_b32 exec_lo, exec_lo, s21
	s_cbranch_execnz .LBB230_33
; %bb.34:                               ;   in Loop: Header=BB230_17 Depth=3
	s_or_b32 exec_lo, exec_lo, s21
	s_delay_alu instid0(SALU_CYCLE_1)
	s_and_not1_b32 s20, s20, exec_lo
	s_branch .LBB230_16
.LBB230_35:
	s_or_b32 exec_lo, exec_lo, s2
.LBB230_36:
	s_delay_alu instid0(SALU_CYCLE_1)
	s_and_not1_b32 vcc_lo, exec_lo, s3
	s_cbranch_vccnz .LBB230_39
; %bb.37:
	s_waitcnt lgkmcnt(0)
	s_ashr_i32 s49, s48, 31
	v_sub_co_u32 v5, s4, v0, s47
	s_lshl_b64 s[0:1], s[48:49], 3
	v_sub_co_ci_u32_e64 v6, null, 0, 0, s4
	s_add_u32 s0, s36, s0
	s_addc_u32 s1, s37, s1
	s_load_b128 s[0:3], s[0:1], 0x0
	s_waitcnt lgkmcnt(0)
	v_add_co_u32 v5, vcc_lo, s0, v5
	v_add_co_ci_u32_e32 v6, vcc_lo, s1, v6, vcc_lo
	s_sub_u32 s0, s2, s47
	s_subb_u32 s1, s3, 0
	s_mov_b32 s3, 0
	s_mov_b32 s2, exec_lo
	v_cmpx_gt_i64_e64 s[0:1], v[5:6]
	s_cbranch_execnz .LBB230_108
.LBB230_38:
	s_or_b32 exec_lo, exec_lo, s2
.LBB230_39:
	v_mbcnt_lo_u32_b32 v1, -1, 0
	v_lshrrev_b32_e32 v2, 3, v0
	s_add_i32 s68, 0, 0x1407c
	v_cmp_eq_u32_e32 vcc_lo, 0x3ff, v0
	v_cmp_lt_u32_e64 s0, 31, v0
	v_xor_b32_e32 v1, 63, v1
	v_dual_mov_b32 v4, s68 :: v_dual_and_b32 v3, 0x7c, v2
	v_cmp_lt_u32_e64 s1, 63, v0
	v_cmp_lt_u32_e64 s2, 0x5f, v0
	s_delay_alu instid0(VALU_DEP_4) | instskip(NEXT) | instid1(VALU_DEP_4)
	v_lshrrev_b64 v[1:2], v1, -1
	v_add3_u32 v2, 0, 0x14000, v3
	v_cmp_lt_u32_e64 s3, 0x7f, v0
	v_cmp_lt_u32_e64 s4, 0x9f, v0
	;; [unrolled: 1-line block ×28, first 2 shown]
	v_mov_b32_e32 v3, 0
	s_mov_b32 s36, 0
	s_add_i32 s37, 0, 0x14000
	s_add_i32 s38, 0, 0x14004
	;; [unrolled: 1-line block ×31, first 2 shown]
	s_waitcnt lgkmcnt(0)
	s_barrier
	buffer_gl0_inv
	s_branch .LBB230_41
.LBB230_40:                             ;   in Loop: Header=BB230_41 Depth=1
	s_or_b32 exec_lo, exec_lo, s31
	s_waitcnt lgkmcnt(0)
	s_barrier
	buffer_gl0_inv
	ds_load_b32 v5, v4
	v_add_nc_u32_e32 v25, 0x400, v25
	v_add_nc_u32_e32 v27, 0x4000, v27
	v_add_nc_u32_e32 v26, 0x1000, v26
	s_delay_alu instid0(VALU_DEP_3) | instskip(NEXT) | instid1(VALU_DEP_1)
	v_cmp_lt_u32_e64 s31, 0xbff, v25
	s_or_b32 s36, s31, s36
	s_waitcnt lgkmcnt(0)
	v_add_nc_u32_e32 v3, v5, v3
	s_and_not1_b32 exec_lo, exec_lo, s36
	s_cbranch_execz .LBB230_128
.LBB230_41:                             ; =>This Inner Loop Header: Depth=1
	ds_load_b32 v5, v26
	ds_load_2addr_b64 v[6:9], v27 offset1:1
	s_waitcnt lgkmcnt(1)
	v_cmp_gt_i32_e64 s31, s33, v5
	s_waitcnt lgkmcnt(0)
	scratch_store_b128 off, v[6:9], off
	s_waitcnt_vscnt null, 0x0
	s_barrier
	buffer_gl0_inv
	s_bcnt1_i32_b32 s73, s31
	s_delay_alu instid0(SALU_CYCLE_1) | instskip(NEXT) | instid1(VALU_DEP_1)
	v_dual_mov_b32 v7, s73 :: v_dual_and_b32 v6, s31, v1
	v_bcnt_u32_b32 v6, v6, 0
	ds_store_b32 v2, v7
	s_waitcnt lgkmcnt(0)
	s_barrier
	buffer_gl0_inv
	s_and_saveexec_b32 s73, s0
	s_cbranch_execnz .LBB230_74
; %bb.42:                               ;   in Loop: Header=BB230_41 Depth=1
	s_or_b32 exec_lo, exec_lo, s73
	s_and_saveexec_b32 s73, s1
	s_cbranch_execnz .LBB230_75
.LBB230_43:                             ;   in Loop: Header=BB230_41 Depth=1
	s_or_b32 exec_lo, exec_lo, s73
	s_and_saveexec_b32 s73, s2
	s_cbranch_execnz .LBB230_76
.LBB230_44:                             ;   in Loop: Header=BB230_41 Depth=1
	s_or_b32 exec_lo, exec_lo, s73
	s_and_saveexec_b32 s73, s3
	s_cbranch_execnz .LBB230_77
.LBB230_45:                             ;   in Loop: Header=BB230_41 Depth=1
	s_or_b32 exec_lo, exec_lo, s73
	s_and_saveexec_b32 s73, s4
	s_cbranch_execnz .LBB230_78
.LBB230_46:                             ;   in Loop: Header=BB230_41 Depth=1
	s_or_b32 exec_lo, exec_lo, s73
	s_and_saveexec_b32 s73, s5
	s_cbranch_execnz .LBB230_79
.LBB230_47:                             ;   in Loop: Header=BB230_41 Depth=1
	s_or_b32 exec_lo, exec_lo, s73
	s_and_saveexec_b32 s73, s6
	s_cbranch_execnz .LBB230_80
.LBB230_48:                             ;   in Loop: Header=BB230_41 Depth=1
	s_or_b32 exec_lo, exec_lo, s73
	s_and_saveexec_b32 s73, s7
	s_cbranch_execnz .LBB230_81
.LBB230_49:                             ;   in Loop: Header=BB230_41 Depth=1
	s_or_b32 exec_lo, exec_lo, s73
	s_and_saveexec_b32 s73, s8
	s_cbranch_execnz .LBB230_82
.LBB230_50:                             ;   in Loop: Header=BB230_41 Depth=1
	s_or_b32 exec_lo, exec_lo, s73
	s_and_saveexec_b32 s73, s9
	s_cbranch_execnz .LBB230_83
.LBB230_51:                             ;   in Loop: Header=BB230_41 Depth=1
	s_or_b32 exec_lo, exec_lo, s73
	s_and_saveexec_b32 s73, s10
	s_cbranch_execnz .LBB230_84
.LBB230_52:                             ;   in Loop: Header=BB230_41 Depth=1
	s_or_b32 exec_lo, exec_lo, s73
	s_and_saveexec_b32 s73, s11
	s_cbranch_execnz .LBB230_85
.LBB230_53:                             ;   in Loop: Header=BB230_41 Depth=1
	s_or_b32 exec_lo, exec_lo, s73
	s_and_saveexec_b32 s73, s12
	s_cbranch_execnz .LBB230_86
.LBB230_54:                             ;   in Loop: Header=BB230_41 Depth=1
	s_or_b32 exec_lo, exec_lo, s73
	s_and_saveexec_b32 s73, s13
	s_cbranch_execnz .LBB230_87
.LBB230_55:                             ;   in Loop: Header=BB230_41 Depth=1
	s_or_b32 exec_lo, exec_lo, s73
	s_and_saveexec_b32 s73, s14
	s_cbranch_execnz .LBB230_88
.LBB230_56:                             ;   in Loop: Header=BB230_41 Depth=1
	s_or_b32 exec_lo, exec_lo, s73
	s_and_saveexec_b32 s73, s15
	s_cbranch_execnz .LBB230_89
.LBB230_57:                             ;   in Loop: Header=BB230_41 Depth=1
	s_or_b32 exec_lo, exec_lo, s73
	s_and_saveexec_b32 s73, s16
	s_cbranch_execnz .LBB230_90
.LBB230_58:                             ;   in Loop: Header=BB230_41 Depth=1
	s_or_b32 exec_lo, exec_lo, s73
	s_and_saveexec_b32 s73, s17
	s_cbranch_execnz .LBB230_91
.LBB230_59:                             ;   in Loop: Header=BB230_41 Depth=1
	s_or_b32 exec_lo, exec_lo, s73
	s_and_saveexec_b32 s73, s18
	s_cbranch_execnz .LBB230_92
.LBB230_60:                             ;   in Loop: Header=BB230_41 Depth=1
	s_or_b32 exec_lo, exec_lo, s73
	s_and_saveexec_b32 s73, s19
	s_cbranch_execnz .LBB230_93
.LBB230_61:                             ;   in Loop: Header=BB230_41 Depth=1
	s_or_b32 exec_lo, exec_lo, s73
	s_and_saveexec_b32 s73, s20
	s_cbranch_execnz .LBB230_94
.LBB230_62:                             ;   in Loop: Header=BB230_41 Depth=1
	s_or_b32 exec_lo, exec_lo, s73
	s_and_saveexec_b32 s73, s21
	s_cbranch_execnz .LBB230_95
.LBB230_63:                             ;   in Loop: Header=BB230_41 Depth=1
	s_or_b32 exec_lo, exec_lo, s73
	s_and_saveexec_b32 s73, s22
	s_cbranch_execnz .LBB230_96
.LBB230_64:                             ;   in Loop: Header=BB230_41 Depth=1
	s_or_b32 exec_lo, exec_lo, s73
	s_and_saveexec_b32 s73, s23
	s_cbranch_execnz .LBB230_97
.LBB230_65:                             ;   in Loop: Header=BB230_41 Depth=1
	s_or_b32 exec_lo, exec_lo, s73
	s_and_saveexec_b32 s73, s24
	s_cbranch_execnz .LBB230_98
.LBB230_66:                             ;   in Loop: Header=BB230_41 Depth=1
	s_or_b32 exec_lo, exec_lo, s73
	s_and_saveexec_b32 s73, s25
	s_cbranch_execnz .LBB230_99
.LBB230_67:                             ;   in Loop: Header=BB230_41 Depth=1
	s_or_b32 exec_lo, exec_lo, s73
	s_and_saveexec_b32 s73, s26
	s_cbranch_execnz .LBB230_100
.LBB230_68:                             ;   in Loop: Header=BB230_41 Depth=1
	s_or_b32 exec_lo, exec_lo, s73
	s_and_saveexec_b32 s73, s27
	s_cbranch_execnz .LBB230_101
.LBB230_69:                             ;   in Loop: Header=BB230_41 Depth=1
	s_or_b32 exec_lo, exec_lo, s73
	s_and_saveexec_b32 s73, s28
	s_cbranch_execnz .LBB230_102
.LBB230_70:                             ;   in Loop: Header=BB230_41 Depth=1
	s_or_b32 exec_lo, exec_lo, s73
	s_and_saveexec_b32 s73, s29
	s_cbranch_execnz .LBB230_103
.LBB230_71:                             ;   in Loop: Header=BB230_41 Depth=1
	s_or_b32 exec_lo, exec_lo, s73
	s_and_saveexec_b32 s73, s30
	s_cbranch_execnz .LBB230_104
.LBB230_72:                             ;   in Loop: Header=BB230_41 Depth=1
	s_or_b32 exec_lo, exec_lo, s73
	s_and_saveexec_b32 s73, s31
	s_cbranch_execnz .LBB230_105
.LBB230_73:                             ;   in Loop: Header=BB230_41 Depth=1
	s_or_b32 exec_lo, exec_lo, s73
	s_and_saveexec_b32 s31, vcc_lo
	s_cbranch_execz .LBB230_40
	s_branch .LBB230_106
.LBB230_74:                             ;   in Loop: Header=BB230_41 Depth=1
	v_mov_b32_e32 v7, s37
	ds_load_b32 v7, v7
	s_waitcnt lgkmcnt(0)
	v_add_nc_u32_e32 v6, v7, v6
	s_or_b32 exec_lo, exec_lo, s73
	s_and_saveexec_b32 s73, s1
	s_cbranch_execz .LBB230_43
.LBB230_75:                             ;   in Loop: Header=BB230_41 Depth=1
	v_mov_b32_e32 v7, s38
	ds_load_b32 v7, v7
	s_waitcnt lgkmcnt(0)
	v_add_nc_u32_e32 v6, v7, v6
	s_or_b32 exec_lo, exec_lo, s73
	s_and_saveexec_b32 s73, s2
	s_cbranch_execz .LBB230_44
.LBB230_76:                             ;   in Loop: Header=BB230_41 Depth=1
	v_mov_b32_e32 v7, s39
	ds_load_b32 v7, v7
	s_waitcnt lgkmcnt(0)
	v_add_nc_u32_e32 v6, v7, v6
	s_or_b32 exec_lo, exec_lo, s73
	s_and_saveexec_b32 s73, s3
	s_cbranch_execz .LBB230_45
.LBB230_77:                             ;   in Loop: Header=BB230_41 Depth=1
	v_mov_b32_e32 v7, s40
	ds_load_b32 v7, v7
	s_waitcnt lgkmcnt(0)
	v_add_nc_u32_e32 v6, v7, v6
	s_or_b32 exec_lo, exec_lo, s73
	s_and_saveexec_b32 s73, s4
	s_cbranch_execz .LBB230_46
.LBB230_78:                             ;   in Loop: Header=BB230_41 Depth=1
	v_mov_b32_e32 v7, s41
	ds_load_b32 v7, v7
	s_waitcnt lgkmcnt(0)
	v_add_nc_u32_e32 v6, v7, v6
	s_or_b32 exec_lo, exec_lo, s73
	s_and_saveexec_b32 s73, s5
	s_cbranch_execz .LBB230_47
.LBB230_79:                             ;   in Loop: Header=BB230_41 Depth=1
	v_mov_b32_e32 v7, s44
	ds_load_b32 v7, v7
	s_waitcnt lgkmcnt(0)
	v_add_nc_u32_e32 v6, v7, v6
	s_or_b32 exec_lo, exec_lo, s73
	s_and_saveexec_b32 s73, s6
	s_cbranch_execz .LBB230_48
.LBB230_80:                             ;   in Loop: Header=BB230_41 Depth=1
	v_mov_b32_e32 v7, s45
	ds_load_b32 v7, v7
	s_waitcnt lgkmcnt(0)
	v_add_nc_u32_e32 v6, v7, v6
	s_or_b32 exec_lo, exec_lo, s73
	s_and_saveexec_b32 s73, s7
	s_cbranch_execz .LBB230_49
.LBB230_81:                             ;   in Loop: Header=BB230_41 Depth=1
	v_mov_b32_e32 v7, s47
	ds_load_b32 v7, v7
	s_waitcnt lgkmcnt(0)
	v_add_nc_u32_e32 v6, v7, v6
	s_or_b32 exec_lo, exec_lo, s73
	s_and_saveexec_b32 s73, s8
	s_cbranch_execz .LBB230_50
.LBB230_82:                             ;   in Loop: Header=BB230_41 Depth=1
	v_mov_b32_e32 v7, s49
	ds_load_b32 v7, v7
	s_waitcnt lgkmcnt(0)
	v_add_nc_u32_e32 v6, v7, v6
	s_or_b32 exec_lo, exec_lo, s73
	s_and_saveexec_b32 s73, s9
	s_cbranch_execz .LBB230_51
.LBB230_83:                             ;   in Loop: Header=BB230_41 Depth=1
	v_mov_b32_e32 v7, s50
	ds_load_b32 v7, v7
	s_waitcnt lgkmcnt(0)
	v_add_nc_u32_e32 v6, v7, v6
	s_or_b32 exec_lo, exec_lo, s73
	s_and_saveexec_b32 s73, s10
	s_cbranch_execz .LBB230_52
.LBB230_84:                             ;   in Loop: Header=BB230_41 Depth=1
	v_mov_b32_e32 v7, s51
	ds_load_b32 v7, v7
	s_waitcnt lgkmcnt(0)
	v_add_nc_u32_e32 v6, v7, v6
	s_or_b32 exec_lo, exec_lo, s73
	s_and_saveexec_b32 s73, s11
	s_cbranch_execz .LBB230_53
.LBB230_85:                             ;   in Loop: Header=BB230_41 Depth=1
	v_mov_b32_e32 v7, s52
	ds_load_b32 v7, v7
	s_waitcnt lgkmcnt(0)
	v_add_nc_u32_e32 v6, v7, v6
	s_or_b32 exec_lo, exec_lo, s73
	s_and_saveexec_b32 s73, s12
	s_cbranch_execz .LBB230_54
.LBB230_86:                             ;   in Loop: Header=BB230_41 Depth=1
	v_mov_b32_e32 v7, s53
	ds_load_b32 v7, v7
	s_waitcnt lgkmcnt(0)
	v_add_nc_u32_e32 v6, v7, v6
	s_or_b32 exec_lo, exec_lo, s73
	s_and_saveexec_b32 s73, s13
	s_cbranch_execz .LBB230_55
.LBB230_87:                             ;   in Loop: Header=BB230_41 Depth=1
	v_mov_b32_e32 v7, s54
	ds_load_b32 v7, v7
	s_waitcnt lgkmcnt(0)
	v_add_nc_u32_e32 v6, v7, v6
	s_or_b32 exec_lo, exec_lo, s73
	s_and_saveexec_b32 s73, s14
	s_cbranch_execz .LBB230_56
.LBB230_88:                             ;   in Loop: Header=BB230_41 Depth=1
	v_mov_b32_e32 v7, s55
	ds_load_b32 v7, v7
	s_waitcnt lgkmcnt(0)
	v_add_nc_u32_e32 v6, v7, v6
	s_or_b32 exec_lo, exec_lo, s73
	s_and_saveexec_b32 s73, s15
	s_cbranch_execz .LBB230_57
.LBB230_89:                             ;   in Loop: Header=BB230_41 Depth=1
	v_mov_b32_e32 v7, s56
	ds_load_b32 v7, v7
	s_waitcnt lgkmcnt(0)
	v_add_nc_u32_e32 v6, v7, v6
	s_or_b32 exec_lo, exec_lo, s73
	s_and_saveexec_b32 s73, s16
	s_cbranch_execz .LBB230_58
.LBB230_90:                             ;   in Loop: Header=BB230_41 Depth=1
	v_mov_b32_e32 v7, s57
	ds_load_b32 v7, v7
	s_waitcnt lgkmcnt(0)
	v_add_nc_u32_e32 v6, v7, v6
	s_or_b32 exec_lo, exec_lo, s73
	s_and_saveexec_b32 s73, s17
	s_cbranch_execz .LBB230_59
.LBB230_91:                             ;   in Loop: Header=BB230_41 Depth=1
	v_mov_b32_e32 v7, s58
	ds_load_b32 v7, v7
	s_waitcnt lgkmcnt(0)
	v_add_nc_u32_e32 v6, v7, v6
	s_or_b32 exec_lo, exec_lo, s73
	s_and_saveexec_b32 s73, s18
	s_cbranch_execz .LBB230_60
.LBB230_92:                             ;   in Loop: Header=BB230_41 Depth=1
	v_mov_b32_e32 v7, s59
	ds_load_b32 v7, v7
	s_waitcnt lgkmcnt(0)
	v_add_nc_u32_e32 v6, v7, v6
	s_or_b32 exec_lo, exec_lo, s73
	s_and_saveexec_b32 s73, s19
	s_cbranch_execz .LBB230_61
.LBB230_93:                             ;   in Loop: Header=BB230_41 Depth=1
	v_mov_b32_e32 v7, s60
	ds_load_b32 v7, v7
	s_waitcnt lgkmcnt(0)
	v_add_nc_u32_e32 v6, v7, v6
	s_or_b32 exec_lo, exec_lo, s73
	s_and_saveexec_b32 s73, s20
	s_cbranch_execz .LBB230_62
.LBB230_94:                             ;   in Loop: Header=BB230_41 Depth=1
	v_mov_b32_e32 v7, s61
	ds_load_b32 v7, v7
	s_waitcnt lgkmcnt(0)
	v_add_nc_u32_e32 v6, v7, v6
	s_or_b32 exec_lo, exec_lo, s73
	s_and_saveexec_b32 s73, s21
	s_cbranch_execz .LBB230_63
.LBB230_95:                             ;   in Loop: Header=BB230_41 Depth=1
	v_mov_b32_e32 v7, s62
	ds_load_b32 v7, v7
	s_waitcnt lgkmcnt(0)
	v_add_nc_u32_e32 v6, v7, v6
	s_or_b32 exec_lo, exec_lo, s73
	s_and_saveexec_b32 s73, s22
	s_cbranch_execz .LBB230_64
.LBB230_96:                             ;   in Loop: Header=BB230_41 Depth=1
	v_mov_b32_e32 v7, s63
	ds_load_b32 v7, v7
	s_waitcnt lgkmcnt(0)
	v_add_nc_u32_e32 v6, v7, v6
	s_or_b32 exec_lo, exec_lo, s73
	s_and_saveexec_b32 s73, s23
	s_cbranch_execz .LBB230_65
.LBB230_97:                             ;   in Loop: Header=BB230_41 Depth=1
	v_mov_b32_e32 v7, s64
	ds_load_b32 v7, v7
	s_waitcnt lgkmcnt(0)
	v_add_nc_u32_e32 v6, v7, v6
	s_or_b32 exec_lo, exec_lo, s73
	s_and_saveexec_b32 s73, s24
	s_cbranch_execz .LBB230_66
.LBB230_98:                             ;   in Loop: Header=BB230_41 Depth=1
	v_mov_b32_e32 v7, s65
	ds_load_b32 v7, v7
	s_waitcnt lgkmcnt(0)
	v_add_nc_u32_e32 v6, v7, v6
	s_or_b32 exec_lo, exec_lo, s73
	s_and_saveexec_b32 s73, s25
	s_cbranch_execz .LBB230_67
.LBB230_99:                             ;   in Loop: Header=BB230_41 Depth=1
	v_mov_b32_e32 v7, s66
	ds_load_b32 v7, v7
	s_waitcnt lgkmcnt(0)
	v_add_nc_u32_e32 v6, v7, v6
	s_or_b32 exec_lo, exec_lo, s73
	s_and_saveexec_b32 s73, s26
	s_cbranch_execz .LBB230_68
.LBB230_100:                            ;   in Loop: Header=BB230_41 Depth=1
	v_mov_b32_e32 v7, s67
	ds_load_b32 v7, v7
	s_waitcnt lgkmcnt(0)
	v_add_nc_u32_e32 v6, v7, v6
	s_or_b32 exec_lo, exec_lo, s73
	s_and_saveexec_b32 s73, s27
	s_cbranch_execz .LBB230_69
.LBB230_101:                            ;   in Loop: Header=BB230_41 Depth=1
	v_mov_b32_e32 v7, s69
	ds_load_b32 v7, v7
	s_waitcnt lgkmcnt(0)
	v_add_nc_u32_e32 v6, v7, v6
	s_or_b32 exec_lo, exec_lo, s73
	s_and_saveexec_b32 s73, s28
	s_cbranch_execz .LBB230_70
.LBB230_102:                            ;   in Loop: Header=BB230_41 Depth=1
	v_mov_b32_e32 v7, s70
	ds_load_b32 v7, v7
	s_waitcnt lgkmcnt(0)
	v_add_nc_u32_e32 v6, v7, v6
	s_or_b32 exec_lo, exec_lo, s73
	s_and_saveexec_b32 s73, s29
	s_cbranch_execz .LBB230_71
.LBB230_103:                            ;   in Loop: Header=BB230_41 Depth=1
	v_mov_b32_e32 v7, s71
	ds_load_b32 v7, v7
	s_waitcnt lgkmcnt(0)
	v_add_nc_u32_e32 v6, v7, v6
	s_or_b32 exec_lo, exec_lo, s73
	s_and_saveexec_b32 s73, s30
	s_cbranch_execz .LBB230_72
.LBB230_104:                            ;   in Loop: Header=BB230_41 Depth=1
	v_mov_b32_e32 v7, s72
	ds_load_b32 v7, v7
	s_waitcnt lgkmcnt(0)
	v_add_nc_u32_e32 v6, v7, v6
	s_or_b32 exec_lo, exec_lo, s73
	s_and_saveexec_b32 s73, s31
	s_cbranch_execz .LBB230_73
.LBB230_105:                            ;   in Loop: Header=BB230_41 Depth=1
	scratch_load_b128 v[7:10], off, off
	v_add3_u32 v11, v3, -1, v6
	s_delay_alu instid0(VALU_DEP_1) | instskip(SKIP_1) | instid1(VALU_DEP_2)
	v_lshlrev_b32_e32 v12, 4, v11
	v_lshl_add_u32 v11, v11, 2, 0
	v_add3_u32 v12, 0, v12, 0x4000
	ds_store_b32 v11, v5
	s_waitcnt vmcnt(0)
	ds_store_2addr_b64 v12, v[7:8], v[9:10] offset1:1
	s_or_b32 exec_lo, exec_lo, s73
	s_and_saveexec_b32 s31, vcc_lo
	s_cbranch_execz .LBB230_40
.LBB230_106:                            ;   in Loop: Header=BB230_41 Depth=1
	v_mov_b32_e32 v5, s68
	ds_store_b32 v5, v6
	s_branch .LBB230_40
.LBB230_107:                            ;   in Loop: Header=BB230_108 Depth=1
	s_or_b32 exec_lo, exec_lo, s4
	v_add_co_u32 v5, vcc_lo, 0x400, v5
	v_add_co_ci_u32_e32 v6, vcc_lo, 0, v6, vcc_lo
	s_delay_alu instid0(VALU_DEP_1) | instskip(SKIP_1) | instid1(SALU_CYCLE_1)
	v_cmp_le_i64_e32 vcc_lo, s[0:1], v[5:6]
	s_or_b32 s3, vcc_lo, s3
	s_and_not1_b32 exec_lo, exec_lo, s3
	s_cbranch_execz .LBB230_38
.LBB230_108:                            ; =>This Loop Header: Depth=1
                                        ;     Child Loop BB230_110 Depth 2
                                        ;       Child Loop BB230_116 Depth 3
                                        ;       Child Loop BB230_118 Depth 3
                                        ;       Child Loop BB230_124 Depth 3
                                        ;       Child Loop BB230_126 Depth 3
	v_lshlrev_b64 v[7:8], 4, v[5:6]
	s_mov_b32 s4, 0
	s_delay_alu instid0(VALU_DEP_1) | instskip(NEXT) | instid1(VALU_DEP_2)
	v_add_co_u32 v7, vcc_lo, s40, v7
	v_add_co_ci_u32_e32 v8, vcc_lo, s41, v8, vcc_lo
	global_load_b128 v[9:12], v[7:8], off
	v_lshlrev_b64 v[7:8], 2, v[5:6]
	s_delay_alu instid0(VALU_DEP_1) | instskip(NEXT) | instid1(VALU_DEP_2)
	v_add_co_u32 v7, vcc_lo, s38, v7
	v_add_co_ci_u32_e32 v8, vcc_lo, s39, v8, vcc_lo
	global_load_b32 v13, v[7:8], off
	s_waitcnt vmcnt(1)
	v_mul_f64 v[7:8], v[11:12], -v[1:2]
	v_mul_f64 v[11:12], v[3:4], v[11:12]
	s_waitcnt vmcnt(0)
	v_subrev_nc_u32_e32 v13, s47, v13
	s_delay_alu instid0(VALU_DEP_3) | instskip(NEXT) | instid1(VALU_DEP_3)
	v_fma_f64 v[7:8], v[3:4], v[9:10], v[7:8]
	v_fma_f64 v[9:10], v[1:2], v[9:10], v[11:12]
	s_delay_alu instid0(VALU_DEP_3) | instskip(NEXT) | instid1(VALU_DEP_1)
	v_mul_lo_u32 v11, 0x89, v13
	v_and_b32_e32 v14, 0xfff, v11
	s_branch .LBB230_110
.LBB230_109:                            ;   in Loop: Header=BB230_110 Depth=2
	s_or_b32 exec_lo, exec_lo, s5
	s_xor_b32 s5, s6, -1
	s_delay_alu instid0(SALU_CYCLE_1) | instskip(NEXT) | instid1(SALU_CYCLE_1)
	s_and_b32 s5, exec_lo, s5
	s_or_b32 s4, s5, s4
	s_delay_alu instid0(SALU_CYCLE_1)
	s_and_not1_b32 exec_lo, exec_lo, s4
	s_cbranch_execz .LBB230_107
.LBB230_110:                            ;   Parent Loop BB230_108 Depth=1
                                        ; =>  This Loop Header: Depth=2
                                        ;       Child Loop BB230_116 Depth 3
                                        ;       Child Loop BB230_118 Depth 3
	;; [unrolled: 1-line block ×4, first 2 shown]
	s_delay_alu instid0(VALU_DEP_1)
	v_lshl_add_u32 v11, v14, 2, 0
	s_mov_b32 s5, exec_lo
                                        ; implicit-def: $sgpr6
	ds_load_b32 v12, v11
	s_waitcnt lgkmcnt(0)
	v_cmpx_ne_u32_e64 v12, v13
	s_xor_b32 s5, exec_lo, s5
	s_cbranch_execz .LBB230_122
; %bb.111:                              ;   in Loop: Header=BB230_110 Depth=2
	s_mov_b32 s7, exec_lo
                                        ; implicit-def: $sgpr6
	v_cmpx_ne_u32_e64 s33, v12
	s_xor_b32 s7, exec_lo, s7
; %bb.112:                              ;   in Loop: Header=BB230_110 Depth=2
	v_add_nc_u32_e32 v11, 1, v14
	s_mov_b32 s6, -1
	s_delay_alu instid0(VALU_DEP_1)
	v_and_b32_e32 v14, 0xfff, v11
                                        ; implicit-def: $vgpr11
; %bb.113:                              ;   in Loop: Header=BB230_110 Depth=2
	s_and_not1_saveexec_b32 s7, s7
	s_cbranch_execz .LBB230_121
; %bb.114:                              ;   in Loop: Header=BB230_110 Depth=2
	v_mov_b32_e32 v12, s33
	s_mov_b32 s9, -1
	s_mov_b32 s8, exec_lo
	ds_cmpstore_rtn_b32 v12, v11, v13, v12
	s_waitcnt lgkmcnt(0)
	v_cmpx_eq_u32_e64 s33, v12
	s_cbranch_execz .LBB230_120
; %bb.115:                              ;   in Loop: Header=BB230_110 Depth=2
	v_mul_lo_u32 v12, v14, 12
	s_mov_b32 s9, 0
	s_delay_alu instid0(VALU_DEP_1)
	v_add_nc_u32_e32 v15, v11, v12
	ds_load_b64 v[11:12], v15 offset:16384
.LBB230_116:                            ;   Parent Loop BB230_108 Depth=1
                                        ;     Parent Loop BB230_110 Depth=2
                                        ; =>    This Inner Loop Header: Depth=3
	s_waitcnt lgkmcnt(0)
	v_add_f64 v[16:17], v[11:12], v[7:8]
	ds_cmpstore_rtn_b64 v[16:17], v15, v[16:17], v[11:12] offset:16384
	s_waitcnt lgkmcnt(0)
	v_cmp_eq_u64_e32 vcc_lo, v[16:17], v[11:12]
	v_dual_mov_b32 v11, v16 :: v_dual_mov_b32 v12, v17
	s_or_b32 s9, vcc_lo, s9
	s_delay_alu instid0(SALU_CYCLE_1)
	s_and_not1_b32 exec_lo, exec_lo, s9
	s_cbranch_execnz .LBB230_116
; %bb.117:                              ;   in Loop: Header=BB230_110 Depth=2
	s_or_b32 exec_lo, exec_lo, s9
	ds_load_b64 v[11:12], v15 offset:16392
	s_mov_b32 s9, 0
.LBB230_118:                            ;   Parent Loop BB230_108 Depth=1
                                        ;     Parent Loop BB230_110 Depth=2
                                        ; =>    This Inner Loop Header: Depth=3
	s_waitcnt lgkmcnt(0)
	v_add_f64 v[16:17], v[11:12], v[9:10]
	ds_cmpstore_rtn_b64 v[16:17], v15, v[16:17], v[11:12] offset:16392
	s_waitcnt lgkmcnt(0)
	v_cmp_eq_u64_e32 vcc_lo, v[16:17], v[11:12]
	v_dual_mov_b32 v11, v16 :: v_dual_mov_b32 v12, v17
	s_or_b32 s9, vcc_lo, s9
	s_delay_alu instid0(SALU_CYCLE_1)
	s_and_not1_b32 exec_lo, exec_lo, s9
	s_cbranch_execnz .LBB230_118
; %bb.119:                              ;   in Loop: Header=BB230_110 Depth=2
	s_or_b32 exec_lo, exec_lo, s9
	s_delay_alu instid0(SALU_CYCLE_1)
	s_xor_b32 s9, exec_lo, -1
.LBB230_120:                            ;   in Loop: Header=BB230_110 Depth=2
	s_or_b32 exec_lo, exec_lo, s8
	s_delay_alu instid0(SALU_CYCLE_1) | instskip(SKIP_1) | instid1(SALU_CYCLE_1)
	s_and_not1_b32 s6, s6, exec_lo
	s_and_b32 s8, s9, exec_lo
	s_or_b32 s6, s6, s8
.LBB230_121:                            ;   in Loop: Header=BB230_110 Depth=2
	s_or_b32 exec_lo, exec_lo, s7
	s_delay_alu instid0(SALU_CYCLE_1)
	s_and_b32 s6, s6, exec_lo
                                        ; implicit-def: $vgpr11
.LBB230_122:                            ;   in Loop: Header=BB230_110 Depth=2
	s_and_not1_saveexec_b32 s5, s5
	s_cbranch_execz .LBB230_109
; %bb.123:                              ;   in Loop: Header=BB230_110 Depth=2
	v_mul_lo_u32 v12, v14, 12
	s_mov_b32 s7, 0
	s_delay_alu instid0(VALU_DEP_1)
	v_add_nc_u32_e32 v15, v11, v12
	ds_load_b64 v[11:12], v15 offset:16384
.LBB230_124:                            ;   Parent Loop BB230_108 Depth=1
                                        ;     Parent Loop BB230_110 Depth=2
                                        ; =>    This Inner Loop Header: Depth=3
	s_waitcnt lgkmcnt(0)
	v_add_f64 v[16:17], v[11:12], v[7:8]
	ds_cmpstore_rtn_b64 v[16:17], v15, v[16:17], v[11:12] offset:16384
	s_waitcnt lgkmcnt(0)
	v_cmp_eq_u64_e32 vcc_lo, v[16:17], v[11:12]
	v_dual_mov_b32 v11, v16 :: v_dual_mov_b32 v12, v17
	s_or_b32 s7, vcc_lo, s7
	s_delay_alu instid0(SALU_CYCLE_1)
	s_and_not1_b32 exec_lo, exec_lo, s7
	s_cbranch_execnz .LBB230_124
; %bb.125:                              ;   in Loop: Header=BB230_110 Depth=2
	s_or_b32 exec_lo, exec_lo, s7
	ds_load_b64 v[11:12], v15 offset:16392
	s_mov_b32 s7, 0
.LBB230_126:                            ;   Parent Loop BB230_108 Depth=1
                                        ;     Parent Loop BB230_110 Depth=2
                                        ; =>    This Inner Loop Header: Depth=3
	s_waitcnt lgkmcnt(0)
	v_add_f64 v[16:17], v[11:12], v[9:10]
	ds_cmpstore_rtn_b64 v[16:17], v15, v[16:17], v[11:12] offset:16392
	s_waitcnt lgkmcnt(0)
	v_cmp_eq_u64_e32 vcc_lo, v[16:17], v[11:12]
	v_dual_mov_b32 v11, v16 :: v_dual_mov_b32 v12, v17
	s_or_b32 s7, vcc_lo, s7
	s_delay_alu instid0(SALU_CYCLE_1)
	s_and_not1_b32 exec_lo, exec_lo, s7
	s_cbranch_execnz .LBB230_126
; %bb.127:                              ;   in Loop: Header=BB230_110 Depth=2
	s_or_b32 exec_lo, exec_lo, s7
	s_delay_alu instid0(SALU_CYCLE_1)
	s_and_not1_b32 s6, s6, exec_lo
	s_branch .LBB230_109
.LBB230_128:
	s_or_b32 exec_lo, exec_lo, s36
	s_ashr_i32 s49, s48, 31
	s_mov_b32 s4, exec_lo
	s_lshl_b64 s[0:1], s[48:49], 3
	s_delay_alu instid0(SALU_CYCLE_1) | instskip(SKIP_4) | instid1(SALU_CYCLE_1)
	s_add_u32 s0, s42, s0
	s_addc_u32 s1, s43, s1
	s_load_b128 s[0:3], s[0:1], 0x0
	s_waitcnt lgkmcnt(0)
	s_sub_i32 s3, s2, s0
	v_cmpx_gt_i32_e64 s3, v0
	s_cbranch_execz .LBB230_138
; %bb.129:
	s_sub_u32 s4, s0, s46
	s_subb_u32 s5, s1, 0
	s_sub_i32 s0, s0, s2
	s_and_b32 s1, s3, 7
	s_cmp_lt_u32 s0, -7
	s_mov_b32 s8, 0
	s_cselect_b32 s2, -1, 0
	s_and_b32 s6, s3, -8
	s_cmp_lg_u32 s1, 0
	s_cselect_b32 s7, -1, 0
	s_branch .LBB230_131
.LBB230_130:                            ;   in Loop: Header=BB230_131 Depth=1
	s_waitcnt lgkmcnt(0)
	v_mul_lo_u32 v4, v0, 12
	v_lshlrev_b64 v[1:2], 4, v[1:2]
	v_add_nc_u32_e32 v0, 0x400, v0
	s_delay_alu instid0(VALU_DEP_1) | instskip(NEXT) | instid1(VALU_DEP_4)
	v_cmp_le_i32_e32 vcc_lo, s3, v0
	v_add3_u32 v3, v3, v4, 0x4000
	s_delay_alu instid0(VALU_DEP_4) | instskip(NEXT) | instid1(VALU_DEP_1)
	v_add_co_u32 v1, s0, s34, v1
	v_add_co_ci_u32_e64 v2, s0, s35, v2, s0
	ds_load_2addr_b64 v[3:6], v3 offset1:1
	s_or_b32 s8, vcc_lo, s8
	s_waitcnt lgkmcnt(0)
	global_store_b128 v[1:2], v[3:6], off
	s_and_not1_b32 exec_lo, exec_lo, s8
	s_cbranch_execz .LBB230_138
.LBB230_131:                            ; =>This Loop Header: Depth=1
                                        ;     Child Loop BB230_133 Depth 2
                                        ;     Child Loop BB230_137 Depth 2
	v_lshl_add_u32 v3, v0, 2, 0
	v_dual_mov_b32 v1, s4 :: v_dual_mov_b32 v2, s5
	s_and_not1_b32 vcc_lo, exec_lo, s2
	s_mov_b32 s0, 0
	ds_load_b32 v4, v3
	s_cbranch_vccnz .LBB230_135
; %bb.132:                              ;   in Loop: Header=BB230_131 Depth=1
	v_dual_mov_b32 v1, s4 :: v_dual_mov_b32 v2, s5
	s_mov_b32 s9, 0
	s_mov_b32 s10, 0
.LBB230_133:                            ;   Parent Loop BB230_131 Depth=1
                                        ; =>  This Inner Loop Header: Depth=2
	s_delay_alu instid0(SALU_CYCLE_1)
	v_mov_b32_e32 v11, s10
	s_add_i32 s9, s9, 8
	s_add_i32 s10, s10, 32
	s_cmp_eq_u32 s6, s9
	ds_load_2addr_b32 v[5:6], v11 offset1:1
	ds_load_2addr_b32 v[7:8], v11 offset0:2 offset1:3
	ds_load_2addr_b32 v[9:10], v11 offset0:4 offset1:5
	;; [unrolled: 1-line block ×3, first 2 shown]
	s_waitcnt lgkmcnt(3)
	v_cmp_gt_i32_e32 vcc_lo, v4, v5
	v_cndmask_b32_e64 v5, 0, 1, vcc_lo
	v_cmp_gt_i32_e32 vcc_lo, v4, v6
	v_cndmask_b32_e64 v6, 0, 1, vcc_lo
	s_waitcnt lgkmcnt(2)
	v_cmp_gt_i32_e32 vcc_lo, v4, v7
	v_cndmask_b32_e64 v7, 0, 1, vcc_lo
	v_cmp_gt_i32_e32 vcc_lo, v4, v8
	v_cndmask_b32_e64 v8, 0, 1, vcc_lo
	s_waitcnt lgkmcnt(1)
	v_cmp_gt_i32_e32 vcc_lo, v4, v9
	v_cndmask_b32_e64 v9, 0, 1, vcc_lo
	v_add_co_u32 v1, vcc_lo, v1, v5
	v_add_co_ci_u32_e32 v2, vcc_lo, 0, v2, vcc_lo
	v_cmp_gt_i32_e32 vcc_lo, v4, v10
	s_delay_alu instid0(VALU_DEP_3) | instskip(NEXT) | instid1(VALU_DEP_1)
	v_add_co_u32 v1, s0, v1, v6
	v_add_co_ci_u32_e64 v2, s0, 0, v2, s0
	v_cndmask_b32_e64 v5, 0, 1, vcc_lo
	s_delay_alu instid0(VALU_DEP_3) | instskip(NEXT) | instid1(VALU_DEP_3)
	v_add_co_u32 v1, vcc_lo, v1, v7
	v_add_co_ci_u32_e32 v2, vcc_lo, 0, v2, vcc_lo
	s_waitcnt lgkmcnt(0)
	v_cmp_gt_i32_e32 vcc_lo, v4, v11
	s_delay_alu instid0(VALU_DEP_3) | instskip(NEXT) | instid1(VALU_DEP_1)
	v_add_co_u32 v1, s0, v1, v8
	v_add_co_ci_u32_e64 v2, s0, 0, v2, s0
	v_cndmask_b32_e64 v6, 0, 1, vcc_lo
	s_delay_alu instid0(VALU_DEP_3) | instskip(NEXT) | instid1(VALU_DEP_3)
	v_add_co_u32 v1, vcc_lo, v1, v9
	v_add_co_ci_u32_e32 v2, vcc_lo, 0, v2, vcc_lo
	v_cmp_gt_i32_e32 vcc_lo, v4, v12
	s_delay_alu instid0(VALU_DEP_3) | instskip(NEXT) | instid1(VALU_DEP_1)
	v_add_co_u32 v1, s0, v1, v5
	v_add_co_ci_u32_e64 v2, s0, 0, v2, s0
	v_cndmask_b32_e64 v5, 0, 1, vcc_lo
	s_delay_alu instid0(VALU_DEP_3) | instskip(NEXT) | instid1(VALU_DEP_3)
	v_add_co_u32 v1, vcc_lo, v1, v6
	v_add_co_ci_u32_e32 v2, vcc_lo, 0, v2, vcc_lo
	s_delay_alu instid0(VALU_DEP_2) | instskip(NEXT) | instid1(VALU_DEP_2)
	v_add_co_u32 v1, vcc_lo, v1, v5
	v_add_co_ci_u32_e32 v2, vcc_lo, 0, v2, vcc_lo
	s_cbranch_scc0 .LBB230_133
; %bb.134:                              ;   in Loop: Header=BB230_131 Depth=1
	s_mov_b32 s0, s6
.LBB230_135:                            ;   in Loop: Header=BB230_131 Depth=1
	s_and_not1_b32 vcc_lo, exec_lo, s7
	s_cbranch_vccnz .LBB230_130
; %bb.136:                              ;   in Loop: Header=BB230_131 Depth=1
	s_lshl_b32 s0, s0, 2
	s_mov_b32 s9, s1
	s_add_i32 s0, s0, 0
.LBB230_137:                            ;   Parent Loop BB230_131 Depth=1
                                        ; =>  This Inner Loop Header: Depth=2
	s_delay_alu instid0(SALU_CYCLE_1)
	v_mov_b32_e32 v5, s0
	s_add_i32 s9, s9, -1
	s_add_i32 s0, s0, 4
	s_cmp_lg_u32 s9, 0
	ds_load_b32 v5, v5
	s_waitcnt lgkmcnt(0)
	v_cmp_gt_i32_e32 vcc_lo, v4, v5
	v_cndmask_b32_e64 v5, 0, 1, vcc_lo
	s_delay_alu instid0(VALU_DEP_1)
	v_add_co_u32 v1, vcc_lo, v1, v5
	v_add_co_ci_u32_e32 v2, vcc_lo, 0, v2, vcc_lo
	s_cbranch_scc1 .LBB230_137
	s_branch .LBB230_130
.LBB230_138:
	s_nop 0
	s_sendmsg sendmsg(MSG_DEALLOC_VGPRS)
	s_endpgm
	.section	.rodata,"a",@progbits
	.p2align	6, 0x0
	.amdhsa_kernel _ZN9rocsparseL41csrgemm_numeric_fill_block_per_row_kernelILj1024ELj64ELj4096ELj137ELj32Eli21rocsparse_complex_numIdEEEvT5_PKS3_S5_NS_24const_host_device_scalarIT6_EEPKT4_S5_PKS7_SB_S5_SD_S8_SB_S5_SD_SB_S5_PS7_21rocsparse_index_base_SF_SF_SF_bbb
		.amdhsa_group_segment_fixed_size 0
		.amdhsa_private_segment_fixed_size 40
		.amdhsa_kernarg_size 172
		.amdhsa_user_sgpr_count 15
		.amdhsa_user_sgpr_dispatch_ptr 0
		.amdhsa_user_sgpr_queue_ptr 0
		.amdhsa_user_sgpr_kernarg_segment_ptr 1
		.amdhsa_user_sgpr_dispatch_id 0
		.amdhsa_user_sgpr_private_segment_size 0
		.amdhsa_wavefront_size32 1
		.amdhsa_uses_dynamic_stack 0
		.amdhsa_enable_private_segment 1
		.amdhsa_system_sgpr_workgroup_id_x 1
		.amdhsa_system_sgpr_workgroup_id_y 0
		.amdhsa_system_sgpr_workgroup_id_z 0
		.amdhsa_system_sgpr_workgroup_info 0
		.amdhsa_system_vgpr_workitem_id 0
		.amdhsa_next_free_vgpr 35
		.amdhsa_next_free_sgpr 74
		.amdhsa_reserve_vcc 1
		.amdhsa_float_round_mode_32 0
		.amdhsa_float_round_mode_16_64 0
		.amdhsa_float_denorm_mode_32 3
		.amdhsa_float_denorm_mode_16_64 3
		.amdhsa_dx10_clamp 1
		.amdhsa_ieee_mode 1
		.amdhsa_fp16_overflow 0
		.amdhsa_workgroup_processor_mode 1
		.amdhsa_memory_ordered 1
		.amdhsa_forward_progress 0
		.amdhsa_shared_vgpr_count 0
		.amdhsa_exception_fp_ieee_invalid_op 0
		.amdhsa_exception_fp_denorm_src 0
		.amdhsa_exception_fp_ieee_div_zero 0
		.amdhsa_exception_fp_ieee_overflow 0
		.amdhsa_exception_fp_ieee_underflow 0
		.amdhsa_exception_fp_ieee_inexact 0
		.amdhsa_exception_int_div_zero 0
	.end_amdhsa_kernel
	.section	.text._ZN9rocsparseL41csrgemm_numeric_fill_block_per_row_kernelILj1024ELj64ELj4096ELj137ELj32Eli21rocsparse_complex_numIdEEEvT5_PKS3_S5_NS_24const_host_device_scalarIT6_EEPKT4_S5_PKS7_SB_S5_SD_S8_SB_S5_SD_SB_S5_PS7_21rocsparse_index_base_SF_SF_SF_bbb,"axG",@progbits,_ZN9rocsparseL41csrgemm_numeric_fill_block_per_row_kernelILj1024ELj64ELj4096ELj137ELj32Eli21rocsparse_complex_numIdEEEvT5_PKS3_S5_NS_24const_host_device_scalarIT6_EEPKT4_S5_PKS7_SB_S5_SD_S8_SB_S5_SD_SB_S5_PS7_21rocsparse_index_base_SF_SF_SF_bbb,comdat
.Lfunc_end230:
	.size	_ZN9rocsparseL41csrgemm_numeric_fill_block_per_row_kernelILj1024ELj64ELj4096ELj137ELj32Eli21rocsparse_complex_numIdEEEvT5_PKS3_S5_NS_24const_host_device_scalarIT6_EEPKT4_S5_PKS7_SB_S5_SD_S8_SB_S5_SD_SB_S5_PS7_21rocsparse_index_base_SF_SF_SF_bbb, .Lfunc_end230-_ZN9rocsparseL41csrgemm_numeric_fill_block_per_row_kernelILj1024ELj64ELj4096ELj137ELj32Eli21rocsparse_complex_numIdEEEvT5_PKS3_S5_NS_24const_host_device_scalarIT6_EEPKT4_S5_PKS7_SB_S5_SD_S8_SB_S5_SD_SB_S5_PS7_21rocsparse_index_base_SF_SF_SF_bbb
                                        ; -- End function
	.section	.AMDGPU.csdata,"",@progbits
; Kernel info:
; codeLenInByte = 5536
; NumSgprs: 76
; NumVgprs: 35
; ScratchSize: 40
; MemoryBound: 0
; FloatMode: 240
; IeeeMode: 1
; LDSByteSize: 0 bytes/workgroup (compile time only)
; SGPRBlocks: 9
; VGPRBlocks: 4
; NumSGPRsForWavesPerEU: 76
; NumVGPRsForWavesPerEU: 35
; Occupancy: 16
; WaveLimiterHint : 1
; COMPUTE_PGM_RSRC2:SCRATCH_EN: 1
; COMPUTE_PGM_RSRC2:USER_SGPR: 15
; COMPUTE_PGM_RSRC2:TRAP_HANDLER: 0
; COMPUTE_PGM_RSRC2:TGID_X_EN: 1
; COMPUTE_PGM_RSRC2:TGID_Y_EN: 0
; COMPUTE_PGM_RSRC2:TGID_Z_EN: 0
; COMPUTE_PGM_RSRC2:TIDIG_COMP_CNT: 0
	.section	.text._ZN9rocsparseL41csrgemm_numeric_fill_block_per_row_kernelILj1024ELj64ELj4096ELj137ELj64Eli21rocsparse_complex_numIdEEEvT5_PKS3_S5_NS_24const_host_device_scalarIT6_EEPKT4_S5_PKS7_SB_S5_SD_S8_SB_S5_SD_SB_S5_PS7_21rocsparse_index_base_SF_SF_SF_bbb,"axG",@progbits,_ZN9rocsparseL41csrgemm_numeric_fill_block_per_row_kernelILj1024ELj64ELj4096ELj137ELj64Eli21rocsparse_complex_numIdEEEvT5_PKS3_S5_NS_24const_host_device_scalarIT6_EEPKT4_S5_PKS7_SB_S5_SD_S8_SB_S5_SD_SB_S5_PS7_21rocsparse_index_base_SF_SF_SF_bbb,comdat
	.globl	_ZN9rocsparseL41csrgemm_numeric_fill_block_per_row_kernelILj1024ELj64ELj4096ELj137ELj64Eli21rocsparse_complex_numIdEEEvT5_PKS3_S5_NS_24const_host_device_scalarIT6_EEPKT4_S5_PKS7_SB_S5_SD_S8_SB_S5_SD_SB_S5_PS7_21rocsparse_index_base_SF_SF_SF_bbb ; -- Begin function _ZN9rocsparseL41csrgemm_numeric_fill_block_per_row_kernelILj1024ELj64ELj4096ELj137ELj64Eli21rocsparse_complex_numIdEEEvT5_PKS3_S5_NS_24const_host_device_scalarIT6_EEPKT4_S5_PKS7_SB_S5_SD_S8_SB_S5_SD_SB_S5_PS7_21rocsparse_index_base_SF_SF_SF_bbb
	.p2align	8
	.type	_ZN9rocsparseL41csrgemm_numeric_fill_block_per_row_kernelILj1024ELj64ELj4096ELj137ELj64Eli21rocsparse_complex_numIdEEEvT5_PKS3_S5_NS_24const_host_device_scalarIT6_EEPKT4_S5_PKS7_SB_S5_SD_S8_SB_S5_SD_SB_S5_PS7_21rocsparse_index_base_SF_SF_SF_bbb,@function
_ZN9rocsparseL41csrgemm_numeric_fill_block_per_row_kernelILj1024ELj64ELj4096ELj137ELj64Eli21rocsparse_complex_numIdEEEvT5_PKS3_S5_NS_24const_host_device_scalarIT6_EEPKT4_S5_PKS7_SB_S5_SD_S8_SB_S5_SD_SB_S5_PS7_21rocsparse_index_base_SF_SF_SF_bbb: ; @_ZN9rocsparseL41csrgemm_numeric_fill_block_per_row_kernelILj1024ELj64ELj4096ELj137ELj64Eli21rocsparse_complex_numIdEEEvT5_PKS3_S5_NS_24const_host_device_scalarIT6_EEPKT4_S5_PKS7_SB_S5_SD_S8_SB_S5_SD_SB_S5_PS7_21rocsparse_index_base_SF_SF_SF_bbb
; %bb.0:
	s_clause 0x3
	s_load_b32 s14, s[0:1], 0xa8
	s_load_b128 s[4:7], s[0:1], 0x18
	s_load_b128 s[36:39], s[0:1], 0x58
	;; [unrolled: 1-line block ×3, first 2 shown]
	v_mov_b32_e32 v1, 0
	v_mov_b32_e32 v2, 0
	s_waitcnt lgkmcnt(0)
	s_bitcmp1_b32 s14, 0
	v_mov_b32_e32 v3, s4
	s_cselect_b32 s12, -1, 0
	s_bitcmp1_b32 s14, 16
	v_dual_mov_b32 v6, v2 :: v_dual_mov_b32 v5, v1
	s_cselect_b32 s2, -1, 0
	v_mov_b32_e32 v4, s5
	s_xor_b32 s13, s2, -1
	v_dual_mov_b32 v9, s36 :: v_dual_mov_b32 v10, s37
	v_cndmask_b32_e64 v7, 0, 1, s13
	s_bitcmp0_b32 s14, 0
	s_clause 0x1
	scratch_store_b64 off, v[3:4], off offset:16
	scratch_store_b64 off, v[9:10], off offset:24
	v_cmp_ne_u32_e32 vcc_lo, 1, v7
	v_dual_mov_b32 v8, v2 :: v_dual_mov_b32 v7, v1
	s_cbranch_scc1 .LBB231_3
; %bb.1:
	s_mov_b64 s[8:9], src_private_base
	s_and_b32 s3, s2, exec_lo
	s_cselect_b32 s3, s9, s5
	s_delay_alu instid0(SALU_CYCLE_1) | instskip(SKIP_2) | instid1(VALU_DEP_2)
	v_dual_mov_b32 v3, 16 :: v_dual_mov_b32 v4, s3
	v_dual_mov_b32 v8, s7 :: v_dual_mov_b32 v7, s6
	s_and_b32 vcc_lo, exec_lo, vcc_lo
	v_cndmask_b32_e64 v3, s4, v3, s2
	flat_load_b64 v[5:6], v[3:4]
	s_cbranch_vccnz .LBB231_3
; %bb.2:
	v_dual_mov_b32 v3, s4 :: v_dual_mov_b32 v4, s5
	flat_load_b64 v[7:8], v[3:4] offset:8
.LBB231_3:
	s_clause 0x4
	s_load_b64 s[34:35], s[0:1], 0x90
	s_load_b256 s[16:23], s[0:1], 0x68
	s_load_b128 s[28:31], s[0:1], 0x48
	s_load_b128 s[40:43], s[0:1], 0x8
	s_load_b256 s[4:11], s[0:1], 0x28
	s_bitcmp1_b32 s14, 8
	v_dual_mov_b32 v4, v2 :: v_dual_mov_b32 v3, v1
	s_cselect_b32 s3, -1, 0
	s_bfe_u32 s14, s14, 0x10008
	s_delay_alu instid0(SALU_CYCLE_1)
	s_cmp_eq_u32 s14, 0
	s_cbranch_scc1 .LBB231_6
; %bb.4:
	s_mov_b64 s[44:45], src_private_base
	s_and_b32 s14, s2, exec_lo
	s_cselect_b32 s14, s45, s37
	s_delay_alu instid0(SALU_CYCLE_1) | instskip(SKIP_1) | instid1(VALU_DEP_1)
	v_dual_mov_b32 v1, 24 :: v_dual_mov_b32 v2, s14
	s_and_not1_b32 vcc_lo, exec_lo, s13
	v_cndmask_b32_e64 v1, s36, v1, s2
	flat_load_b64 v[3:4], v[1:2]
	v_dual_mov_b32 v1, s38 :: v_dual_mov_b32 v2, s39
	s_cbranch_vccnz .LBB231_6
; %bb.5:
	v_dual_mov_b32 v1, s36 :: v_dual_mov_b32 v2, s37
	flat_load_b64 v[1:2], v[1:2] offset:8
.LBB231_6:
	s_load_b32 s33, s[0:1], 0x0
	s_mov_b32 s0, 0
	v_or_b32_e32 v25, 0xfffffc00, v0
	s_mov_b32 s1, s0
	s_delay_alu instid0(SALU_CYCLE_1) | instskip(SKIP_3) | instid1(VALU_DEP_2)
	v_dual_mov_b32 v10, s1 :: v_dual_lshlrev_b32 v11, 4, v0
	v_lshl_add_u32 v26, v0, 2, 0
	s_mov_b32 s36, s0
	s_mov_b32 s37, s0
	v_add3_u32 v27, v11, 0, 0x4000
	v_dual_mov_b32 v11, s36 :: v_dual_mov_b32 v14, v25
	v_dual_mov_b32 v9, s0 :: v_dual_mov_b32 v12, s37
	s_delay_alu instid0(VALU_DEP_3)
	v_dual_mov_b32 v13, v26 :: v_dual_mov_b32 v16, v27
	s_waitcnt lgkmcnt(0)
	v_mov_b32_e32 v15, s33
.LBB231_7:                              ; =>This Inner Loop Header: Depth=1
	v_add_nc_u32_e32 v14, 0x400, v14
	ds_store_b32 v13, v15
	ds_store_2addr_b64 v16, v[9:10], v[11:12] offset1:1
	v_add_nc_u32_e32 v16, 0x4000, v16
	v_add_nc_u32_e32 v13, 0x1000, v13
	v_cmp_lt_u32_e32 vcc_lo, 0xbff, v14
	s_or_b32 s0, vcc_lo, s0
	s_delay_alu instid0(SALU_CYCLE_1)
	s_and_not1_b32 exec_lo, exec_lo, s0
	s_cbranch_execnz .LBB231_7
; %bb.8:
	s_or_b32 exec_lo, exec_lo, s0
	s_waitcnt vmcnt(0) lgkmcnt(0)
	s_waitcnt_vscnt null, 0x0
	s_barrier
	buffer_gl0_inv
	s_load_b32 s0, s[40:41], 0x0
	s_mov_b32 s1, 0
	v_lshrrev_b32_e32 v28, 6, v0
	s_waitcnt lgkmcnt(0)
	s_add_i32 s0, s0, s15
	s_delay_alu instid0(SALU_CYCLE_1) | instskip(NEXT) | instid1(SALU_CYCLE_1)
	s_lshl_b64 s[0:1], s[0:1], 2
	s_add_u32 s0, s42, s0
	s_addc_u32 s1, s43, s1
	s_and_b32 vcc_lo, exec_lo, s12
	s_load_b32 s36, s[0:1], 0x0
	s_cbranch_vccz .LBB231_36
; %bb.9:
	s_waitcnt lgkmcnt(0)
	s_ashr_i32 s37, s36, 31
	s_mov_b32 s2, exec_lo
	s_lshl_b64 s[0:1], s[36:37], 3
	s_delay_alu instid0(SALU_CYCLE_1) | instskip(SKIP_3) | instid1(VALU_DEP_1)
	s_add_u32 s0, s4, s0
	s_addc_u32 s1, s5, s1
	s_load_b128 s[12:15], s[0:1], 0x0
	v_sub_co_u32 v9, s0, v28, s24
	v_sub_co_ci_u32_e64 v10, null, 0, 0, s0
	s_waitcnt lgkmcnt(0)
	s_delay_alu instid0(VALU_DEP_2) | instskip(NEXT) | instid1(VALU_DEP_2)
	v_add_co_u32 v9, vcc_lo, s12, v9
	v_add_co_ci_u32_e32 v10, vcc_lo, s13, v10, vcc_lo
	s_sub_u32 s0, s14, s24
	s_subb_u32 s1, s15, 0
	s_delay_alu instid0(VALU_DEP_1) | instid1(SALU_CYCLE_1)
	v_cmpx_gt_i64_e64 s[0:1], v[9:10]
	s_cbranch_execz .LBB231_35
; %bb.10:
	v_and_b32_e32 v11, 63, v0
	s_mov_b32 s5, s25
	s_delay_alu instid0(VALU_DEP_1) | instskip(NEXT) | instid1(VALU_DEP_1)
	v_sub_co_u32 v29, s4, v11, s25
	v_sub_co_ci_u32_e64 v30, null, 0, 0, s4
	s_mov_b32 s4, 0
	s_branch .LBB231_12
.LBB231_11:                             ;   in Loop: Header=BB231_12 Depth=1
	s_or_b32 exec_lo, exec_lo, s12
	v_add_co_u32 v9, vcc_lo, v9, 16
	v_add_co_ci_u32_e32 v10, vcc_lo, 0, v10, vcc_lo
	s_delay_alu instid0(VALU_DEP_1) | instskip(SKIP_1) | instid1(SALU_CYCLE_1)
	v_cmp_le_i64_e32 vcc_lo, s[0:1], v[9:10]
	s_or_b32 s4, vcc_lo, s4
	s_and_not1_b32 exec_lo, exec_lo, s4
	s_cbranch_execz .LBB231_35
.LBB231_12:                             ; =>This Loop Header: Depth=1
                                        ;     Child Loop BB231_15 Depth 2
                                        ;       Child Loop BB231_17 Depth 3
                                        ;         Child Loop BB231_23 Depth 4
                                        ;         Child Loop BB231_25 Depth 4
	;; [unrolled: 1-line block ×4, first 2 shown]
	v_lshlrev_b64 v[11:12], 2, v[9:10]
	s_mov_b32 s12, exec_lo
	s_delay_alu instid0(VALU_DEP_1) | instskip(NEXT) | instid1(VALU_DEP_2)
	v_add_co_u32 v11, vcc_lo, s6, v11
	v_add_co_ci_u32_e32 v12, vcc_lo, s7, v12, vcc_lo
	global_load_b32 v11, v[11:12], off
	s_waitcnt vmcnt(0)
	v_subrev_nc_u32_e32 v11, s24, v11
	s_delay_alu instid0(VALU_DEP_1) | instskip(NEXT) | instid1(VALU_DEP_1)
	v_ashrrev_i32_e32 v12, 31, v11
	v_lshlrev_b64 v[11:12], 3, v[11:12]
	s_delay_alu instid0(VALU_DEP_1) | instskip(NEXT) | instid1(VALU_DEP_2)
	v_add_co_u32 v11, vcc_lo, s10, v11
	v_add_co_ci_u32_e32 v12, vcc_lo, s11, v12, vcc_lo
	global_load_b128 v[13:16], v[11:12], off
	s_waitcnt vmcnt(0)
	v_sub_co_u32 v11, vcc_lo, v15, s5
	v_subrev_co_ci_u32_e32 v12, vcc_lo, 0, v16, vcc_lo
	v_add_co_u32 v13, vcc_lo, v13, v29
	v_add_co_ci_u32_e32 v14, vcc_lo, v14, v30, vcc_lo
	s_delay_alu instid0(VALU_DEP_1)
	v_cmpx_lt_i64_e64 v[13:14], v[11:12]
	s_cbranch_execz .LBB231_11
; %bb.13:                               ;   in Loop: Header=BB231_12 Depth=1
	v_lshlrev_b64 v[15:16], 4, v[9:10]
	s_mov_b32 s13, 0
	s_delay_alu instid0(VALU_DEP_1) | instskip(NEXT) | instid1(VALU_DEP_2)
	v_add_co_u32 v15, vcc_lo, s8, v15
	v_add_co_ci_u32_e32 v16, vcc_lo, s9, v16, vcc_lo
	global_load_b128 v[17:20], v[15:16], off
	s_waitcnt vmcnt(0)
	v_mul_f64 v[15:16], v[19:20], -v[7:8]
	v_mul_f64 v[19:20], v[5:6], v[19:20]
	s_delay_alu instid0(VALU_DEP_2) | instskip(NEXT) | instid1(VALU_DEP_2)
	v_fma_f64 v[15:16], v[5:6], v[17:18], v[15:16]
	v_fma_f64 v[17:18], v[7:8], v[17:18], v[19:20]
	s_branch .LBB231_15
.LBB231_14:                             ;   in Loop: Header=BB231_15 Depth=2
	s_or_b32 exec_lo, exec_lo, s14
	v_add_co_u32 v13, vcc_lo, v13, 64
	v_add_co_ci_u32_e32 v14, vcc_lo, 0, v14, vcc_lo
	s_delay_alu instid0(VALU_DEP_1) | instskip(SKIP_1) | instid1(SALU_CYCLE_1)
	v_cmp_ge_i64_e32 vcc_lo, v[13:14], v[11:12]
	s_or_b32 s13, vcc_lo, s13
	s_and_not1_b32 exec_lo, exec_lo, s13
	s_cbranch_execz .LBB231_11
.LBB231_15:                             ;   Parent Loop BB231_12 Depth=1
                                        ; =>  This Loop Header: Depth=2
                                        ;       Child Loop BB231_17 Depth 3
                                        ;         Child Loop BB231_23 Depth 4
                                        ;         Child Loop BB231_25 Depth 4
	;; [unrolled: 1-line block ×4, first 2 shown]
	v_lshlrev_b64 v[19:20], 4, v[13:14]
	s_mov_b32 s14, 0
	s_delay_alu instid0(VALU_DEP_1) | instskip(NEXT) | instid1(VALU_DEP_2)
	v_add_co_u32 v19, vcc_lo, s30, v19
	v_add_co_ci_u32_e32 v20, vcc_lo, s31, v20, vcc_lo
	global_load_b128 v[21:24], v[19:20], off
	v_lshlrev_b64 v[19:20], 2, v[13:14]
	s_delay_alu instid0(VALU_DEP_1) | instskip(NEXT) | instid1(VALU_DEP_2)
	v_add_co_u32 v19, vcc_lo, s28, v19
	v_add_co_ci_u32_e32 v20, vcc_lo, s29, v20, vcc_lo
	global_load_b32 v31, v[19:20], off
	s_waitcnt vmcnt(1)
	v_mul_f64 v[19:20], v[23:24], -v[17:18]
	v_mul_f64 v[23:24], v[15:16], v[23:24]
	s_waitcnt vmcnt(0)
	v_subrev_nc_u32_e32 v31, s25, v31
	s_delay_alu instid0(VALU_DEP_3) | instskip(NEXT) | instid1(VALU_DEP_3)
	v_fma_f64 v[19:20], v[15:16], v[21:22], v[19:20]
	v_fma_f64 v[21:22], v[17:18], v[21:22], v[23:24]
	s_delay_alu instid0(VALU_DEP_3) | instskip(NEXT) | instid1(VALU_DEP_1)
	v_mul_lo_u32 v23, 0x89, v31
	v_and_b32_e32 v32, 0xfff, v23
	s_branch .LBB231_17
.LBB231_16:                             ;   in Loop: Header=BB231_17 Depth=3
	s_or_b32 exec_lo, exec_lo, s15
	s_xor_b32 s15, s37, -1
	s_delay_alu instid0(SALU_CYCLE_1) | instskip(NEXT) | instid1(SALU_CYCLE_1)
	s_and_b32 s15, exec_lo, s15
	s_or_b32 s14, s15, s14
	s_delay_alu instid0(SALU_CYCLE_1)
	s_and_not1_b32 exec_lo, exec_lo, s14
	s_cbranch_execz .LBB231_14
.LBB231_17:                             ;   Parent Loop BB231_12 Depth=1
                                        ;     Parent Loop BB231_15 Depth=2
                                        ; =>    This Loop Header: Depth=3
                                        ;         Child Loop BB231_23 Depth 4
                                        ;         Child Loop BB231_25 Depth 4
	;; [unrolled: 1-line block ×4, first 2 shown]
	s_delay_alu instid0(VALU_DEP_1)
	v_lshl_add_u32 v23, v32, 2, 0
	s_mov_b32 s15, exec_lo
                                        ; implicit-def: $sgpr37
	ds_load_b32 v24, v23
	s_waitcnt lgkmcnt(0)
	v_cmpx_ne_u32_e64 v24, v31
	s_xor_b32 s15, exec_lo, s15
	s_cbranch_execz .LBB231_29
; %bb.18:                               ;   in Loop: Header=BB231_17 Depth=3
	s_mov_b32 s38, exec_lo
                                        ; implicit-def: $sgpr37
	v_cmpx_ne_u32_e64 s33, v24
	s_xor_b32 s38, exec_lo, s38
; %bb.19:                               ;   in Loop: Header=BB231_17 Depth=3
	v_add_nc_u32_e32 v23, 1, v32
	s_mov_b32 s37, -1
	s_delay_alu instid0(VALU_DEP_1)
	v_and_b32_e32 v32, 0xfff, v23
                                        ; implicit-def: $vgpr23
; %bb.20:                               ;   in Loop: Header=BB231_17 Depth=3
	s_and_not1_saveexec_b32 s38, s38
	s_cbranch_execz .LBB231_28
; %bb.21:                               ;   in Loop: Header=BB231_17 Depth=3
	v_mov_b32_e32 v24, s33
	s_mov_b32 s40, -1
	s_mov_b32 s39, exec_lo
	ds_cmpstore_rtn_b32 v24, v23, v31, v24
	s_waitcnt lgkmcnt(0)
	v_cmpx_eq_u32_e64 s33, v24
	s_cbranch_execz .LBB231_27
; %bb.22:                               ;   in Loop: Header=BB231_17 Depth=3
	v_mul_lo_u32 v24, v32, 12
	s_mov_b32 s40, 0
	s_delay_alu instid0(VALU_DEP_1)
	v_add_nc_u32_e32 v33, v23, v24
	ds_load_b64 v[23:24], v33 offset:16384
.LBB231_23:                             ;   Parent Loop BB231_12 Depth=1
                                        ;     Parent Loop BB231_15 Depth=2
                                        ;       Parent Loop BB231_17 Depth=3
                                        ; =>      This Inner Loop Header: Depth=4
	s_waitcnt lgkmcnt(0)
	v_add_f64 v[34:35], v[23:24], v[19:20]
	ds_cmpstore_rtn_b64 v[34:35], v33, v[34:35], v[23:24] offset:16384
	s_waitcnt lgkmcnt(0)
	v_cmp_eq_u64_e32 vcc_lo, v[34:35], v[23:24]
	v_dual_mov_b32 v23, v34 :: v_dual_mov_b32 v24, v35
	s_or_b32 s40, vcc_lo, s40
	s_delay_alu instid0(SALU_CYCLE_1)
	s_and_not1_b32 exec_lo, exec_lo, s40
	s_cbranch_execnz .LBB231_23
; %bb.24:                               ;   in Loop: Header=BB231_17 Depth=3
	s_or_b32 exec_lo, exec_lo, s40
	ds_load_b64 v[23:24], v33 offset:16392
	s_mov_b32 s40, 0
.LBB231_25:                             ;   Parent Loop BB231_12 Depth=1
                                        ;     Parent Loop BB231_15 Depth=2
                                        ;       Parent Loop BB231_17 Depth=3
                                        ; =>      This Inner Loop Header: Depth=4
	s_waitcnt lgkmcnt(0)
	v_add_f64 v[34:35], v[23:24], v[21:22]
	ds_cmpstore_rtn_b64 v[34:35], v33, v[34:35], v[23:24] offset:16392
	s_waitcnt lgkmcnt(0)
	v_cmp_eq_u64_e32 vcc_lo, v[34:35], v[23:24]
	v_dual_mov_b32 v23, v34 :: v_dual_mov_b32 v24, v35
	s_or_b32 s40, vcc_lo, s40
	s_delay_alu instid0(SALU_CYCLE_1)
	s_and_not1_b32 exec_lo, exec_lo, s40
	s_cbranch_execnz .LBB231_25
; %bb.26:                               ;   in Loop: Header=BB231_17 Depth=3
	s_or_b32 exec_lo, exec_lo, s40
	s_delay_alu instid0(SALU_CYCLE_1)
	s_xor_b32 s40, exec_lo, -1
.LBB231_27:                             ;   in Loop: Header=BB231_17 Depth=3
	s_or_b32 exec_lo, exec_lo, s39
	s_delay_alu instid0(SALU_CYCLE_1) | instskip(SKIP_1) | instid1(SALU_CYCLE_1)
	s_and_not1_b32 s37, s37, exec_lo
	s_and_b32 s39, s40, exec_lo
	s_or_b32 s37, s37, s39
.LBB231_28:                             ;   in Loop: Header=BB231_17 Depth=3
	s_or_b32 exec_lo, exec_lo, s38
	s_delay_alu instid0(SALU_CYCLE_1)
	s_and_b32 s37, s37, exec_lo
                                        ; implicit-def: $vgpr23
.LBB231_29:                             ;   in Loop: Header=BB231_17 Depth=3
	s_and_not1_saveexec_b32 s15, s15
	s_cbranch_execz .LBB231_16
; %bb.30:                               ;   in Loop: Header=BB231_17 Depth=3
	v_mul_lo_u32 v24, v32, 12
	s_mov_b32 s38, 0
	s_delay_alu instid0(VALU_DEP_1)
	v_add_nc_u32_e32 v33, v23, v24
	ds_load_b64 v[23:24], v33 offset:16384
.LBB231_31:                             ;   Parent Loop BB231_12 Depth=1
                                        ;     Parent Loop BB231_15 Depth=2
                                        ;       Parent Loop BB231_17 Depth=3
                                        ; =>      This Inner Loop Header: Depth=4
	s_waitcnt lgkmcnt(0)
	v_add_f64 v[34:35], v[23:24], v[19:20]
	ds_cmpstore_rtn_b64 v[34:35], v33, v[34:35], v[23:24] offset:16384
	s_waitcnt lgkmcnt(0)
	v_cmp_eq_u64_e32 vcc_lo, v[34:35], v[23:24]
	v_dual_mov_b32 v23, v34 :: v_dual_mov_b32 v24, v35
	s_or_b32 s38, vcc_lo, s38
	s_delay_alu instid0(SALU_CYCLE_1)
	s_and_not1_b32 exec_lo, exec_lo, s38
	s_cbranch_execnz .LBB231_31
; %bb.32:                               ;   in Loop: Header=BB231_17 Depth=3
	s_or_b32 exec_lo, exec_lo, s38
	ds_load_b64 v[23:24], v33 offset:16392
	s_mov_b32 s38, 0
.LBB231_33:                             ;   Parent Loop BB231_12 Depth=1
                                        ;     Parent Loop BB231_15 Depth=2
                                        ;       Parent Loop BB231_17 Depth=3
                                        ; =>      This Inner Loop Header: Depth=4
	s_waitcnt lgkmcnt(0)
	v_add_f64 v[34:35], v[23:24], v[21:22]
	ds_cmpstore_rtn_b64 v[34:35], v33, v[34:35], v[23:24] offset:16392
	s_waitcnt lgkmcnt(0)
	v_cmp_eq_u64_e32 vcc_lo, v[34:35], v[23:24]
	v_dual_mov_b32 v23, v34 :: v_dual_mov_b32 v24, v35
	s_or_b32 s38, vcc_lo, s38
	s_delay_alu instid0(SALU_CYCLE_1)
	s_and_not1_b32 exec_lo, exec_lo, s38
	s_cbranch_execnz .LBB231_33
; %bb.34:                               ;   in Loop: Header=BB231_17 Depth=3
	s_or_b32 exec_lo, exec_lo, s38
	s_delay_alu instid0(SALU_CYCLE_1)
	s_and_not1_b32 s37, s37, exec_lo
	s_branch .LBB231_16
.LBB231_35:
	s_or_b32 exec_lo, exec_lo, s2
.LBB231_36:
	s_delay_alu instid0(SALU_CYCLE_1)
	s_and_not1_b32 vcc_lo, exec_lo, s3
	s_cbranch_vccnz .LBB231_39
; %bb.37:
	s_waitcnt lgkmcnt(0)
	s_ashr_i32 s37, s36, 31
	v_sub_co_u32 v5, s4, v0, s27
	s_lshl_b64 s[0:1], s[36:37], 3
	v_sub_co_ci_u32_e64 v6, null, 0, 0, s4
	s_add_u32 s0, s16, s0
	s_addc_u32 s1, s17, s1
	s_load_b128 s[0:3], s[0:1], 0x0
	s_waitcnt lgkmcnt(0)
	v_add_co_u32 v5, vcc_lo, s0, v5
	v_add_co_ci_u32_e32 v6, vcc_lo, s1, v6, vcc_lo
	s_sub_u32 s0, s2, s27
	s_subb_u32 s1, s3, 0
	s_mov_b32 s3, 0
	s_mov_b32 s2, exec_lo
	v_cmpx_gt_i64_e64 s[0:1], v[5:6]
	s_cbranch_execnz .LBB231_76
.LBB231_38:
	s_or_b32 exec_lo, exec_lo, s2
.LBB231_39:
	v_mbcnt_lo_u32_b32 v1, -1, 0
	v_lshlrev_b32_e32 v2, 2, v28
	s_add_i32 s31, 0, 0x1403c
	v_cmp_eq_u32_e32 vcc_lo, 0x3ff, v0
	v_cmp_lt_u32_e64 s0, 63, v0
	v_xor_b32_e32 v1, 63, v1
	v_add3_u32 v3, 0, 0x14000, v2
	v_cmp_lt_u32_e64 s1, 0x7f, v0
	v_cmp_lt_u32_e64 s2, 0xbf, v0
	;; [unrolled: 1-line block ×3, first 2 shown]
	v_lshrrev_b64 v[1:2], v1, -1
	v_cmp_lt_u32_e64 s4, 0x13f, v0
	v_cmp_lt_u32_e64 s5, 0x17f, v0
	;; [unrolled: 1-line block ×11, first 2 shown]
	v_mov_b32_e32 v2, 0
	v_mov_b32_e32 v4, s31
	s_mov_b32 s16, 0
	s_add_i32 s17, 0, 0x14000
	s_add_i32 s18, 0, 0x14004
	;; [unrolled: 1-line block ×15, first 2 shown]
	s_waitcnt lgkmcnt(0)
	s_barrier
	buffer_gl0_inv
	s_branch .LBB231_41
.LBB231_40:                             ;   in Loop: Header=BB231_41 Depth=1
	s_or_b32 exec_lo, exec_lo, s15
	s_waitcnt lgkmcnt(0)
	s_barrier
	buffer_gl0_inv
	ds_load_b32 v5, v4
	v_add_nc_u32_e32 v25, 0x400, v25
	v_add_nc_u32_e32 v27, 0x4000, v27
	;; [unrolled: 1-line block ×3, first 2 shown]
	s_delay_alu instid0(VALU_DEP_3) | instskip(NEXT) | instid1(VALU_DEP_1)
	v_cmp_lt_u32_e64 s15, 0xbff, v25
	s_or_b32 s16, s15, s16
	s_waitcnt lgkmcnt(0)
	v_add_nc_u32_e32 v2, v5, v2
	s_and_not1_b32 exec_lo, exec_lo, s16
	s_cbranch_execz .LBB231_96
.LBB231_41:                             ; =>This Inner Loop Header: Depth=1
	ds_load_b32 v5, v26
	ds_load_2addr_b64 v[6:9], v27 offset1:1
	s_waitcnt lgkmcnt(1)
	v_cmp_gt_i32_e64 s15, s33, v5
	s_waitcnt lgkmcnt(0)
	scratch_store_b128 off, v[6:9], off
	s_waitcnt_vscnt null, 0x0
	s_barrier
	buffer_gl0_inv
	s_bcnt1_i32_b32 s41, s15
	s_delay_alu instid0(SALU_CYCLE_1) | instskip(NEXT) | instid1(VALU_DEP_1)
	v_dual_mov_b32 v7, s41 :: v_dual_and_b32 v6, s15, v1
	v_bcnt_u32_b32 v6, v6, 0
	ds_store_b32 v3, v7
	s_waitcnt lgkmcnt(0)
	s_barrier
	buffer_gl0_inv
	s_and_saveexec_b32 s41, s0
	s_cbranch_execnz .LBB231_58
; %bb.42:                               ;   in Loop: Header=BB231_41 Depth=1
	s_or_b32 exec_lo, exec_lo, s41
	s_and_saveexec_b32 s41, s1
	s_cbranch_execnz .LBB231_59
.LBB231_43:                             ;   in Loop: Header=BB231_41 Depth=1
	s_or_b32 exec_lo, exec_lo, s41
	s_and_saveexec_b32 s41, s2
	s_cbranch_execnz .LBB231_60
.LBB231_44:                             ;   in Loop: Header=BB231_41 Depth=1
	s_or_b32 exec_lo, exec_lo, s41
	s_and_saveexec_b32 s41, s3
	s_cbranch_execnz .LBB231_61
.LBB231_45:                             ;   in Loop: Header=BB231_41 Depth=1
	s_or_b32 exec_lo, exec_lo, s41
	s_and_saveexec_b32 s41, s4
	s_cbranch_execnz .LBB231_62
.LBB231_46:                             ;   in Loop: Header=BB231_41 Depth=1
	s_or_b32 exec_lo, exec_lo, s41
	s_and_saveexec_b32 s41, s5
	s_cbranch_execnz .LBB231_63
.LBB231_47:                             ;   in Loop: Header=BB231_41 Depth=1
	s_or_b32 exec_lo, exec_lo, s41
	s_and_saveexec_b32 s41, s6
	s_cbranch_execnz .LBB231_64
.LBB231_48:                             ;   in Loop: Header=BB231_41 Depth=1
	s_or_b32 exec_lo, exec_lo, s41
	s_and_saveexec_b32 s41, s7
	s_cbranch_execnz .LBB231_65
.LBB231_49:                             ;   in Loop: Header=BB231_41 Depth=1
	s_or_b32 exec_lo, exec_lo, s41
	s_and_saveexec_b32 s41, s8
	s_cbranch_execnz .LBB231_66
.LBB231_50:                             ;   in Loop: Header=BB231_41 Depth=1
	s_or_b32 exec_lo, exec_lo, s41
	s_and_saveexec_b32 s41, s9
	s_cbranch_execnz .LBB231_67
.LBB231_51:                             ;   in Loop: Header=BB231_41 Depth=1
	s_or_b32 exec_lo, exec_lo, s41
	s_and_saveexec_b32 s41, s10
	s_cbranch_execnz .LBB231_68
.LBB231_52:                             ;   in Loop: Header=BB231_41 Depth=1
	s_or_b32 exec_lo, exec_lo, s41
	s_and_saveexec_b32 s41, s11
	s_cbranch_execnz .LBB231_69
.LBB231_53:                             ;   in Loop: Header=BB231_41 Depth=1
	s_or_b32 exec_lo, exec_lo, s41
	s_and_saveexec_b32 s41, s12
	s_cbranch_execnz .LBB231_70
.LBB231_54:                             ;   in Loop: Header=BB231_41 Depth=1
	s_or_b32 exec_lo, exec_lo, s41
	s_and_saveexec_b32 s41, s13
	s_cbranch_execnz .LBB231_71
.LBB231_55:                             ;   in Loop: Header=BB231_41 Depth=1
	s_or_b32 exec_lo, exec_lo, s41
	s_and_saveexec_b32 s41, s14
	s_cbranch_execnz .LBB231_72
.LBB231_56:                             ;   in Loop: Header=BB231_41 Depth=1
	s_or_b32 exec_lo, exec_lo, s41
	s_and_saveexec_b32 s41, s15
	s_cbranch_execnz .LBB231_73
.LBB231_57:                             ;   in Loop: Header=BB231_41 Depth=1
	s_or_b32 exec_lo, exec_lo, s41
	s_and_saveexec_b32 s15, vcc_lo
	s_cbranch_execz .LBB231_40
	s_branch .LBB231_74
.LBB231_58:                             ;   in Loop: Header=BB231_41 Depth=1
	v_mov_b32_e32 v7, s17
	ds_load_b32 v7, v7
	s_waitcnt lgkmcnt(0)
	v_add_nc_u32_e32 v6, v7, v6
	s_or_b32 exec_lo, exec_lo, s41
	s_and_saveexec_b32 s41, s1
	s_cbranch_execz .LBB231_43
.LBB231_59:                             ;   in Loop: Header=BB231_41 Depth=1
	v_mov_b32_e32 v7, s18
	ds_load_b32 v7, v7
	s_waitcnt lgkmcnt(0)
	v_add_nc_u32_e32 v6, v7, v6
	s_or_b32 exec_lo, exec_lo, s41
	s_and_saveexec_b32 s41, s2
	s_cbranch_execz .LBB231_44
.LBB231_60:                             ;   in Loop: Header=BB231_41 Depth=1
	v_mov_b32_e32 v7, s19
	ds_load_b32 v7, v7
	s_waitcnt lgkmcnt(0)
	v_add_nc_u32_e32 v6, v7, v6
	s_or_b32 exec_lo, exec_lo, s41
	s_and_saveexec_b32 s41, s3
	s_cbranch_execz .LBB231_45
.LBB231_61:                             ;   in Loop: Header=BB231_41 Depth=1
	v_mov_b32_e32 v7, s20
	ds_load_b32 v7, v7
	s_waitcnt lgkmcnt(0)
	v_add_nc_u32_e32 v6, v7, v6
	s_or_b32 exec_lo, exec_lo, s41
	s_and_saveexec_b32 s41, s4
	s_cbranch_execz .LBB231_46
.LBB231_62:                             ;   in Loop: Header=BB231_41 Depth=1
	v_mov_b32_e32 v7, s21
	ds_load_b32 v7, v7
	s_waitcnt lgkmcnt(0)
	v_add_nc_u32_e32 v6, v7, v6
	s_or_b32 exec_lo, exec_lo, s41
	s_and_saveexec_b32 s41, s5
	s_cbranch_execz .LBB231_47
.LBB231_63:                             ;   in Loop: Header=BB231_41 Depth=1
	v_mov_b32_e32 v7, s24
	ds_load_b32 v7, v7
	s_waitcnt lgkmcnt(0)
	v_add_nc_u32_e32 v6, v7, v6
	s_or_b32 exec_lo, exec_lo, s41
	s_and_saveexec_b32 s41, s6
	s_cbranch_execz .LBB231_48
.LBB231_64:                             ;   in Loop: Header=BB231_41 Depth=1
	v_mov_b32_e32 v7, s25
	ds_load_b32 v7, v7
	s_waitcnt lgkmcnt(0)
	v_add_nc_u32_e32 v6, v7, v6
	s_or_b32 exec_lo, exec_lo, s41
	s_and_saveexec_b32 s41, s7
	s_cbranch_execz .LBB231_49
.LBB231_65:                             ;   in Loop: Header=BB231_41 Depth=1
	v_mov_b32_e32 v7, s27
	ds_load_b32 v7, v7
	s_waitcnt lgkmcnt(0)
	v_add_nc_u32_e32 v6, v7, v6
	s_or_b32 exec_lo, exec_lo, s41
	s_and_saveexec_b32 s41, s8
	s_cbranch_execz .LBB231_50
.LBB231_66:                             ;   in Loop: Header=BB231_41 Depth=1
	v_mov_b32_e32 v7, s28
	ds_load_b32 v7, v7
	s_waitcnt lgkmcnt(0)
	v_add_nc_u32_e32 v6, v7, v6
	s_or_b32 exec_lo, exec_lo, s41
	s_and_saveexec_b32 s41, s9
	s_cbranch_execz .LBB231_51
.LBB231_67:                             ;   in Loop: Header=BB231_41 Depth=1
	v_mov_b32_e32 v7, s29
	ds_load_b32 v7, v7
	s_waitcnt lgkmcnt(0)
	v_add_nc_u32_e32 v6, v7, v6
	s_or_b32 exec_lo, exec_lo, s41
	s_and_saveexec_b32 s41, s10
	s_cbranch_execz .LBB231_52
.LBB231_68:                             ;   in Loop: Header=BB231_41 Depth=1
	v_mov_b32_e32 v7, s30
	ds_load_b32 v7, v7
	s_waitcnt lgkmcnt(0)
	v_add_nc_u32_e32 v6, v7, v6
	s_or_b32 exec_lo, exec_lo, s41
	s_and_saveexec_b32 s41, s11
	s_cbranch_execz .LBB231_53
.LBB231_69:                             ;   in Loop: Header=BB231_41 Depth=1
	v_mov_b32_e32 v7, s37
	ds_load_b32 v7, v7
	s_waitcnt lgkmcnt(0)
	v_add_nc_u32_e32 v6, v7, v6
	s_or_b32 exec_lo, exec_lo, s41
	s_and_saveexec_b32 s41, s12
	s_cbranch_execz .LBB231_54
.LBB231_70:                             ;   in Loop: Header=BB231_41 Depth=1
	v_mov_b32_e32 v7, s38
	ds_load_b32 v7, v7
	s_waitcnt lgkmcnt(0)
	v_add_nc_u32_e32 v6, v7, v6
	s_or_b32 exec_lo, exec_lo, s41
	s_and_saveexec_b32 s41, s13
	s_cbranch_execz .LBB231_55
.LBB231_71:                             ;   in Loop: Header=BB231_41 Depth=1
	v_mov_b32_e32 v7, s39
	ds_load_b32 v7, v7
	s_waitcnt lgkmcnt(0)
	v_add_nc_u32_e32 v6, v7, v6
	s_or_b32 exec_lo, exec_lo, s41
	s_and_saveexec_b32 s41, s14
	s_cbranch_execz .LBB231_56
.LBB231_72:                             ;   in Loop: Header=BB231_41 Depth=1
	v_mov_b32_e32 v7, s40
	ds_load_b32 v7, v7
	s_waitcnt lgkmcnt(0)
	v_add_nc_u32_e32 v6, v7, v6
	s_or_b32 exec_lo, exec_lo, s41
	s_and_saveexec_b32 s41, s15
	s_cbranch_execz .LBB231_57
.LBB231_73:                             ;   in Loop: Header=BB231_41 Depth=1
	scratch_load_b128 v[7:10], off, off
	v_add3_u32 v11, v2, -1, v6
	s_delay_alu instid0(VALU_DEP_1) | instskip(SKIP_1) | instid1(VALU_DEP_2)
	v_lshlrev_b32_e32 v12, 4, v11
	v_lshl_add_u32 v11, v11, 2, 0
	v_add3_u32 v12, 0, v12, 0x4000
	ds_store_b32 v11, v5
	s_waitcnt vmcnt(0)
	ds_store_2addr_b64 v12, v[7:8], v[9:10] offset1:1
	s_or_b32 exec_lo, exec_lo, s41
	s_and_saveexec_b32 s15, vcc_lo
	s_cbranch_execz .LBB231_40
.LBB231_74:                             ;   in Loop: Header=BB231_41 Depth=1
	v_mov_b32_e32 v5, s31
	ds_store_b32 v5, v6
	s_branch .LBB231_40
.LBB231_75:                             ;   in Loop: Header=BB231_76 Depth=1
	s_or_b32 exec_lo, exec_lo, s4
	v_add_co_u32 v5, vcc_lo, 0x400, v5
	v_add_co_ci_u32_e32 v6, vcc_lo, 0, v6, vcc_lo
	s_delay_alu instid0(VALU_DEP_1) | instskip(SKIP_1) | instid1(SALU_CYCLE_1)
	v_cmp_le_i64_e32 vcc_lo, s[0:1], v[5:6]
	s_or_b32 s3, vcc_lo, s3
	s_and_not1_b32 exec_lo, exec_lo, s3
	s_cbranch_execz .LBB231_38
.LBB231_76:                             ; =>This Loop Header: Depth=1
                                        ;     Child Loop BB231_78 Depth 2
                                        ;       Child Loop BB231_84 Depth 3
                                        ;       Child Loop BB231_86 Depth 3
	;; [unrolled: 1-line block ×4, first 2 shown]
	v_lshlrev_b64 v[7:8], 4, v[5:6]
	s_mov_b32 s4, 0
	s_delay_alu instid0(VALU_DEP_1) | instskip(NEXT) | instid1(VALU_DEP_2)
	v_add_co_u32 v7, vcc_lo, s20, v7
	v_add_co_ci_u32_e32 v8, vcc_lo, s21, v8, vcc_lo
	global_load_b128 v[9:12], v[7:8], off
	v_lshlrev_b64 v[7:8], 2, v[5:6]
	s_delay_alu instid0(VALU_DEP_1) | instskip(NEXT) | instid1(VALU_DEP_2)
	v_add_co_u32 v7, vcc_lo, s18, v7
	v_add_co_ci_u32_e32 v8, vcc_lo, s19, v8, vcc_lo
	global_load_b32 v13, v[7:8], off
	s_waitcnt vmcnt(1)
	v_mul_f64 v[7:8], v[11:12], -v[1:2]
	v_mul_f64 v[11:12], v[3:4], v[11:12]
	s_waitcnt vmcnt(0)
	v_subrev_nc_u32_e32 v13, s27, v13
	s_delay_alu instid0(VALU_DEP_3) | instskip(NEXT) | instid1(VALU_DEP_3)
	v_fma_f64 v[7:8], v[3:4], v[9:10], v[7:8]
	v_fma_f64 v[9:10], v[1:2], v[9:10], v[11:12]
	s_delay_alu instid0(VALU_DEP_3) | instskip(NEXT) | instid1(VALU_DEP_1)
	v_mul_lo_u32 v11, 0x89, v13
	v_and_b32_e32 v14, 0xfff, v11
	s_branch .LBB231_78
.LBB231_77:                             ;   in Loop: Header=BB231_78 Depth=2
	s_or_b32 exec_lo, exec_lo, s5
	s_xor_b32 s5, s6, -1
	s_delay_alu instid0(SALU_CYCLE_1) | instskip(NEXT) | instid1(SALU_CYCLE_1)
	s_and_b32 s5, exec_lo, s5
	s_or_b32 s4, s5, s4
	s_delay_alu instid0(SALU_CYCLE_1)
	s_and_not1_b32 exec_lo, exec_lo, s4
	s_cbranch_execz .LBB231_75
.LBB231_78:                             ;   Parent Loop BB231_76 Depth=1
                                        ; =>  This Loop Header: Depth=2
                                        ;       Child Loop BB231_84 Depth 3
                                        ;       Child Loop BB231_86 Depth 3
	;; [unrolled: 1-line block ×4, first 2 shown]
	s_delay_alu instid0(VALU_DEP_1)
	v_lshl_add_u32 v11, v14, 2, 0
	s_mov_b32 s5, exec_lo
                                        ; implicit-def: $sgpr6
	ds_load_b32 v12, v11
	s_waitcnt lgkmcnt(0)
	v_cmpx_ne_u32_e64 v12, v13
	s_xor_b32 s5, exec_lo, s5
	s_cbranch_execz .LBB231_90
; %bb.79:                               ;   in Loop: Header=BB231_78 Depth=2
	s_mov_b32 s7, exec_lo
                                        ; implicit-def: $sgpr6
	v_cmpx_ne_u32_e64 s33, v12
	s_xor_b32 s7, exec_lo, s7
; %bb.80:                               ;   in Loop: Header=BB231_78 Depth=2
	v_add_nc_u32_e32 v11, 1, v14
	s_mov_b32 s6, -1
	s_delay_alu instid0(VALU_DEP_1)
	v_and_b32_e32 v14, 0xfff, v11
                                        ; implicit-def: $vgpr11
; %bb.81:                               ;   in Loop: Header=BB231_78 Depth=2
	s_and_not1_saveexec_b32 s7, s7
	s_cbranch_execz .LBB231_89
; %bb.82:                               ;   in Loop: Header=BB231_78 Depth=2
	v_mov_b32_e32 v12, s33
	s_mov_b32 s9, -1
	s_mov_b32 s8, exec_lo
	ds_cmpstore_rtn_b32 v12, v11, v13, v12
	s_waitcnt lgkmcnt(0)
	v_cmpx_eq_u32_e64 s33, v12
	s_cbranch_execz .LBB231_88
; %bb.83:                               ;   in Loop: Header=BB231_78 Depth=2
	v_mul_lo_u32 v12, v14, 12
	s_mov_b32 s9, 0
	s_delay_alu instid0(VALU_DEP_1)
	v_add_nc_u32_e32 v15, v11, v12
	ds_load_b64 v[11:12], v15 offset:16384
.LBB231_84:                             ;   Parent Loop BB231_76 Depth=1
                                        ;     Parent Loop BB231_78 Depth=2
                                        ; =>    This Inner Loop Header: Depth=3
	s_waitcnt lgkmcnt(0)
	v_add_f64 v[16:17], v[11:12], v[7:8]
	ds_cmpstore_rtn_b64 v[16:17], v15, v[16:17], v[11:12] offset:16384
	s_waitcnt lgkmcnt(0)
	v_cmp_eq_u64_e32 vcc_lo, v[16:17], v[11:12]
	v_dual_mov_b32 v11, v16 :: v_dual_mov_b32 v12, v17
	s_or_b32 s9, vcc_lo, s9
	s_delay_alu instid0(SALU_CYCLE_1)
	s_and_not1_b32 exec_lo, exec_lo, s9
	s_cbranch_execnz .LBB231_84
; %bb.85:                               ;   in Loop: Header=BB231_78 Depth=2
	s_or_b32 exec_lo, exec_lo, s9
	ds_load_b64 v[11:12], v15 offset:16392
	s_mov_b32 s9, 0
.LBB231_86:                             ;   Parent Loop BB231_76 Depth=1
                                        ;     Parent Loop BB231_78 Depth=2
                                        ; =>    This Inner Loop Header: Depth=3
	s_waitcnt lgkmcnt(0)
	v_add_f64 v[16:17], v[11:12], v[9:10]
	ds_cmpstore_rtn_b64 v[16:17], v15, v[16:17], v[11:12] offset:16392
	s_waitcnt lgkmcnt(0)
	v_cmp_eq_u64_e32 vcc_lo, v[16:17], v[11:12]
	v_dual_mov_b32 v11, v16 :: v_dual_mov_b32 v12, v17
	s_or_b32 s9, vcc_lo, s9
	s_delay_alu instid0(SALU_CYCLE_1)
	s_and_not1_b32 exec_lo, exec_lo, s9
	s_cbranch_execnz .LBB231_86
; %bb.87:                               ;   in Loop: Header=BB231_78 Depth=2
	s_or_b32 exec_lo, exec_lo, s9
	s_delay_alu instid0(SALU_CYCLE_1)
	s_xor_b32 s9, exec_lo, -1
.LBB231_88:                             ;   in Loop: Header=BB231_78 Depth=2
	s_or_b32 exec_lo, exec_lo, s8
	s_delay_alu instid0(SALU_CYCLE_1) | instskip(SKIP_1) | instid1(SALU_CYCLE_1)
	s_and_not1_b32 s6, s6, exec_lo
	s_and_b32 s8, s9, exec_lo
	s_or_b32 s6, s6, s8
.LBB231_89:                             ;   in Loop: Header=BB231_78 Depth=2
	s_or_b32 exec_lo, exec_lo, s7
	s_delay_alu instid0(SALU_CYCLE_1)
	s_and_b32 s6, s6, exec_lo
                                        ; implicit-def: $vgpr11
.LBB231_90:                             ;   in Loop: Header=BB231_78 Depth=2
	s_and_not1_saveexec_b32 s5, s5
	s_cbranch_execz .LBB231_77
; %bb.91:                               ;   in Loop: Header=BB231_78 Depth=2
	v_mul_lo_u32 v12, v14, 12
	s_mov_b32 s7, 0
	s_delay_alu instid0(VALU_DEP_1)
	v_add_nc_u32_e32 v15, v11, v12
	ds_load_b64 v[11:12], v15 offset:16384
.LBB231_92:                             ;   Parent Loop BB231_76 Depth=1
                                        ;     Parent Loop BB231_78 Depth=2
                                        ; =>    This Inner Loop Header: Depth=3
	s_waitcnt lgkmcnt(0)
	v_add_f64 v[16:17], v[11:12], v[7:8]
	ds_cmpstore_rtn_b64 v[16:17], v15, v[16:17], v[11:12] offset:16384
	s_waitcnt lgkmcnt(0)
	v_cmp_eq_u64_e32 vcc_lo, v[16:17], v[11:12]
	v_dual_mov_b32 v11, v16 :: v_dual_mov_b32 v12, v17
	s_or_b32 s7, vcc_lo, s7
	s_delay_alu instid0(SALU_CYCLE_1)
	s_and_not1_b32 exec_lo, exec_lo, s7
	s_cbranch_execnz .LBB231_92
; %bb.93:                               ;   in Loop: Header=BB231_78 Depth=2
	s_or_b32 exec_lo, exec_lo, s7
	ds_load_b64 v[11:12], v15 offset:16392
	s_mov_b32 s7, 0
.LBB231_94:                             ;   Parent Loop BB231_76 Depth=1
                                        ;     Parent Loop BB231_78 Depth=2
                                        ; =>    This Inner Loop Header: Depth=3
	s_waitcnt lgkmcnt(0)
	v_add_f64 v[16:17], v[11:12], v[9:10]
	ds_cmpstore_rtn_b64 v[16:17], v15, v[16:17], v[11:12] offset:16392
	s_waitcnt lgkmcnt(0)
	v_cmp_eq_u64_e32 vcc_lo, v[16:17], v[11:12]
	v_dual_mov_b32 v11, v16 :: v_dual_mov_b32 v12, v17
	s_or_b32 s7, vcc_lo, s7
	s_delay_alu instid0(SALU_CYCLE_1)
	s_and_not1_b32 exec_lo, exec_lo, s7
	s_cbranch_execnz .LBB231_94
; %bb.95:                               ;   in Loop: Header=BB231_78 Depth=2
	s_or_b32 exec_lo, exec_lo, s7
	s_delay_alu instid0(SALU_CYCLE_1)
	s_and_not1_b32 s6, s6, exec_lo
	s_branch .LBB231_77
.LBB231_96:
	s_or_b32 exec_lo, exec_lo, s16
	s_ashr_i32 s37, s36, 31
	s_mov_b32 s4, exec_lo
	s_lshl_b64 s[0:1], s[36:37], 3
	s_delay_alu instid0(SALU_CYCLE_1) | instskip(SKIP_4) | instid1(SALU_CYCLE_1)
	s_add_u32 s0, s22, s0
	s_addc_u32 s1, s23, s1
	s_load_b128 s[0:3], s[0:1], 0x0
	s_waitcnt lgkmcnt(0)
	s_sub_i32 s3, s2, s0
	v_cmpx_gt_i32_e64 s3, v0
	s_cbranch_execz .LBB231_106
; %bb.97:
	s_sub_u32 s4, s0, s26
	s_subb_u32 s5, s1, 0
	s_sub_i32 s0, s0, s2
	s_and_b32 s1, s3, 7
	s_cmp_lt_u32 s0, -7
	s_mov_b32 s8, 0
	s_cselect_b32 s2, -1, 0
	s_and_b32 s6, s3, -8
	s_cmp_lg_u32 s1, 0
	s_cselect_b32 s7, -1, 0
	s_branch .LBB231_99
.LBB231_98:                             ;   in Loop: Header=BB231_99 Depth=1
	s_waitcnt lgkmcnt(0)
	v_mul_lo_u32 v4, v0, 12
	v_lshlrev_b64 v[1:2], 4, v[1:2]
	v_add_nc_u32_e32 v0, 0x400, v0
	s_delay_alu instid0(VALU_DEP_1) | instskip(NEXT) | instid1(VALU_DEP_4)
	v_cmp_le_i32_e32 vcc_lo, s3, v0
	v_add3_u32 v3, v3, v4, 0x4000
	s_delay_alu instid0(VALU_DEP_4) | instskip(NEXT) | instid1(VALU_DEP_1)
	v_add_co_u32 v1, s0, s34, v1
	v_add_co_ci_u32_e64 v2, s0, s35, v2, s0
	ds_load_2addr_b64 v[3:6], v3 offset1:1
	s_or_b32 s8, vcc_lo, s8
	s_waitcnt lgkmcnt(0)
	global_store_b128 v[1:2], v[3:6], off
	s_and_not1_b32 exec_lo, exec_lo, s8
	s_cbranch_execz .LBB231_106
.LBB231_99:                             ; =>This Loop Header: Depth=1
                                        ;     Child Loop BB231_101 Depth 2
                                        ;     Child Loop BB231_105 Depth 2
	v_lshl_add_u32 v3, v0, 2, 0
	v_dual_mov_b32 v1, s4 :: v_dual_mov_b32 v2, s5
	s_and_not1_b32 vcc_lo, exec_lo, s2
	s_mov_b32 s0, 0
	ds_load_b32 v4, v3
	s_cbranch_vccnz .LBB231_103
; %bb.100:                              ;   in Loop: Header=BB231_99 Depth=1
	v_dual_mov_b32 v1, s4 :: v_dual_mov_b32 v2, s5
	s_mov_b32 s9, 0
	s_mov_b32 s10, 0
.LBB231_101:                            ;   Parent Loop BB231_99 Depth=1
                                        ; =>  This Inner Loop Header: Depth=2
	s_delay_alu instid0(SALU_CYCLE_1)
	v_mov_b32_e32 v11, s10
	s_add_i32 s9, s9, 8
	s_add_i32 s10, s10, 32
	s_cmp_eq_u32 s6, s9
	ds_load_2addr_b32 v[5:6], v11 offset1:1
	ds_load_2addr_b32 v[7:8], v11 offset0:2 offset1:3
	ds_load_2addr_b32 v[9:10], v11 offset0:4 offset1:5
	;; [unrolled: 1-line block ×3, first 2 shown]
	s_waitcnt lgkmcnt(3)
	v_cmp_gt_i32_e32 vcc_lo, v4, v5
	v_cndmask_b32_e64 v5, 0, 1, vcc_lo
	v_cmp_gt_i32_e32 vcc_lo, v4, v6
	v_cndmask_b32_e64 v6, 0, 1, vcc_lo
	s_waitcnt lgkmcnt(2)
	v_cmp_gt_i32_e32 vcc_lo, v4, v7
	v_cndmask_b32_e64 v7, 0, 1, vcc_lo
	v_cmp_gt_i32_e32 vcc_lo, v4, v8
	v_cndmask_b32_e64 v8, 0, 1, vcc_lo
	s_waitcnt lgkmcnt(1)
	v_cmp_gt_i32_e32 vcc_lo, v4, v9
	v_cndmask_b32_e64 v9, 0, 1, vcc_lo
	v_add_co_u32 v1, vcc_lo, v1, v5
	v_add_co_ci_u32_e32 v2, vcc_lo, 0, v2, vcc_lo
	v_cmp_gt_i32_e32 vcc_lo, v4, v10
	s_delay_alu instid0(VALU_DEP_3) | instskip(NEXT) | instid1(VALU_DEP_1)
	v_add_co_u32 v1, s0, v1, v6
	v_add_co_ci_u32_e64 v2, s0, 0, v2, s0
	v_cndmask_b32_e64 v5, 0, 1, vcc_lo
	s_delay_alu instid0(VALU_DEP_3) | instskip(NEXT) | instid1(VALU_DEP_3)
	v_add_co_u32 v1, vcc_lo, v1, v7
	v_add_co_ci_u32_e32 v2, vcc_lo, 0, v2, vcc_lo
	s_waitcnt lgkmcnt(0)
	v_cmp_gt_i32_e32 vcc_lo, v4, v11
	s_delay_alu instid0(VALU_DEP_3) | instskip(NEXT) | instid1(VALU_DEP_1)
	v_add_co_u32 v1, s0, v1, v8
	v_add_co_ci_u32_e64 v2, s0, 0, v2, s0
	v_cndmask_b32_e64 v6, 0, 1, vcc_lo
	s_delay_alu instid0(VALU_DEP_3) | instskip(NEXT) | instid1(VALU_DEP_3)
	v_add_co_u32 v1, vcc_lo, v1, v9
	v_add_co_ci_u32_e32 v2, vcc_lo, 0, v2, vcc_lo
	v_cmp_gt_i32_e32 vcc_lo, v4, v12
	s_delay_alu instid0(VALU_DEP_3) | instskip(NEXT) | instid1(VALU_DEP_1)
	v_add_co_u32 v1, s0, v1, v5
	v_add_co_ci_u32_e64 v2, s0, 0, v2, s0
	v_cndmask_b32_e64 v5, 0, 1, vcc_lo
	s_delay_alu instid0(VALU_DEP_3) | instskip(NEXT) | instid1(VALU_DEP_3)
	v_add_co_u32 v1, vcc_lo, v1, v6
	v_add_co_ci_u32_e32 v2, vcc_lo, 0, v2, vcc_lo
	s_delay_alu instid0(VALU_DEP_2) | instskip(NEXT) | instid1(VALU_DEP_2)
	v_add_co_u32 v1, vcc_lo, v1, v5
	v_add_co_ci_u32_e32 v2, vcc_lo, 0, v2, vcc_lo
	s_cbranch_scc0 .LBB231_101
; %bb.102:                              ;   in Loop: Header=BB231_99 Depth=1
	s_mov_b32 s0, s6
.LBB231_103:                            ;   in Loop: Header=BB231_99 Depth=1
	s_and_not1_b32 vcc_lo, exec_lo, s7
	s_cbranch_vccnz .LBB231_98
; %bb.104:                              ;   in Loop: Header=BB231_99 Depth=1
	s_lshl_b32 s0, s0, 2
	s_mov_b32 s9, s1
	s_add_i32 s0, s0, 0
.LBB231_105:                            ;   Parent Loop BB231_99 Depth=1
                                        ; =>  This Inner Loop Header: Depth=2
	s_delay_alu instid0(SALU_CYCLE_1)
	v_mov_b32_e32 v5, s0
	s_add_i32 s9, s9, -1
	s_add_i32 s0, s0, 4
	s_cmp_lg_u32 s9, 0
	ds_load_b32 v5, v5
	s_waitcnt lgkmcnt(0)
	v_cmp_gt_i32_e32 vcc_lo, v4, v5
	v_cndmask_b32_e64 v5, 0, 1, vcc_lo
	s_delay_alu instid0(VALU_DEP_1)
	v_add_co_u32 v1, vcc_lo, v1, v5
	v_add_co_ci_u32_e32 v2, vcc_lo, 0, v2, vcc_lo
	s_cbranch_scc1 .LBB231_105
	s_branch .LBB231_98
.LBB231_106:
	s_nop 0
	s_sendmsg sendmsg(MSG_DEALLOC_VGPRS)
	s_endpgm
	.section	.rodata,"a",@progbits
	.p2align	6, 0x0
	.amdhsa_kernel _ZN9rocsparseL41csrgemm_numeric_fill_block_per_row_kernelILj1024ELj64ELj4096ELj137ELj64Eli21rocsparse_complex_numIdEEEvT5_PKS3_S5_NS_24const_host_device_scalarIT6_EEPKT4_S5_PKS7_SB_S5_SD_S8_SB_S5_SD_SB_S5_PS7_21rocsparse_index_base_SF_SF_SF_bbb
		.amdhsa_group_segment_fixed_size 0
		.amdhsa_private_segment_fixed_size 40
		.amdhsa_kernarg_size 172
		.amdhsa_user_sgpr_count 15
		.amdhsa_user_sgpr_dispatch_ptr 0
		.amdhsa_user_sgpr_queue_ptr 0
		.amdhsa_user_sgpr_kernarg_segment_ptr 1
		.amdhsa_user_sgpr_dispatch_id 0
		.amdhsa_user_sgpr_private_segment_size 0
		.amdhsa_wavefront_size32 1
		.amdhsa_uses_dynamic_stack 0
		.amdhsa_enable_private_segment 1
		.amdhsa_system_sgpr_workgroup_id_x 1
		.amdhsa_system_sgpr_workgroup_id_y 0
		.amdhsa_system_sgpr_workgroup_id_z 0
		.amdhsa_system_sgpr_workgroup_info 0
		.amdhsa_system_vgpr_workitem_id 0
		.amdhsa_next_free_vgpr 36
		.amdhsa_next_free_sgpr 46
		.amdhsa_reserve_vcc 1
		.amdhsa_float_round_mode_32 0
		.amdhsa_float_round_mode_16_64 0
		.amdhsa_float_denorm_mode_32 3
		.amdhsa_float_denorm_mode_16_64 3
		.amdhsa_dx10_clamp 1
		.amdhsa_ieee_mode 1
		.amdhsa_fp16_overflow 0
		.amdhsa_workgroup_processor_mode 1
		.amdhsa_memory_ordered 1
		.amdhsa_forward_progress 0
		.amdhsa_shared_vgpr_count 0
		.amdhsa_exception_fp_ieee_invalid_op 0
		.amdhsa_exception_fp_denorm_src 0
		.amdhsa_exception_fp_ieee_div_zero 0
		.amdhsa_exception_fp_ieee_overflow 0
		.amdhsa_exception_fp_ieee_underflow 0
		.amdhsa_exception_fp_ieee_inexact 0
		.amdhsa_exception_int_div_zero 0
	.end_amdhsa_kernel
	.section	.text._ZN9rocsparseL41csrgemm_numeric_fill_block_per_row_kernelILj1024ELj64ELj4096ELj137ELj64Eli21rocsparse_complex_numIdEEEvT5_PKS3_S5_NS_24const_host_device_scalarIT6_EEPKT4_S5_PKS7_SB_S5_SD_S8_SB_S5_SD_SB_S5_PS7_21rocsparse_index_base_SF_SF_SF_bbb,"axG",@progbits,_ZN9rocsparseL41csrgemm_numeric_fill_block_per_row_kernelILj1024ELj64ELj4096ELj137ELj64Eli21rocsparse_complex_numIdEEEvT5_PKS3_S5_NS_24const_host_device_scalarIT6_EEPKT4_S5_PKS7_SB_S5_SD_S8_SB_S5_SD_SB_S5_PS7_21rocsparse_index_base_SF_SF_SF_bbb,comdat
.Lfunc_end231:
	.size	_ZN9rocsparseL41csrgemm_numeric_fill_block_per_row_kernelILj1024ELj64ELj4096ELj137ELj64Eli21rocsparse_complex_numIdEEEvT5_PKS3_S5_NS_24const_host_device_scalarIT6_EEPKT4_S5_PKS7_SB_S5_SD_S8_SB_S5_SD_SB_S5_PS7_21rocsparse_index_base_SF_SF_SF_bbb, .Lfunc_end231-_ZN9rocsparseL41csrgemm_numeric_fill_block_per_row_kernelILj1024ELj64ELj4096ELj137ELj64Eli21rocsparse_complex_numIdEEEvT5_PKS3_S5_NS_24const_host_device_scalarIT6_EEPKT4_S5_PKS7_SB_S5_SD_S8_SB_S5_SD_SB_S5_PS7_21rocsparse_index_base_SF_SF_SF_bbb
                                        ; -- End function
	.section	.AMDGPU.csdata,"",@progbits
; Kernel info:
; codeLenInByte = 4504
; NumSgprs: 48
; NumVgprs: 36
; ScratchSize: 40
; MemoryBound: 0
; FloatMode: 240
; IeeeMode: 1
; LDSByteSize: 0 bytes/workgroup (compile time only)
; SGPRBlocks: 5
; VGPRBlocks: 4
; NumSGPRsForWavesPerEU: 48
; NumVGPRsForWavesPerEU: 36
; Occupancy: 16
; WaveLimiterHint : 1
; COMPUTE_PGM_RSRC2:SCRATCH_EN: 1
; COMPUTE_PGM_RSRC2:USER_SGPR: 15
; COMPUTE_PGM_RSRC2:TRAP_HANDLER: 0
; COMPUTE_PGM_RSRC2:TGID_X_EN: 1
; COMPUTE_PGM_RSRC2:TGID_Y_EN: 0
; COMPUTE_PGM_RSRC2:TGID_Z_EN: 0
; COMPUTE_PGM_RSRC2:TIDIG_COMP_CNT: 0
	.section	.text._ZN9rocsparseL41csrgemm_numeric_fill_block_per_row_kernelILj1024ELj64ELj8192ELj137ELj32Eli21rocsparse_complex_numIdEEEvT5_PKS3_S5_NS_24const_host_device_scalarIT6_EEPKT4_S5_PKS7_SB_S5_SD_S8_SB_S5_SD_SB_S5_PS7_21rocsparse_index_base_SF_SF_SF_bbb,"axG",@progbits,_ZN9rocsparseL41csrgemm_numeric_fill_block_per_row_kernelILj1024ELj64ELj8192ELj137ELj32Eli21rocsparse_complex_numIdEEEvT5_PKS3_S5_NS_24const_host_device_scalarIT6_EEPKT4_S5_PKS7_SB_S5_SD_S8_SB_S5_SD_SB_S5_PS7_21rocsparse_index_base_SF_SF_SF_bbb,comdat
	.globl	_ZN9rocsparseL41csrgemm_numeric_fill_block_per_row_kernelILj1024ELj64ELj8192ELj137ELj32Eli21rocsparse_complex_numIdEEEvT5_PKS3_S5_NS_24const_host_device_scalarIT6_EEPKT4_S5_PKS7_SB_S5_SD_S8_SB_S5_SD_SB_S5_PS7_21rocsparse_index_base_SF_SF_SF_bbb ; -- Begin function _ZN9rocsparseL41csrgemm_numeric_fill_block_per_row_kernelILj1024ELj64ELj8192ELj137ELj32Eli21rocsparse_complex_numIdEEEvT5_PKS3_S5_NS_24const_host_device_scalarIT6_EEPKT4_S5_PKS7_SB_S5_SD_S8_SB_S5_SD_SB_S5_PS7_21rocsparse_index_base_SF_SF_SF_bbb
	.p2align	8
	.type	_ZN9rocsparseL41csrgemm_numeric_fill_block_per_row_kernelILj1024ELj64ELj8192ELj137ELj32Eli21rocsparse_complex_numIdEEEvT5_PKS3_S5_NS_24const_host_device_scalarIT6_EEPKT4_S5_PKS7_SB_S5_SD_S8_SB_S5_SD_SB_S5_PS7_21rocsparse_index_base_SF_SF_SF_bbb,@function
_ZN9rocsparseL41csrgemm_numeric_fill_block_per_row_kernelILj1024ELj64ELj8192ELj137ELj32Eli21rocsparse_complex_numIdEEEvT5_PKS3_S5_NS_24const_host_device_scalarIT6_EEPKT4_S5_PKS7_SB_S5_SD_S8_SB_S5_SD_SB_S5_PS7_21rocsparse_index_base_SF_SF_SF_bbb: ; @_ZN9rocsparseL41csrgemm_numeric_fill_block_per_row_kernelILj1024ELj64ELj8192ELj137ELj32Eli21rocsparse_complex_numIdEEEvT5_PKS3_S5_NS_24const_host_device_scalarIT6_EEPKT4_S5_PKS7_SB_S5_SD_S8_SB_S5_SD_SB_S5_PS7_21rocsparse_index_base_SF_SF_SF_bbb
; %bb.0:
	s_clause 0x3
	s_load_b32 s13, s[0:1], 0xa8
	s_load_b256 s[4:11], s[0:1], 0x8
	s_load_b128 s[16:19], s[0:1], 0x58
	s_load_b128 s[36:39], s[0:1], 0x98
	v_mov_b32_e32 v1, 0
	v_mov_b32_e32 v2, 0
	s_waitcnt lgkmcnt(0)
	s_bitcmp1_b32 s13, 0
	v_mov_b32_e32 v3, s8
	s_cselect_b32 s3, -1, 0
	s_bitcmp1_b32 s13, 16
	v_dual_mov_b32 v6, v2 :: v_dual_mov_b32 v5, v1
	s_cselect_b32 s2, -1, 0
	v_mov_b32_e32 v4, s9
	s_xor_b32 s12, s2, -1
	v_dual_mov_b32 v9, s16 :: v_dual_mov_b32 v10, s17
	v_cndmask_b32_e64 v7, 0, 1, s12
	s_bitcmp0_b32 s13, 0
	s_clause 0x1
	scratch_store_b64 off, v[3:4], off offset:16
	scratch_store_b64 off, v[9:10], off offset:24
	v_cmp_ne_u32_e32 vcc_lo, 1, v7
	v_dual_mov_b32 v8, v2 :: v_dual_mov_b32 v7, v1
	s_cbranch_scc1 .LBB232_3
; %bb.1:
	s_mov_b64 s[20:21], src_private_base
	s_and_b32 s14, s2, exec_lo
	s_cselect_b32 s14, s21, s9
	s_delay_alu instid0(SALU_CYCLE_1) | instskip(SKIP_2) | instid1(VALU_DEP_2)
	v_dual_mov_b32 v3, 16 :: v_dual_mov_b32 v4, s14
	v_dual_mov_b32 v7, s10 :: v_dual_mov_b32 v8, s11
	s_and_b32 vcc_lo, exec_lo, vcc_lo
	v_cndmask_b32_e64 v3, s8, v3, s2
	flat_load_b64 v[5:6], v[3:4]
	s_cbranch_vccnz .LBB232_3
; %bb.2:
	v_dual_mov_b32 v3, s8 :: v_dual_mov_b32 v4, s9
	flat_load_b64 v[7:8], v[3:4] offset:8
.LBB232_3:
	s_bitcmp1_b32 s13, 8
	v_dual_mov_b32 v4, v2 :: v_dual_mov_b32 v3, v1
	s_cselect_b32 s14, -1, 0
	s_bfe_u32 s8, s13, 0x10008
	s_delay_alu instid0(SALU_CYCLE_1)
	s_cmp_eq_u32 s8, 0
	s_cbranch_scc1 .LBB232_6
; %bb.4:
	s_mov_b64 s[8:9], src_private_base
	s_and_b32 s8, s2, exec_lo
	s_cselect_b32 s8, s9, s17
	s_delay_alu instid0(SALU_CYCLE_1) | instskip(SKIP_1) | instid1(VALU_DEP_1)
	v_dual_mov_b32 v1, 24 :: v_dual_mov_b32 v2, s8
	s_and_not1_b32 vcc_lo, exec_lo, s12
	v_cndmask_b32_e64 v1, s16, v1, s2
	flat_load_b64 v[3:4], v[1:2]
	v_dual_mov_b32 v1, s18 :: v_dual_mov_b32 v2, s19
	s_cbranch_vccnz .LBB232_6
; %bb.5:
	v_dual_mov_b32 v1, s16 :: v_dual_mov_b32 v2, s17
	flat_load_b64 v[1:2], v[1:2] offset:8
.LBB232_6:
	s_load_b32 s33, s[0:1], 0x0
	s_mov_b32 s8, 0
	v_lshl_add_u32 v25, v0, 2, 0
	s_mov_b32 s9, s8
	v_lshlrev_b32_e32 v26, 4, v0
	s_mov_b32 s10, s8
	s_mov_b32 s11, s8
	v_dual_mov_b32 v10, s9 :: v_dual_mov_b32 v9, s8
	s_delay_alu instid0(VALU_DEP_2) | instskip(SKIP_2) | instid1(VALU_DEP_3)
	v_add3_u32 v14, 0, 0x8000, v26
	v_mad_u32_u24 v13, v0, 12, v25
	v_dual_mov_b32 v12, s11 :: v_dual_mov_b32 v11, s10
	v_add_nc_u32_e32 v17, 0x8000, v14
	s_delay_alu instid0(VALU_DEP_3)
	v_add_nc_u32_e32 v15, 0x8000, v13
	v_mad_i32_i24 v13, v0, -12, v13
	s_waitcnt lgkmcnt(0)
	v_dual_mov_b32 v19, s33 :: v_dual_add_nc_u32 v16, 0x4000, v14
	v_mov_b32_e32 v18, s33
	v_dual_mov_b32 v20, s33 :: v_dual_mov_b32 v21, s33
	v_dual_mov_b32 v22, s33 :: v_dual_mov_b32 v23, s33
	ds_store_b32 v25, v18
	ds_store_2addr_b64 v15, v[9:10], v[11:12] offset1:1
	ds_store_2addr_stride64_b32 v13, v19, v20 offset0:16 offset1:32
	ds_store_2addr_b64 v16, v[9:10], v[11:12] offset1:1
	ds_store_2addr_b64 v17, v[9:10], v[11:12] offset1:1
	v_add_nc_u32_e32 v15, 0xc000, v14
	v_dual_mov_b32 v17, s33 :: v_dual_add_nc_u32 v16, 0x10000, v14
	v_add_nc_u32_e32 v18, 0x14000, v14
	v_add_nc_u32_e32 v20, 0x18000, v14
	;; [unrolled: 1-line block ×3, first 2 shown]
	ds_store_2addr_stride64_b32 v13, v21, v22 offset0:48 offset1:64
	ds_store_2addr_b64 v15, v[9:10], v[11:12] offset1:1
	ds_store_2addr_b64 v16, v[9:10], v[11:12] offset1:1
	ds_store_2addr_stride64_b32 v13, v17, v19 offset0:80 offset1:96
	ds_store_2addr_b64 v18, v[9:10], v[11:12] offset1:1
	ds_store_2addr_b64 v20, v[9:10], v[11:12] offset1:1
	ds_store_b32 v13, v23 offset:28672
	ds_store_2addr_b64 v14, v[9:10], v[11:12] offset1:1
	s_waitcnt vmcnt(0) lgkmcnt(0)
	s_waitcnt_vscnt null, 0x0
	s_barrier
	buffer_gl0_inv
	s_load_b32 s2, s[4:5], 0x0
	s_mov_b32 s5, s8
	s_waitcnt lgkmcnt(0)
	s_add_i32 s4, s2, s15
	s_delay_alu instid0(SALU_CYCLE_1) | instskip(NEXT) | instid1(SALU_CYCLE_1)
	s_lshl_b64 s[4:5], s[4:5], 2
	s_add_u32 s4, s6, s4
	s_addc_u32 s5, s7, s5
	s_and_not1_b32 vcc_lo, exec_lo, s3
	s_load_b32 s34, s[4:5], 0x0
	s_cbranch_vccnz .LBB232_34
; %bb.7:
	s_load_b64 s[2:3], s[0:1], 0x28
	s_waitcnt lgkmcnt(0)
	s_ashr_i32 s35, s34, 31
	v_lshrrev_b32_e32 v9, 6, v0
	s_lshl_b64 s[4:5], s[34:35], 3
	s_mov_b32 s15, exec_lo
	s_add_u32 s2, s2, s4
	s_addc_u32 s3, s3, s5
	s_load_b128 s[4:7], s[2:3], 0x0
	v_sub_co_u32 v9, s2, v9, s36
	s_delay_alu instid0(VALU_DEP_1) | instskip(SKIP_1) | instid1(VALU_DEP_2)
	v_sub_co_ci_u32_e64 v10, null, 0, 0, s2
	s_waitcnt lgkmcnt(0)
	v_add_co_u32 v9, vcc_lo, s4, v9
	s_delay_alu instid0(VALU_DEP_2)
	v_add_co_ci_u32_e32 v10, vcc_lo, s5, v10, vcc_lo
	s_sub_u32 s2, s6, s36
	s_subb_u32 s3, s7, 0
	s_delay_alu instid0(VALU_DEP_1) | instid1(SALU_CYCLE_1)
	v_cmpx_gt_i64_e64 s[2:3], v[9:10]
	s_cbranch_execz .LBB232_33
; %bb.8:
	s_clause 0x1
	s_load_b64 s[12:13], s[0:1], 0x50
	s_load_b256 s[4:11], s[0:1], 0x30
	v_and_b32_e32 v11, 63, v0
	s_mov_b32 s17, s37
	s_delay_alu instid0(VALU_DEP_1) | instskip(NEXT) | instid1(VALU_DEP_1)
	v_sub_co_u32 v27, s16, v11, s37
	v_sub_co_ci_u32_e64 v28, null, 0, 0, s16
	s_mov_b32 s16, 0
	s_branch .LBB232_10
.LBB232_9:                              ;   in Loop: Header=BB232_10 Depth=1
	s_or_b32 exec_lo, exec_lo, s18
	v_add_co_u32 v9, vcc_lo, v9, 16
	v_add_co_ci_u32_e32 v10, vcc_lo, 0, v10, vcc_lo
	s_delay_alu instid0(VALU_DEP_1) | instskip(SKIP_1) | instid1(SALU_CYCLE_1)
	v_cmp_le_i64_e32 vcc_lo, s[2:3], v[9:10]
	s_or_b32 s16, vcc_lo, s16
	s_and_not1_b32 exec_lo, exec_lo, s16
	s_cbranch_execz .LBB232_33
.LBB232_10:                             ; =>This Loop Header: Depth=1
                                        ;     Child Loop BB232_13 Depth 2
                                        ;       Child Loop BB232_15 Depth 3
                                        ;         Child Loop BB232_21 Depth 4
                                        ;         Child Loop BB232_23 Depth 4
	;; [unrolled: 1-line block ×4, first 2 shown]
	v_lshlrev_b64 v[11:12], 2, v[9:10]
	s_mov_b32 s18, exec_lo
	s_waitcnt lgkmcnt(0)
	s_delay_alu instid0(VALU_DEP_1) | instskip(NEXT) | instid1(VALU_DEP_2)
	v_add_co_u32 v11, vcc_lo, s4, v11
	v_add_co_ci_u32_e32 v12, vcc_lo, s5, v12, vcc_lo
	global_load_b32 v11, v[11:12], off
	s_waitcnt vmcnt(0)
	v_subrev_nc_u32_e32 v11, s36, v11
	s_delay_alu instid0(VALU_DEP_1) | instskip(NEXT) | instid1(VALU_DEP_1)
	v_ashrrev_i32_e32 v12, 31, v11
	v_lshlrev_b64 v[11:12], 3, v[11:12]
	s_delay_alu instid0(VALU_DEP_1) | instskip(NEXT) | instid1(VALU_DEP_2)
	v_add_co_u32 v11, vcc_lo, s8, v11
	v_add_co_ci_u32_e32 v12, vcc_lo, s9, v12, vcc_lo
	global_load_b128 v[13:16], v[11:12], off
	s_waitcnt vmcnt(0)
	v_sub_co_u32 v11, vcc_lo, v15, s17
	v_subrev_co_ci_u32_e32 v12, vcc_lo, 0, v16, vcc_lo
	v_add_co_u32 v13, vcc_lo, v13, v27
	v_add_co_ci_u32_e32 v14, vcc_lo, v14, v28, vcc_lo
	s_delay_alu instid0(VALU_DEP_1)
	v_cmpx_lt_i64_e64 v[13:14], v[11:12]
	s_cbranch_execz .LBB232_9
; %bb.11:                               ;   in Loop: Header=BB232_10 Depth=1
	v_lshlrev_b64 v[15:16], 4, v[9:10]
	s_mov_b32 s19, 0
	s_delay_alu instid0(VALU_DEP_1) | instskip(NEXT) | instid1(VALU_DEP_2)
	v_add_co_u32 v15, vcc_lo, s6, v15
	v_add_co_ci_u32_e32 v16, vcc_lo, s7, v16, vcc_lo
	global_load_b128 v[17:20], v[15:16], off
	s_waitcnt vmcnt(0)
	v_mul_f64 v[15:16], v[19:20], -v[7:8]
	v_mul_f64 v[19:20], v[5:6], v[19:20]
	s_delay_alu instid0(VALU_DEP_2) | instskip(NEXT) | instid1(VALU_DEP_2)
	v_fma_f64 v[15:16], v[5:6], v[17:18], v[15:16]
	v_fma_f64 v[17:18], v[7:8], v[17:18], v[19:20]
	s_branch .LBB232_13
.LBB232_12:                             ;   in Loop: Header=BB232_13 Depth=2
	s_or_b32 exec_lo, exec_lo, s20
	v_add_co_u32 v13, vcc_lo, v13, 64
	v_add_co_ci_u32_e32 v14, vcc_lo, 0, v14, vcc_lo
	s_delay_alu instid0(VALU_DEP_1) | instskip(SKIP_1) | instid1(SALU_CYCLE_1)
	v_cmp_ge_i64_e32 vcc_lo, v[13:14], v[11:12]
	s_or_b32 s19, vcc_lo, s19
	s_and_not1_b32 exec_lo, exec_lo, s19
	s_cbranch_execz .LBB232_9
.LBB232_13:                             ;   Parent Loop BB232_10 Depth=1
                                        ; =>  This Loop Header: Depth=2
                                        ;       Child Loop BB232_15 Depth 3
                                        ;         Child Loop BB232_21 Depth 4
                                        ;         Child Loop BB232_23 Depth 4
                                        ;         Child Loop BB232_29 Depth 4
                                        ;         Child Loop BB232_31 Depth 4
	v_lshlrev_b64 v[19:20], 4, v[13:14]
	s_mov_b32 s20, 0
	s_delay_alu instid0(VALU_DEP_1) | instskip(NEXT) | instid1(VALU_DEP_2)
	v_add_co_u32 v19, vcc_lo, s12, v19
	v_add_co_ci_u32_e32 v20, vcc_lo, s13, v20, vcc_lo
	global_load_b128 v[21:24], v[19:20], off
	v_lshlrev_b64 v[19:20], 2, v[13:14]
	s_delay_alu instid0(VALU_DEP_1) | instskip(NEXT) | instid1(VALU_DEP_2)
	v_add_co_u32 v19, vcc_lo, s10, v19
	v_add_co_ci_u32_e32 v20, vcc_lo, s11, v20, vcc_lo
	global_load_b32 v29, v[19:20], off
	s_waitcnt vmcnt(1)
	v_mul_f64 v[19:20], v[23:24], -v[17:18]
	v_mul_f64 v[23:24], v[15:16], v[23:24]
	s_waitcnt vmcnt(0)
	v_subrev_nc_u32_e32 v29, s37, v29
	s_delay_alu instid0(VALU_DEP_3) | instskip(NEXT) | instid1(VALU_DEP_3)
	v_fma_f64 v[19:20], v[15:16], v[21:22], v[19:20]
	v_fma_f64 v[21:22], v[17:18], v[21:22], v[23:24]
	s_delay_alu instid0(VALU_DEP_3) | instskip(NEXT) | instid1(VALU_DEP_1)
	v_mul_lo_u32 v23, 0x89, v29
	v_and_b32_e32 v30, 0x1fff, v23
	s_branch .LBB232_15
.LBB232_14:                             ;   in Loop: Header=BB232_15 Depth=3
	s_or_b32 exec_lo, exec_lo, s21
	s_xor_b32 s21, s22, -1
	s_delay_alu instid0(SALU_CYCLE_1) | instskip(NEXT) | instid1(SALU_CYCLE_1)
	s_and_b32 s21, exec_lo, s21
	s_or_b32 s20, s21, s20
	s_delay_alu instid0(SALU_CYCLE_1)
	s_and_not1_b32 exec_lo, exec_lo, s20
	s_cbranch_execz .LBB232_12
.LBB232_15:                             ;   Parent Loop BB232_10 Depth=1
                                        ;     Parent Loop BB232_13 Depth=2
                                        ; =>    This Loop Header: Depth=3
                                        ;         Child Loop BB232_21 Depth 4
                                        ;         Child Loop BB232_23 Depth 4
	;; [unrolled: 1-line block ×4, first 2 shown]
	s_delay_alu instid0(VALU_DEP_1)
	v_lshl_add_u32 v23, v30, 2, 0
	s_mov_b32 s21, exec_lo
                                        ; implicit-def: $sgpr22
	ds_load_b32 v24, v23
	s_waitcnt lgkmcnt(0)
	v_cmpx_ne_u32_e64 v24, v29
	s_xor_b32 s21, exec_lo, s21
	s_cbranch_execz .LBB232_27
; %bb.16:                               ;   in Loop: Header=BB232_15 Depth=3
	s_mov_b32 s23, exec_lo
                                        ; implicit-def: $sgpr22
	v_cmpx_ne_u32_e64 s33, v24
	s_xor_b32 s23, exec_lo, s23
; %bb.17:                               ;   in Loop: Header=BB232_15 Depth=3
	v_add_nc_u32_e32 v23, 1, v30
	s_mov_b32 s22, -1
	s_delay_alu instid0(VALU_DEP_1)
	v_and_b32_e32 v30, 0x1fff, v23
                                        ; implicit-def: $vgpr23
; %bb.18:                               ;   in Loop: Header=BB232_15 Depth=3
	s_and_not1_saveexec_b32 s23, s23
	s_cbranch_execz .LBB232_26
; %bb.19:                               ;   in Loop: Header=BB232_15 Depth=3
	v_mov_b32_e32 v24, s33
	s_mov_b32 s25, -1
	s_mov_b32 s24, exec_lo
	ds_cmpstore_rtn_b32 v24, v23, v29, v24
	s_waitcnt lgkmcnt(0)
	v_cmpx_eq_u32_e64 s33, v24
	s_cbranch_execz .LBB232_25
; %bb.20:                               ;   in Loop: Header=BB232_15 Depth=3
	v_mul_lo_u32 v24, v30, 12
	s_mov_b32 s25, 0
	s_delay_alu instid0(VALU_DEP_1)
	v_add_nc_u32_e32 v31, v23, v24
	ds_load_b64 v[23:24], v31 offset:32768
.LBB232_21:                             ;   Parent Loop BB232_10 Depth=1
                                        ;     Parent Loop BB232_13 Depth=2
                                        ;       Parent Loop BB232_15 Depth=3
                                        ; =>      This Inner Loop Header: Depth=4
	s_waitcnt lgkmcnt(0)
	v_add_f64 v[32:33], v[23:24], v[19:20]
	ds_cmpstore_rtn_b64 v[32:33], v31, v[32:33], v[23:24] offset:32768
	s_waitcnt lgkmcnt(0)
	v_cmp_eq_u64_e32 vcc_lo, v[32:33], v[23:24]
	v_dual_mov_b32 v23, v32 :: v_dual_mov_b32 v24, v33
	s_or_b32 s25, vcc_lo, s25
	s_delay_alu instid0(SALU_CYCLE_1)
	s_and_not1_b32 exec_lo, exec_lo, s25
	s_cbranch_execnz .LBB232_21
; %bb.22:                               ;   in Loop: Header=BB232_15 Depth=3
	s_or_b32 exec_lo, exec_lo, s25
	ds_load_b64 v[23:24], v31 offset:32776
	s_mov_b32 s25, 0
.LBB232_23:                             ;   Parent Loop BB232_10 Depth=1
                                        ;     Parent Loop BB232_13 Depth=2
                                        ;       Parent Loop BB232_15 Depth=3
                                        ; =>      This Inner Loop Header: Depth=4
	s_waitcnt lgkmcnt(0)
	v_add_f64 v[32:33], v[23:24], v[21:22]
	ds_cmpstore_rtn_b64 v[32:33], v31, v[32:33], v[23:24] offset:32776
	s_waitcnt lgkmcnt(0)
	v_cmp_eq_u64_e32 vcc_lo, v[32:33], v[23:24]
	v_dual_mov_b32 v23, v32 :: v_dual_mov_b32 v24, v33
	s_or_b32 s25, vcc_lo, s25
	s_delay_alu instid0(SALU_CYCLE_1)
	s_and_not1_b32 exec_lo, exec_lo, s25
	s_cbranch_execnz .LBB232_23
; %bb.24:                               ;   in Loop: Header=BB232_15 Depth=3
	s_or_b32 exec_lo, exec_lo, s25
	s_delay_alu instid0(SALU_CYCLE_1)
	s_xor_b32 s25, exec_lo, -1
.LBB232_25:                             ;   in Loop: Header=BB232_15 Depth=3
	s_or_b32 exec_lo, exec_lo, s24
	s_delay_alu instid0(SALU_CYCLE_1) | instskip(SKIP_1) | instid1(SALU_CYCLE_1)
	s_and_not1_b32 s22, s22, exec_lo
	s_and_b32 s24, s25, exec_lo
	s_or_b32 s22, s22, s24
.LBB232_26:                             ;   in Loop: Header=BB232_15 Depth=3
	s_or_b32 exec_lo, exec_lo, s23
	s_delay_alu instid0(SALU_CYCLE_1)
	s_and_b32 s22, s22, exec_lo
                                        ; implicit-def: $vgpr23
.LBB232_27:                             ;   in Loop: Header=BB232_15 Depth=3
	s_and_not1_saveexec_b32 s21, s21
	s_cbranch_execz .LBB232_14
; %bb.28:                               ;   in Loop: Header=BB232_15 Depth=3
	v_mul_lo_u32 v24, v30, 12
	s_mov_b32 s23, 0
	s_delay_alu instid0(VALU_DEP_1)
	v_add_nc_u32_e32 v31, v23, v24
	ds_load_b64 v[23:24], v31 offset:32768
.LBB232_29:                             ;   Parent Loop BB232_10 Depth=1
                                        ;     Parent Loop BB232_13 Depth=2
                                        ;       Parent Loop BB232_15 Depth=3
                                        ; =>      This Inner Loop Header: Depth=4
	s_waitcnt lgkmcnt(0)
	v_add_f64 v[32:33], v[23:24], v[19:20]
	ds_cmpstore_rtn_b64 v[32:33], v31, v[32:33], v[23:24] offset:32768
	s_waitcnt lgkmcnt(0)
	v_cmp_eq_u64_e32 vcc_lo, v[32:33], v[23:24]
	v_dual_mov_b32 v23, v32 :: v_dual_mov_b32 v24, v33
	s_or_b32 s23, vcc_lo, s23
	s_delay_alu instid0(SALU_CYCLE_1)
	s_and_not1_b32 exec_lo, exec_lo, s23
	s_cbranch_execnz .LBB232_29
; %bb.30:                               ;   in Loop: Header=BB232_15 Depth=3
	s_or_b32 exec_lo, exec_lo, s23
	ds_load_b64 v[23:24], v31 offset:32776
	s_mov_b32 s23, 0
.LBB232_31:                             ;   Parent Loop BB232_10 Depth=1
                                        ;     Parent Loop BB232_13 Depth=2
                                        ;       Parent Loop BB232_15 Depth=3
                                        ; =>      This Inner Loop Header: Depth=4
	s_waitcnt lgkmcnt(0)
	v_add_f64 v[32:33], v[23:24], v[21:22]
	ds_cmpstore_rtn_b64 v[32:33], v31, v[32:33], v[23:24] offset:32776
	s_waitcnt lgkmcnt(0)
	v_cmp_eq_u64_e32 vcc_lo, v[32:33], v[23:24]
	v_dual_mov_b32 v23, v32 :: v_dual_mov_b32 v24, v33
	s_or_b32 s23, vcc_lo, s23
	s_delay_alu instid0(SALU_CYCLE_1)
	s_and_not1_b32 exec_lo, exec_lo, s23
	s_cbranch_execnz .LBB232_31
; %bb.32:                               ;   in Loop: Header=BB232_15 Depth=3
	s_or_b32 exec_lo, exec_lo, s23
	s_delay_alu instid0(SALU_CYCLE_1)
	s_and_not1_b32 s22, s22, exec_lo
	s_branch .LBB232_14
.LBB232_33:
	s_or_b32 exec_lo, exec_lo, s15
.LBB232_34:
	s_clause 0x1
	s_load_b64 s[36:37], s[0:1], 0x90
	s_load_b64 s[40:41], s[0:1], 0x80
	s_and_not1_b32 vcc_lo, exec_lo, s14
	s_cbranch_vccnz .LBB232_59
; %bb.35:
	s_load_b64 s[2:3], s[0:1], 0x68
	s_waitcnt lgkmcnt(0)
	s_ashr_i32 s35, s34, 31
	s_delay_alu instid0(SALU_CYCLE_1) | instskip(NEXT) | instid1(SALU_CYCLE_1)
	s_lshl_b64 s[4:5], s[34:35], 3
	s_add_u32 s2, s2, s4
	s_addc_u32 s3, s3, s5
	s_load_b128 s[4:7], s[2:3], 0x0
	v_sub_co_u32 v5, s2, v0, s39
	s_delay_alu instid0(VALU_DEP_1) | instskip(SKIP_1) | instid1(VALU_DEP_2)
	v_sub_co_ci_u32_e64 v6, null, 0, 0, s2
	s_waitcnt lgkmcnt(0)
	v_add_co_u32 v5, vcc_lo, s4, v5
	s_delay_alu instid0(VALU_DEP_2)
	v_add_co_ci_u32_e32 v6, vcc_lo, s5, v6, vcc_lo
	s_sub_u32 s4, s6, s39
	s_subb_u32 s5, s7, 0
	s_mov_b32 s7, 0
	s_mov_b32 s6, exec_lo
	v_cmpx_gt_i64_e64 s[4:5], v[5:6]
	s_cbranch_execz .LBB232_58
; %bb.36:
	s_load_b128 s[0:3], s[0:1], 0x70
	s_branch .LBB232_38
.LBB232_37:                             ;   in Loop: Header=BB232_38 Depth=1
	s_or_b32 exec_lo, exec_lo, s8
	v_add_co_u32 v5, vcc_lo, 0x400, v5
	v_add_co_ci_u32_e32 v6, vcc_lo, 0, v6, vcc_lo
	s_delay_alu instid0(VALU_DEP_1) | instskip(SKIP_1) | instid1(SALU_CYCLE_1)
	v_cmp_le_i64_e32 vcc_lo, s[4:5], v[5:6]
	s_or_b32 s7, vcc_lo, s7
	s_and_not1_b32 exec_lo, exec_lo, s7
	s_cbranch_execz .LBB232_58
.LBB232_38:                             ; =>This Loop Header: Depth=1
                                        ;     Child Loop BB232_40 Depth 2
                                        ;       Child Loop BB232_46 Depth 3
                                        ;       Child Loop BB232_48 Depth 3
	;; [unrolled: 1-line block ×4, first 2 shown]
	v_lshlrev_b64 v[7:8], 4, v[5:6]
	s_mov_b32 s8, 0
	s_waitcnt lgkmcnt(0)
	s_delay_alu instid0(VALU_DEP_1) | instskip(NEXT) | instid1(VALU_DEP_2)
	v_add_co_u32 v7, vcc_lo, s2, v7
	v_add_co_ci_u32_e32 v8, vcc_lo, s3, v8, vcc_lo
	global_load_b128 v[9:12], v[7:8], off
	v_lshlrev_b64 v[7:8], 2, v[5:6]
	s_delay_alu instid0(VALU_DEP_1) | instskip(NEXT) | instid1(VALU_DEP_2)
	v_add_co_u32 v7, vcc_lo, s0, v7
	v_add_co_ci_u32_e32 v8, vcc_lo, s1, v8, vcc_lo
	global_load_b32 v13, v[7:8], off
	s_waitcnt vmcnt(1)
	v_mul_f64 v[7:8], v[11:12], -v[1:2]
	v_mul_f64 v[11:12], v[3:4], v[11:12]
	s_waitcnt vmcnt(0)
	v_subrev_nc_u32_e32 v13, s39, v13
	s_delay_alu instid0(VALU_DEP_3) | instskip(NEXT) | instid1(VALU_DEP_3)
	v_fma_f64 v[7:8], v[3:4], v[9:10], v[7:8]
	v_fma_f64 v[9:10], v[1:2], v[9:10], v[11:12]
	s_delay_alu instid0(VALU_DEP_3) | instskip(NEXT) | instid1(VALU_DEP_1)
	v_mul_lo_u32 v11, 0x89, v13
	v_and_b32_e32 v14, 0x1fff, v11
	s_branch .LBB232_40
.LBB232_39:                             ;   in Loop: Header=BB232_40 Depth=2
	s_or_b32 exec_lo, exec_lo, s9
	s_xor_b32 s9, s10, -1
	s_delay_alu instid0(SALU_CYCLE_1) | instskip(NEXT) | instid1(SALU_CYCLE_1)
	s_and_b32 s9, exec_lo, s9
	s_or_b32 s8, s9, s8
	s_delay_alu instid0(SALU_CYCLE_1)
	s_and_not1_b32 exec_lo, exec_lo, s8
	s_cbranch_execz .LBB232_37
.LBB232_40:                             ;   Parent Loop BB232_38 Depth=1
                                        ; =>  This Loop Header: Depth=2
                                        ;       Child Loop BB232_46 Depth 3
                                        ;       Child Loop BB232_48 Depth 3
	;; [unrolled: 1-line block ×4, first 2 shown]
	s_delay_alu instid0(VALU_DEP_1)
	v_lshl_add_u32 v11, v14, 2, 0
	s_mov_b32 s9, exec_lo
                                        ; implicit-def: $sgpr10
	ds_load_b32 v12, v11
	s_waitcnt lgkmcnt(0)
	v_cmpx_ne_u32_e64 v12, v13
	s_xor_b32 s9, exec_lo, s9
	s_cbranch_execz .LBB232_52
; %bb.41:                               ;   in Loop: Header=BB232_40 Depth=2
	s_mov_b32 s11, exec_lo
                                        ; implicit-def: $sgpr10
	v_cmpx_ne_u32_e64 s33, v12
	s_xor_b32 s11, exec_lo, s11
; %bb.42:                               ;   in Loop: Header=BB232_40 Depth=2
	v_add_nc_u32_e32 v11, 1, v14
	s_mov_b32 s10, -1
	s_delay_alu instid0(VALU_DEP_1)
	v_and_b32_e32 v14, 0x1fff, v11
                                        ; implicit-def: $vgpr11
; %bb.43:                               ;   in Loop: Header=BB232_40 Depth=2
	s_and_not1_saveexec_b32 s11, s11
	s_cbranch_execz .LBB232_51
; %bb.44:                               ;   in Loop: Header=BB232_40 Depth=2
	v_mov_b32_e32 v12, s33
	s_mov_b32 s13, -1
	s_mov_b32 s12, exec_lo
	ds_cmpstore_rtn_b32 v12, v11, v13, v12
	s_waitcnt lgkmcnt(0)
	v_cmpx_eq_u32_e64 s33, v12
	s_cbranch_execz .LBB232_50
; %bb.45:                               ;   in Loop: Header=BB232_40 Depth=2
	v_mul_lo_u32 v12, v14, 12
	s_mov_b32 s13, 0
	s_delay_alu instid0(VALU_DEP_1)
	v_add_nc_u32_e32 v15, v11, v12
	ds_load_b64 v[11:12], v15 offset:32768
.LBB232_46:                             ;   Parent Loop BB232_38 Depth=1
                                        ;     Parent Loop BB232_40 Depth=2
                                        ; =>    This Inner Loop Header: Depth=3
	s_waitcnt lgkmcnt(0)
	v_add_f64 v[16:17], v[11:12], v[7:8]
	ds_cmpstore_rtn_b64 v[16:17], v15, v[16:17], v[11:12] offset:32768
	s_waitcnt lgkmcnt(0)
	v_cmp_eq_u64_e32 vcc_lo, v[16:17], v[11:12]
	v_dual_mov_b32 v11, v16 :: v_dual_mov_b32 v12, v17
	s_or_b32 s13, vcc_lo, s13
	s_delay_alu instid0(SALU_CYCLE_1)
	s_and_not1_b32 exec_lo, exec_lo, s13
	s_cbranch_execnz .LBB232_46
; %bb.47:                               ;   in Loop: Header=BB232_40 Depth=2
	s_or_b32 exec_lo, exec_lo, s13
	ds_load_b64 v[11:12], v15 offset:32776
	s_mov_b32 s13, 0
.LBB232_48:                             ;   Parent Loop BB232_38 Depth=1
                                        ;     Parent Loop BB232_40 Depth=2
                                        ; =>    This Inner Loop Header: Depth=3
	s_waitcnt lgkmcnt(0)
	v_add_f64 v[16:17], v[11:12], v[9:10]
	ds_cmpstore_rtn_b64 v[16:17], v15, v[16:17], v[11:12] offset:32776
	s_waitcnt lgkmcnt(0)
	v_cmp_eq_u64_e32 vcc_lo, v[16:17], v[11:12]
	v_dual_mov_b32 v11, v16 :: v_dual_mov_b32 v12, v17
	s_or_b32 s13, vcc_lo, s13
	s_delay_alu instid0(SALU_CYCLE_1)
	s_and_not1_b32 exec_lo, exec_lo, s13
	s_cbranch_execnz .LBB232_48
; %bb.49:                               ;   in Loop: Header=BB232_40 Depth=2
	s_or_b32 exec_lo, exec_lo, s13
	s_delay_alu instid0(SALU_CYCLE_1)
	s_xor_b32 s13, exec_lo, -1
.LBB232_50:                             ;   in Loop: Header=BB232_40 Depth=2
	s_or_b32 exec_lo, exec_lo, s12
	s_delay_alu instid0(SALU_CYCLE_1) | instskip(SKIP_1) | instid1(SALU_CYCLE_1)
	s_and_not1_b32 s10, s10, exec_lo
	s_and_b32 s12, s13, exec_lo
	s_or_b32 s10, s10, s12
.LBB232_51:                             ;   in Loop: Header=BB232_40 Depth=2
	s_or_b32 exec_lo, exec_lo, s11
	s_delay_alu instid0(SALU_CYCLE_1)
	s_and_b32 s10, s10, exec_lo
                                        ; implicit-def: $vgpr11
.LBB232_52:                             ;   in Loop: Header=BB232_40 Depth=2
	s_and_not1_saveexec_b32 s9, s9
	s_cbranch_execz .LBB232_39
; %bb.53:                               ;   in Loop: Header=BB232_40 Depth=2
	v_mul_lo_u32 v12, v14, 12
	s_mov_b32 s11, 0
	s_delay_alu instid0(VALU_DEP_1)
	v_add_nc_u32_e32 v15, v11, v12
	ds_load_b64 v[11:12], v15 offset:32768
.LBB232_54:                             ;   Parent Loop BB232_38 Depth=1
                                        ;     Parent Loop BB232_40 Depth=2
                                        ; =>    This Inner Loop Header: Depth=3
	s_waitcnt lgkmcnt(0)
	v_add_f64 v[16:17], v[11:12], v[7:8]
	ds_cmpstore_rtn_b64 v[16:17], v15, v[16:17], v[11:12] offset:32768
	s_waitcnt lgkmcnt(0)
	v_cmp_eq_u64_e32 vcc_lo, v[16:17], v[11:12]
	v_dual_mov_b32 v11, v16 :: v_dual_mov_b32 v12, v17
	s_or_b32 s11, vcc_lo, s11
	s_delay_alu instid0(SALU_CYCLE_1)
	s_and_not1_b32 exec_lo, exec_lo, s11
	s_cbranch_execnz .LBB232_54
; %bb.55:                               ;   in Loop: Header=BB232_40 Depth=2
	s_or_b32 exec_lo, exec_lo, s11
	ds_load_b64 v[11:12], v15 offset:32776
	s_mov_b32 s11, 0
.LBB232_56:                             ;   Parent Loop BB232_38 Depth=1
                                        ;     Parent Loop BB232_40 Depth=2
                                        ; =>    This Inner Loop Header: Depth=3
	s_waitcnt lgkmcnt(0)
	v_add_f64 v[16:17], v[11:12], v[9:10]
	ds_cmpstore_rtn_b64 v[16:17], v15, v[16:17], v[11:12] offset:32776
	s_waitcnt lgkmcnt(0)
	v_cmp_eq_u64_e32 vcc_lo, v[16:17], v[11:12]
	v_dual_mov_b32 v11, v16 :: v_dual_mov_b32 v12, v17
	s_or_b32 s11, vcc_lo, s11
	s_delay_alu instid0(SALU_CYCLE_1)
	s_and_not1_b32 exec_lo, exec_lo, s11
	s_cbranch_execnz .LBB232_56
; %bb.57:                               ;   in Loop: Header=BB232_40 Depth=2
	s_or_b32 exec_lo, exec_lo, s11
	s_delay_alu instid0(SALU_CYCLE_1)
	s_and_not1_b32 s10, s10, exec_lo
	s_branch .LBB232_39
.LBB232_58:
	s_or_b32 exec_lo, exec_lo, s6
.LBB232_59:
	v_mbcnt_lo_u32_b32 v1, -1, 0
	v_lshrrev_b32_e32 v2, 3, v0
	s_add_i32 s68, 0, 0x2807c
	v_cmp_eq_u32_e32 vcc_lo, 0x3ff, v0
	v_cmp_lt_u32_e64 s0, 31, v0
	v_xor_b32_e32 v1, 63, v1
	v_dual_mov_b32 v6, s68 :: v_dual_and_b32 v3, 0x7c, v2
	v_cmp_lt_u32_e64 s1, 63, v0
	v_cmp_lt_u32_e64 s2, 0x5f, v0
	s_delay_alu instid0(VALU_DEP_4) | instskip(NEXT) | instid1(VALU_DEP_4)
	v_lshrrev_b64 v[1:2], v1, -1
	v_add3_u32 v2, 0, 0x28000, v3
	v_cmp_lt_u32_e64 s3, 0x7f, v0
	v_cmp_lt_u32_e64 s4, 0x9f, v0
	;; [unrolled: 1-line block ×28, first 2 shown]
	v_add3_u32 v3, v26, 0, 0x8000
	v_or_b32_e32 v4, 0xfffffc00, v0
	v_mov_b32_e32 v5, 0
	s_mov_b32 s35, 0
	s_add_i32 s39, 0, 0x28000
	s_add_i32 s42, 0, 0x28004
	;; [unrolled: 1-line block ×31, first 2 shown]
	s_waitcnt lgkmcnt(0)
	s_barrier
	buffer_gl0_inv
	s_branch .LBB232_61
.LBB232_60:                             ;   in Loop: Header=BB232_61 Depth=1
	s_or_b32 exec_lo, exec_lo, s31
	s_waitcnt lgkmcnt(0)
	s_barrier
	buffer_gl0_inv
	ds_load_b32 v7, v6
	v_add_nc_u32_e32 v4, 0x400, v4
	v_add_nc_u32_e32 v3, 0x4000, v3
	v_add_nc_u32_e32 v25, 0x1000, v25
	s_delay_alu instid0(VALU_DEP_3) | instskip(NEXT) | instid1(VALU_DEP_1)
	v_cmp_lt_u32_e64 s31, 0x1bff, v4
	s_or_b32 s35, s31, s35
	s_waitcnt lgkmcnt(0)
	v_add_nc_u32_e32 v5, v7, v5
	s_and_not1_b32 exec_lo, exec_lo, s35
	s_cbranch_execz .LBB232_127
.LBB232_61:                             ; =>This Inner Loop Header: Depth=1
	ds_load_b32 v7, v25
	ds_load_2addr_b64 v[8:11], v3 offset1:1
	s_waitcnt lgkmcnt(1)
	v_cmp_gt_i32_e64 s31, s33, v7
	s_waitcnt lgkmcnt(0)
	scratch_store_b128 off, v[8:11], off
	s_waitcnt_vscnt null, 0x0
	s_barrier
	buffer_gl0_inv
	s_bcnt1_i32_b32 s73, s31
	s_delay_alu instid0(SALU_CYCLE_1) | instskip(NEXT) | instid1(VALU_DEP_1)
	v_dual_mov_b32 v9, s73 :: v_dual_and_b32 v8, s31, v1
	v_bcnt_u32_b32 v8, v8, 0
	ds_store_b32 v2, v9
	s_waitcnt lgkmcnt(0)
	s_barrier
	buffer_gl0_inv
	s_and_saveexec_b32 s73, s0
	s_cbranch_execnz .LBB232_94
; %bb.62:                               ;   in Loop: Header=BB232_61 Depth=1
	s_or_b32 exec_lo, exec_lo, s73
	s_and_saveexec_b32 s73, s1
	s_cbranch_execnz .LBB232_95
.LBB232_63:                             ;   in Loop: Header=BB232_61 Depth=1
	s_or_b32 exec_lo, exec_lo, s73
	s_and_saveexec_b32 s73, s2
	s_cbranch_execnz .LBB232_96
.LBB232_64:                             ;   in Loop: Header=BB232_61 Depth=1
	s_or_b32 exec_lo, exec_lo, s73
	s_and_saveexec_b32 s73, s3
	s_cbranch_execnz .LBB232_97
.LBB232_65:                             ;   in Loop: Header=BB232_61 Depth=1
	s_or_b32 exec_lo, exec_lo, s73
	s_and_saveexec_b32 s73, s4
	s_cbranch_execnz .LBB232_98
.LBB232_66:                             ;   in Loop: Header=BB232_61 Depth=1
	s_or_b32 exec_lo, exec_lo, s73
	s_and_saveexec_b32 s73, s5
	s_cbranch_execnz .LBB232_99
.LBB232_67:                             ;   in Loop: Header=BB232_61 Depth=1
	s_or_b32 exec_lo, exec_lo, s73
	s_and_saveexec_b32 s73, s6
	s_cbranch_execnz .LBB232_100
.LBB232_68:                             ;   in Loop: Header=BB232_61 Depth=1
	s_or_b32 exec_lo, exec_lo, s73
	s_and_saveexec_b32 s73, s7
	s_cbranch_execnz .LBB232_101
.LBB232_69:                             ;   in Loop: Header=BB232_61 Depth=1
	s_or_b32 exec_lo, exec_lo, s73
	s_and_saveexec_b32 s73, s8
	s_cbranch_execnz .LBB232_102
.LBB232_70:                             ;   in Loop: Header=BB232_61 Depth=1
	s_or_b32 exec_lo, exec_lo, s73
	s_and_saveexec_b32 s73, s9
	s_cbranch_execnz .LBB232_103
.LBB232_71:                             ;   in Loop: Header=BB232_61 Depth=1
	s_or_b32 exec_lo, exec_lo, s73
	s_and_saveexec_b32 s73, s10
	s_cbranch_execnz .LBB232_104
.LBB232_72:                             ;   in Loop: Header=BB232_61 Depth=1
	s_or_b32 exec_lo, exec_lo, s73
	s_and_saveexec_b32 s73, s11
	s_cbranch_execnz .LBB232_105
.LBB232_73:                             ;   in Loop: Header=BB232_61 Depth=1
	s_or_b32 exec_lo, exec_lo, s73
	s_and_saveexec_b32 s73, s12
	s_cbranch_execnz .LBB232_106
.LBB232_74:                             ;   in Loop: Header=BB232_61 Depth=1
	s_or_b32 exec_lo, exec_lo, s73
	s_and_saveexec_b32 s73, s13
	s_cbranch_execnz .LBB232_107
.LBB232_75:                             ;   in Loop: Header=BB232_61 Depth=1
	s_or_b32 exec_lo, exec_lo, s73
	s_and_saveexec_b32 s73, s14
	s_cbranch_execnz .LBB232_108
.LBB232_76:                             ;   in Loop: Header=BB232_61 Depth=1
	s_or_b32 exec_lo, exec_lo, s73
	s_and_saveexec_b32 s73, s15
	s_cbranch_execnz .LBB232_109
.LBB232_77:                             ;   in Loop: Header=BB232_61 Depth=1
	s_or_b32 exec_lo, exec_lo, s73
	s_and_saveexec_b32 s73, s16
	s_cbranch_execnz .LBB232_110
.LBB232_78:                             ;   in Loop: Header=BB232_61 Depth=1
	s_or_b32 exec_lo, exec_lo, s73
	s_and_saveexec_b32 s73, s17
	s_cbranch_execnz .LBB232_111
.LBB232_79:                             ;   in Loop: Header=BB232_61 Depth=1
	s_or_b32 exec_lo, exec_lo, s73
	s_and_saveexec_b32 s73, s18
	s_cbranch_execnz .LBB232_112
.LBB232_80:                             ;   in Loop: Header=BB232_61 Depth=1
	s_or_b32 exec_lo, exec_lo, s73
	s_and_saveexec_b32 s73, s19
	s_cbranch_execnz .LBB232_113
.LBB232_81:                             ;   in Loop: Header=BB232_61 Depth=1
	s_or_b32 exec_lo, exec_lo, s73
	s_and_saveexec_b32 s73, s20
	s_cbranch_execnz .LBB232_114
.LBB232_82:                             ;   in Loop: Header=BB232_61 Depth=1
	s_or_b32 exec_lo, exec_lo, s73
	s_and_saveexec_b32 s73, s21
	s_cbranch_execnz .LBB232_115
.LBB232_83:                             ;   in Loop: Header=BB232_61 Depth=1
	s_or_b32 exec_lo, exec_lo, s73
	s_and_saveexec_b32 s73, s22
	s_cbranch_execnz .LBB232_116
.LBB232_84:                             ;   in Loop: Header=BB232_61 Depth=1
	s_or_b32 exec_lo, exec_lo, s73
	s_and_saveexec_b32 s73, s23
	s_cbranch_execnz .LBB232_117
.LBB232_85:                             ;   in Loop: Header=BB232_61 Depth=1
	s_or_b32 exec_lo, exec_lo, s73
	s_and_saveexec_b32 s73, s24
	s_cbranch_execnz .LBB232_118
.LBB232_86:                             ;   in Loop: Header=BB232_61 Depth=1
	s_or_b32 exec_lo, exec_lo, s73
	s_and_saveexec_b32 s73, s25
	s_cbranch_execnz .LBB232_119
.LBB232_87:                             ;   in Loop: Header=BB232_61 Depth=1
	s_or_b32 exec_lo, exec_lo, s73
	s_and_saveexec_b32 s73, s26
	s_cbranch_execnz .LBB232_120
.LBB232_88:                             ;   in Loop: Header=BB232_61 Depth=1
	s_or_b32 exec_lo, exec_lo, s73
	s_and_saveexec_b32 s73, s27
	s_cbranch_execnz .LBB232_121
.LBB232_89:                             ;   in Loop: Header=BB232_61 Depth=1
	s_or_b32 exec_lo, exec_lo, s73
	s_and_saveexec_b32 s73, s28
	s_cbranch_execnz .LBB232_122
.LBB232_90:                             ;   in Loop: Header=BB232_61 Depth=1
	s_or_b32 exec_lo, exec_lo, s73
	s_and_saveexec_b32 s73, s29
	s_cbranch_execnz .LBB232_123
.LBB232_91:                             ;   in Loop: Header=BB232_61 Depth=1
	s_or_b32 exec_lo, exec_lo, s73
	s_and_saveexec_b32 s73, s30
	s_cbranch_execnz .LBB232_124
.LBB232_92:                             ;   in Loop: Header=BB232_61 Depth=1
	s_or_b32 exec_lo, exec_lo, s73
	s_and_saveexec_b32 s73, s31
	s_cbranch_execnz .LBB232_125
.LBB232_93:                             ;   in Loop: Header=BB232_61 Depth=1
	s_or_b32 exec_lo, exec_lo, s73
	s_and_saveexec_b32 s31, vcc_lo
	s_cbranch_execz .LBB232_60
	s_branch .LBB232_126
.LBB232_94:                             ;   in Loop: Header=BB232_61 Depth=1
	v_mov_b32_e32 v9, s39
	ds_load_b32 v9, v9
	s_waitcnt lgkmcnt(0)
	v_add_nc_u32_e32 v8, v9, v8
	s_or_b32 exec_lo, exec_lo, s73
	s_and_saveexec_b32 s73, s1
	s_cbranch_execz .LBB232_63
.LBB232_95:                             ;   in Loop: Header=BB232_61 Depth=1
	v_mov_b32_e32 v9, s42
	ds_load_b32 v9, v9
	s_waitcnt lgkmcnt(0)
	v_add_nc_u32_e32 v8, v9, v8
	s_or_b32 exec_lo, exec_lo, s73
	s_and_saveexec_b32 s73, s2
	s_cbranch_execz .LBB232_64
.LBB232_96:                             ;   in Loop: Header=BB232_61 Depth=1
	v_mov_b32_e32 v9, s43
	ds_load_b32 v9, v9
	s_waitcnt lgkmcnt(0)
	v_add_nc_u32_e32 v8, v9, v8
	s_or_b32 exec_lo, exec_lo, s73
	s_and_saveexec_b32 s73, s3
	s_cbranch_execz .LBB232_65
.LBB232_97:                             ;   in Loop: Header=BB232_61 Depth=1
	v_mov_b32_e32 v9, s44
	ds_load_b32 v9, v9
	s_waitcnt lgkmcnt(0)
	v_add_nc_u32_e32 v8, v9, v8
	s_or_b32 exec_lo, exec_lo, s73
	s_and_saveexec_b32 s73, s4
	s_cbranch_execz .LBB232_66
.LBB232_98:                             ;   in Loop: Header=BB232_61 Depth=1
	v_mov_b32_e32 v9, s45
	ds_load_b32 v9, v9
	s_waitcnt lgkmcnt(0)
	v_add_nc_u32_e32 v8, v9, v8
	s_or_b32 exec_lo, exec_lo, s73
	s_and_saveexec_b32 s73, s5
	s_cbranch_execz .LBB232_67
.LBB232_99:                             ;   in Loop: Header=BB232_61 Depth=1
	v_mov_b32_e32 v9, s46
	ds_load_b32 v9, v9
	s_waitcnt lgkmcnt(0)
	v_add_nc_u32_e32 v8, v9, v8
	s_or_b32 exec_lo, exec_lo, s73
	s_and_saveexec_b32 s73, s6
	s_cbranch_execz .LBB232_68
.LBB232_100:                            ;   in Loop: Header=BB232_61 Depth=1
	v_mov_b32_e32 v9, s47
	ds_load_b32 v9, v9
	s_waitcnt lgkmcnt(0)
	v_add_nc_u32_e32 v8, v9, v8
	s_or_b32 exec_lo, exec_lo, s73
	s_and_saveexec_b32 s73, s7
	s_cbranch_execz .LBB232_69
.LBB232_101:                            ;   in Loop: Header=BB232_61 Depth=1
	v_mov_b32_e32 v9, s48
	ds_load_b32 v9, v9
	s_waitcnt lgkmcnt(0)
	v_add_nc_u32_e32 v8, v9, v8
	s_or_b32 exec_lo, exec_lo, s73
	s_and_saveexec_b32 s73, s8
	s_cbranch_execz .LBB232_70
.LBB232_102:                            ;   in Loop: Header=BB232_61 Depth=1
	v_mov_b32_e32 v9, s49
	ds_load_b32 v9, v9
	s_waitcnt lgkmcnt(0)
	v_add_nc_u32_e32 v8, v9, v8
	s_or_b32 exec_lo, exec_lo, s73
	s_and_saveexec_b32 s73, s9
	s_cbranch_execz .LBB232_71
.LBB232_103:                            ;   in Loop: Header=BB232_61 Depth=1
	v_mov_b32_e32 v9, s50
	ds_load_b32 v9, v9
	s_waitcnt lgkmcnt(0)
	v_add_nc_u32_e32 v8, v9, v8
	s_or_b32 exec_lo, exec_lo, s73
	s_and_saveexec_b32 s73, s10
	s_cbranch_execz .LBB232_72
.LBB232_104:                            ;   in Loop: Header=BB232_61 Depth=1
	v_mov_b32_e32 v9, s51
	ds_load_b32 v9, v9
	s_waitcnt lgkmcnt(0)
	v_add_nc_u32_e32 v8, v9, v8
	s_or_b32 exec_lo, exec_lo, s73
	s_and_saveexec_b32 s73, s11
	s_cbranch_execz .LBB232_73
.LBB232_105:                            ;   in Loop: Header=BB232_61 Depth=1
	v_mov_b32_e32 v9, s52
	ds_load_b32 v9, v9
	s_waitcnt lgkmcnt(0)
	v_add_nc_u32_e32 v8, v9, v8
	s_or_b32 exec_lo, exec_lo, s73
	s_and_saveexec_b32 s73, s12
	s_cbranch_execz .LBB232_74
.LBB232_106:                            ;   in Loop: Header=BB232_61 Depth=1
	v_mov_b32_e32 v9, s53
	ds_load_b32 v9, v9
	s_waitcnt lgkmcnt(0)
	v_add_nc_u32_e32 v8, v9, v8
	s_or_b32 exec_lo, exec_lo, s73
	s_and_saveexec_b32 s73, s13
	s_cbranch_execz .LBB232_75
.LBB232_107:                            ;   in Loop: Header=BB232_61 Depth=1
	v_mov_b32_e32 v9, s54
	ds_load_b32 v9, v9
	s_waitcnt lgkmcnt(0)
	v_add_nc_u32_e32 v8, v9, v8
	s_or_b32 exec_lo, exec_lo, s73
	s_and_saveexec_b32 s73, s14
	s_cbranch_execz .LBB232_76
.LBB232_108:                            ;   in Loop: Header=BB232_61 Depth=1
	v_mov_b32_e32 v9, s55
	ds_load_b32 v9, v9
	s_waitcnt lgkmcnt(0)
	v_add_nc_u32_e32 v8, v9, v8
	s_or_b32 exec_lo, exec_lo, s73
	s_and_saveexec_b32 s73, s15
	s_cbranch_execz .LBB232_77
.LBB232_109:                            ;   in Loop: Header=BB232_61 Depth=1
	v_mov_b32_e32 v9, s56
	ds_load_b32 v9, v9
	s_waitcnt lgkmcnt(0)
	v_add_nc_u32_e32 v8, v9, v8
	s_or_b32 exec_lo, exec_lo, s73
	s_and_saveexec_b32 s73, s16
	s_cbranch_execz .LBB232_78
.LBB232_110:                            ;   in Loop: Header=BB232_61 Depth=1
	v_mov_b32_e32 v9, s57
	ds_load_b32 v9, v9
	s_waitcnt lgkmcnt(0)
	v_add_nc_u32_e32 v8, v9, v8
	s_or_b32 exec_lo, exec_lo, s73
	s_and_saveexec_b32 s73, s17
	s_cbranch_execz .LBB232_79
.LBB232_111:                            ;   in Loop: Header=BB232_61 Depth=1
	v_mov_b32_e32 v9, s58
	ds_load_b32 v9, v9
	s_waitcnt lgkmcnt(0)
	v_add_nc_u32_e32 v8, v9, v8
	s_or_b32 exec_lo, exec_lo, s73
	s_and_saveexec_b32 s73, s18
	s_cbranch_execz .LBB232_80
.LBB232_112:                            ;   in Loop: Header=BB232_61 Depth=1
	v_mov_b32_e32 v9, s59
	ds_load_b32 v9, v9
	s_waitcnt lgkmcnt(0)
	v_add_nc_u32_e32 v8, v9, v8
	s_or_b32 exec_lo, exec_lo, s73
	s_and_saveexec_b32 s73, s19
	s_cbranch_execz .LBB232_81
.LBB232_113:                            ;   in Loop: Header=BB232_61 Depth=1
	v_mov_b32_e32 v9, s60
	ds_load_b32 v9, v9
	s_waitcnt lgkmcnt(0)
	v_add_nc_u32_e32 v8, v9, v8
	s_or_b32 exec_lo, exec_lo, s73
	s_and_saveexec_b32 s73, s20
	s_cbranch_execz .LBB232_82
.LBB232_114:                            ;   in Loop: Header=BB232_61 Depth=1
	v_mov_b32_e32 v9, s61
	ds_load_b32 v9, v9
	s_waitcnt lgkmcnt(0)
	v_add_nc_u32_e32 v8, v9, v8
	s_or_b32 exec_lo, exec_lo, s73
	s_and_saveexec_b32 s73, s21
	s_cbranch_execz .LBB232_83
.LBB232_115:                            ;   in Loop: Header=BB232_61 Depth=1
	v_mov_b32_e32 v9, s62
	ds_load_b32 v9, v9
	s_waitcnt lgkmcnt(0)
	v_add_nc_u32_e32 v8, v9, v8
	s_or_b32 exec_lo, exec_lo, s73
	s_and_saveexec_b32 s73, s22
	s_cbranch_execz .LBB232_84
.LBB232_116:                            ;   in Loop: Header=BB232_61 Depth=1
	v_mov_b32_e32 v9, s63
	ds_load_b32 v9, v9
	s_waitcnt lgkmcnt(0)
	v_add_nc_u32_e32 v8, v9, v8
	s_or_b32 exec_lo, exec_lo, s73
	s_and_saveexec_b32 s73, s23
	s_cbranch_execz .LBB232_85
.LBB232_117:                            ;   in Loop: Header=BB232_61 Depth=1
	v_mov_b32_e32 v9, s64
	ds_load_b32 v9, v9
	s_waitcnt lgkmcnt(0)
	v_add_nc_u32_e32 v8, v9, v8
	s_or_b32 exec_lo, exec_lo, s73
	s_and_saveexec_b32 s73, s24
	s_cbranch_execz .LBB232_86
.LBB232_118:                            ;   in Loop: Header=BB232_61 Depth=1
	v_mov_b32_e32 v9, s65
	ds_load_b32 v9, v9
	s_waitcnt lgkmcnt(0)
	v_add_nc_u32_e32 v8, v9, v8
	s_or_b32 exec_lo, exec_lo, s73
	s_and_saveexec_b32 s73, s25
	s_cbranch_execz .LBB232_87
.LBB232_119:                            ;   in Loop: Header=BB232_61 Depth=1
	v_mov_b32_e32 v9, s66
	ds_load_b32 v9, v9
	s_waitcnt lgkmcnt(0)
	v_add_nc_u32_e32 v8, v9, v8
	s_or_b32 exec_lo, exec_lo, s73
	s_and_saveexec_b32 s73, s26
	s_cbranch_execz .LBB232_88
.LBB232_120:                            ;   in Loop: Header=BB232_61 Depth=1
	v_mov_b32_e32 v9, s67
	ds_load_b32 v9, v9
	s_waitcnt lgkmcnt(0)
	v_add_nc_u32_e32 v8, v9, v8
	s_or_b32 exec_lo, exec_lo, s73
	s_and_saveexec_b32 s73, s27
	s_cbranch_execz .LBB232_89
.LBB232_121:                            ;   in Loop: Header=BB232_61 Depth=1
	v_mov_b32_e32 v9, s69
	ds_load_b32 v9, v9
	s_waitcnt lgkmcnt(0)
	v_add_nc_u32_e32 v8, v9, v8
	s_or_b32 exec_lo, exec_lo, s73
	s_and_saveexec_b32 s73, s28
	s_cbranch_execz .LBB232_90
.LBB232_122:                            ;   in Loop: Header=BB232_61 Depth=1
	v_mov_b32_e32 v9, s70
	ds_load_b32 v9, v9
	s_waitcnt lgkmcnt(0)
	v_add_nc_u32_e32 v8, v9, v8
	s_or_b32 exec_lo, exec_lo, s73
	s_and_saveexec_b32 s73, s29
	s_cbranch_execz .LBB232_91
.LBB232_123:                            ;   in Loop: Header=BB232_61 Depth=1
	v_mov_b32_e32 v9, s71
	ds_load_b32 v9, v9
	s_waitcnt lgkmcnt(0)
	v_add_nc_u32_e32 v8, v9, v8
	s_or_b32 exec_lo, exec_lo, s73
	s_and_saveexec_b32 s73, s30
	s_cbranch_execz .LBB232_92
.LBB232_124:                            ;   in Loop: Header=BB232_61 Depth=1
	v_mov_b32_e32 v9, s72
	ds_load_b32 v9, v9
	s_waitcnt lgkmcnt(0)
	v_add_nc_u32_e32 v8, v9, v8
	s_or_b32 exec_lo, exec_lo, s73
	s_and_saveexec_b32 s73, s31
	s_cbranch_execz .LBB232_93
.LBB232_125:                            ;   in Loop: Header=BB232_61 Depth=1
	scratch_load_b128 v[9:12], off, off
	v_add3_u32 v13, v5, -1, v8
	s_delay_alu instid0(VALU_DEP_1) | instskip(SKIP_1) | instid1(VALU_DEP_2)
	v_lshlrev_b32_e32 v14, 4, v13
	v_lshl_add_u32 v13, v13, 2, 0
	v_add3_u32 v14, 0, v14, 0x8000
	ds_store_b32 v13, v7
	s_waitcnt vmcnt(0)
	ds_store_2addr_b64 v14, v[9:10], v[11:12] offset1:1
	s_or_b32 exec_lo, exec_lo, s73
	s_and_saveexec_b32 s31, vcc_lo
	s_cbranch_execz .LBB232_60
.LBB232_126:                            ;   in Loop: Header=BB232_61 Depth=1
	v_mov_b32_e32 v7, s68
	ds_store_b32 v7, v8
	s_branch .LBB232_60
.LBB232_127:
	s_or_b32 exec_lo, exec_lo, s35
	s_ashr_i32 s35, s34, 31
	s_mov_b32 s4, exec_lo
	s_lshl_b64 s[0:1], s[34:35], 3
	s_delay_alu instid0(SALU_CYCLE_1) | instskip(SKIP_4) | instid1(SALU_CYCLE_1)
	s_add_u32 s0, s40, s0
	s_addc_u32 s1, s41, s1
	s_load_b128 s[0:3], s[0:1], 0x0
	s_waitcnt lgkmcnt(0)
	s_sub_i32 s3, s2, s0
	v_cmpx_gt_i32_e64 s3, v0
	s_cbranch_execz .LBB232_137
; %bb.128:
	s_sub_u32 s4, s0, s38
	s_subb_u32 s5, s1, 0
	s_sub_i32 s0, s0, s2
	s_and_b32 s1, s3, 7
	s_cmp_lt_u32 s0, -7
	s_mov_b32 s8, 0
	s_cselect_b32 s2, -1, 0
	s_and_b32 s6, s3, -8
	s_cmp_lg_u32 s1, 0
	s_cselect_b32 s7, -1, 0
	s_branch .LBB232_130
.LBB232_129:                            ;   in Loop: Header=BB232_130 Depth=1
	s_waitcnt lgkmcnt(0)
	v_mul_lo_u32 v4, v0, 12
	v_lshlrev_b64 v[1:2], 4, v[1:2]
	v_add_nc_u32_e32 v0, 0x400, v0
	s_delay_alu instid0(VALU_DEP_1) | instskip(NEXT) | instid1(VALU_DEP_4)
	v_cmp_le_i32_e32 vcc_lo, s3, v0
	v_add3_u32 v3, v3, v4, 0x8000
	s_delay_alu instid0(VALU_DEP_4) | instskip(NEXT) | instid1(VALU_DEP_1)
	v_add_co_u32 v1, s0, s36, v1
	v_add_co_ci_u32_e64 v2, s0, s37, v2, s0
	ds_load_2addr_b64 v[3:6], v3 offset1:1
	s_or_b32 s8, vcc_lo, s8
	s_waitcnt lgkmcnt(0)
	global_store_b128 v[1:2], v[3:6], off
	s_and_not1_b32 exec_lo, exec_lo, s8
	s_cbranch_execz .LBB232_137
.LBB232_130:                            ; =>This Loop Header: Depth=1
                                        ;     Child Loop BB232_132 Depth 2
                                        ;     Child Loop BB232_136 Depth 2
	v_lshl_add_u32 v3, v0, 2, 0
	v_dual_mov_b32 v1, s4 :: v_dual_mov_b32 v2, s5
	s_and_not1_b32 vcc_lo, exec_lo, s2
	s_mov_b32 s0, 0
	ds_load_b32 v4, v3
	s_cbranch_vccnz .LBB232_134
; %bb.131:                              ;   in Loop: Header=BB232_130 Depth=1
	v_dual_mov_b32 v1, s4 :: v_dual_mov_b32 v2, s5
	s_mov_b32 s9, 0
	s_mov_b32 s10, 0
.LBB232_132:                            ;   Parent Loop BB232_130 Depth=1
                                        ; =>  This Inner Loop Header: Depth=2
	s_delay_alu instid0(SALU_CYCLE_1)
	v_mov_b32_e32 v11, s10
	s_add_i32 s9, s9, 8
	s_add_i32 s10, s10, 32
	s_cmp_eq_u32 s6, s9
	ds_load_2addr_b32 v[5:6], v11 offset1:1
	ds_load_2addr_b32 v[7:8], v11 offset0:2 offset1:3
	ds_load_2addr_b32 v[9:10], v11 offset0:4 offset1:5
	;; [unrolled: 1-line block ×3, first 2 shown]
	s_waitcnt lgkmcnt(3)
	v_cmp_gt_i32_e32 vcc_lo, v4, v5
	v_cndmask_b32_e64 v5, 0, 1, vcc_lo
	v_cmp_gt_i32_e32 vcc_lo, v4, v6
	v_cndmask_b32_e64 v6, 0, 1, vcc_lo
	s_waitcnt lgkmcnt(2)
	v_cmp_gt_i32_e32 vcc_lo, v4, v7
	v_cndmask_b32_e64 v7, 0, 1, vcc_lo
	v_cmp_gt_i32_e32 vcc_lo, v4, v8
	v_cndmask_b32_e64 v8, 0, 1, vcc_lo
	s_waitcnt lgkmcnt(1)
	v_cmp_gt_i32_e32 vcc_lo, v4, v9
	v_cndmask_b32_e64 v9, 0, 1, vcc_lo
	v_add_co_u32 v1, vcc_lo, v1, v5
	v_add_co_ci_u32_e32 v2, vcc_lo, 0, v2, vcc_lo
	v_cmp_gt_i32_e32 vcc_lo, v4, v10
	s_delay_alu instid0(VALU_DEP_3) | instskip(NEXT) | instid1(VALU_DEP_1)
	v_add_co_u32 v1, s0, v1, v6
	v_add_co_ci_u32_e64 v2, s0, 0, v2, s0
	v_cndmask_b32_e64 v5, 0, 1, vcc_lo
	s_delay_alu instid0(VALU_DEP_3) | instskip(NEXT) | instid1(VALU_DEP_3)
	v_add_co_u32 v1, vcc_lo, v1, v7
	v_add_co_ci_u32_e32 v2, vcc_lo, 0, v2, vcc_lo
	s_waitcnt lgkmcnt(0)
	v_cmp_gt_i32_e32 vcc_lo, v4, v11
	s_delay_alu instid0(VALU_DEP_3) | instskip(NEXT) | instid1(VALU_DEP_1)
	v_add_co_u32 v1, s0, v1, v8
	v_add_co_ci_u32_e64 v2, s0, 0, v2, s0
	v_cndmask_b32_e64 v6, 0, 1, vcc_lo
	s_delay_alu instid0(VALU_DEP_3) | instskip(NEXT) | instid1(VALU_DEP_3)
	v_add_co_u32 v1, vcc_lo, v1, v9
	v_add_co_ci_u32_e32 v2, vcc_lo, 0, v2, vcc_lo
	v_cmp_gt_i32_e32 vcc_lo, v4, v12
	s_delay_alu instid0(VALU_DEP_3) | instskip(NEXT) | instid1(VALU_DEP_1)
	v_add_co_u32 v1, s0, v1, v5
	v_add_co_ci_u32_e64 v2, s0, 0, v2, s0
	v_cndmask_b32_e64 v5, 0, 1, vcc_lo
	s_delay_alu instid0(VALU_DEP_3) | instskip(NEXT) | instid1(VALU_DEP_3)
	v_add_co_u32 v1, vcc_lo, v1, v6
	v_add_co_ci_u32_e32 v2, vcc_lo, 0, v2, vcc_lo
	s_delay_alu instid0(VALU_DEP_2) | instskip(NEXT) | instid1(VALU_DEP_2)
	v_add_co_u32 v1, vcc_lo, v1, v5
	v_add_co_ci_u32_e32 v2, vcc_lo, 0, v2, vcc_lo
	s_cbranch_scc0 .LBB232_132
; %bb.133:                              ;   in Loop: Header=BB232_130 Depth=1
	s_mov_b32 s0, s6
.LBB232_134:                            ;   in Loop: Header=BB232_130 Depth=1
	s_and_not1_b32 vcc_lo, exec_lo, s7
	s_cbranch_vccnz .LBB232_129
; %bb.135:                              ;   in Loop: Header=BB232_130 Depth=1
	s_lshl_b32 s0, s0, 2
	s_mov_b32 s9, s1
	s_add_i32 s0, s0, 0
.LBB232_136:                            ;   Parent Loop BB232_130 Depth=1
                                        ; =>  This Inner Loop Header: Depth=2
	s_delay_alu instid0(SALU_CYCLE_1)
	v_mov_b32_e32 v5, s0
	s_add_i32 s9, s9, -1
	s_add_i32 s0, s0, 4
	s_cmp_lg_u32 s9, 0
	ds_load_b32 v5, v5
	s_waitcnt lgkmcnt(0)
	v_cmp_gt_i32_e32 vcc_lo, v4, v5
	v_cndmask_b32_e64 v5, 0, 1, vcc_lo
	s_delay_alu instid0(VALU_DEP_1)
	v_add_co_u32 v1, vcc_lo, v1, v5
	v_add_co_ci_u32_e32 v2, vcc_lo, 0, v2, vcc_lo
	s_cbranch_scc1 .LBB232_136
	s_branch .LBB232_129
.LBB232_137:
	s_nop 0
	s_sendmsg sendmsg(MSG_DEALLOC_VGPRS)
	s_endpgm
	.section	.rodata,"a",@progbits
	.p2align	6, 0x0
	.amdhsa_kernel _ZN9rocsparseL41csrgemm_numeric_fill_block_per_row_kernelILj1024ELj64ELj8192ELj137ELj32Eli21rocsparse_complex_numIdEEEvT5_PKS3_S5_NS_24const_host_device_scalarIT6_EEPKT4_S5_PKS7_SB_S5_SD_S8_SB_S5_SD_SB_S5_PS7_21rocsparse_index_base_SF_SF_SF_bbb
		.amdhsa_group_segment_fixed_size 0
		.amdhsa_private_segment_fixed_size 40
		.amdhsa_kernarg_size 172
		.amdhsa_user_sgpr_count 15
		.amdhsa_user_sgpr_dispatch_ptr 0
		.amdhsa_user_sgpr_queue_ptr 0
		.amdhsa_user_sgpr_kernarg_segment_ptr 1
		.amdhsa_user_sgpr_dispatch_id 0
		.amdhsa_user_sgpr_private_segment_size 0
		.amdhsa_wavefront_size32 1
		.amdhsa_uses_dynamic_stack 0
		.amdhsa_enable_private_segment 1
		.amdhsa_system_sgpr_workgroup_id_x 1
		.amdhsa_system_sgpr_workgroup_id_y 0
		.amdhsa_system_sgpr_workgroup_id_z 0
		.amdhsa_system_sgpr_workgroup_info 0
		.amdhsa_system_vgpr_workitem_id 0
		.amdhsa_next_free_vgpr 34
		.amdhsa_next_free_sgpr 74
		.amdhsa_reserve_vcc 1
		.amdhsa_float_round_mode_32 0
		.amdhsa_float_round_mode_16_64 0
		.amdhsa_float_denorm_mode_32 3
		.amdhsa_float_denorm_mode_16_64 3
		.amdhsa_dx10_clamp 1
		.amdhsa_ieee_mode 1
		.amdhsa_fp16_overflow 0
		.amdhsa_workgroup_processor_mode 1
		.amdhsa_memory_ordered 1
		.amdhsa_forward_progress 0
		.amdhsa_shared_vgpr_count 0
		.amdhsa_exception_fp_ieee_invalid_op 0
		.amdhsa_exception_fp_denorm_src 0
		.amdhsa_exception_fp_ieee_div_zero 0
		.amdhsa_exception_fp_ieee_overflow 0
		.amdhsa_exception_fp_ieee_underflow 0
		.amdhsa_exception_fp_ieee_inexact 0
		.amdhsa_exception_int_div_zero 0
	.end_amdhsa_kernel
	.section	.text._ZN9rocsparseL41csrgemm_numeric_fill_block_per_row_kernelILj1024ELj64ELj8192ELj137ELj32Eli21rocsparse_complex_numIdEEEvT5_PKS3_S5_NS_24const_host_device_scalarIT6_EEPKT4_S5_PKS7_SB_S5_SD_S8_SB_S5_SD_SB_S5_PS7_21rocsparse_index_base_SF_SF_SF_bbb,"axG",@progbits,_ZN9rocsparseL41csrgemm_numeric_fill_block_per_row_kernelILj1024ELj64ELj8192ELj137ELj32Eli21rocsparse_complex_numIdEEEvT5_PKS3_S5_NS_24const_host_device_scalarIT6_EEPKT4_S5_PKS7_SB_S5_SD_S8_SB_S5_SD_SB_S5_PS7_21rocsparse_index_base_SF_SF_SF_bbb,comdat
.Lfunc_end232:
	.size	_ZN9rocsparseL41csrgemm_numeric_fill_block_per_row_kernelILj1024ELj64ELj8192ELj137ELj32Eli21rocsparse_complex_numIdEEEvT5_PKS3_S5_NS_24const_host_device_scalarIT6_EEPKT4_S5_PKS7_SB_S5_SD_S8_SB_S5_SD_SB_S5_PS7_21rocsparse_index_base_SF_SF_SF_bbb, .Lfunc_end232-_ZN9rocsparseL41csrgemm_numeric_fill_block_per_row_kernelILj1024ELj64ELj8192ELj137ELj32Eli21rocsparse_complex_numIdEEEvT5_PKS3_S5_NS_24const_host_device_scalarIT6_EEPKT4_S5_PKS7_SB_S5_SD_S8_SB_S5_SD_SB_S5_PS7_21rocsparse_index_base_SF_SF_SF_bbb
                                        ; -- End function
	.section	.AMDGPU.csdata,"",@progbits
; Kernel info:
; codeLenInByte = 5716
; NumSgprs: 76
; NumVgprs: 34
; ScratchSize: 40
; MemoryBound: 0
; FloatMode: 240
; IeeeMode: 1
; LDSByteSize: 0 bytes/workgroup (compile time only)
; SGPRBlocks: 9
; VGPRBlocks: 4
; NumSGPRsForWavesPerEU: 76
; NumVGPRsForWavesPerEU: 34
; Occupancy: 16
; WaveLimiterHint : 1
; COMPUTE_PGM_RSRC2:SCRATCH_EN: 1
; COMPUTE_PGM_RSRC2:USER_SGPR: 15
; COMPUTE_PGM_RSRC2:TRAP_HANDLER: 0
; COMPUTE_PGM_RSRC2:TGID_X_EN: 1
; COMPUTE_PGM_RSRC2:TGID_Y_EN: 0
; COMPUTE_PGM_RSRC2:TGID_Z_EN: 0
; COMPUTE_PGM_RSRC2:TIDIG_COMP_CNT: 0
	.section	.text._ZN9rocsparseL41csrgemm_numeric_fill_block_per_row_kernelILj1024ELj64ELj8192ELj137ELj64Eli21rocsparse_complex_numIdEEEvT5_PKS3_S5_NS_24const_host_device_scalarIT6_EEPKT4_S5_PKS7_SB_S5_SD_S8_SB_S5_SD_SB_S5_PS7_21rocsparse_index_base_SF_SF_SF_bbb,"axG",@progbits,_ZN9rocsparseL41csrgemm_numeric_fill_block_per_row_kernelILj1024ELj64ELj8192ELj137ELj64Eli21rocsparse_complex_numIdEEEvT5_PKS3_S5_NS_24const_host_device_scalarIT6_EEPKT4_S5_PKS7_SB_S5_SD_S8_SB_S5_SD_SB_S5_PS7_21rocsparse_index_base_SF_SF_SF_bbb,comdat
	.globl	_ZN9rocsparseL41csrgemm_numeric_fill_block_per_row_kernelILj1024ELj64ELj8192ELj137ELj64Eli21rocsparse_complex_numIdEEEvT5_PKS3_S5_NS_24const_host_device_scalarIT6_EEPKT4_S5_PKS7_SB_S5_SD_S8_SB_S5_SD_SB_S5_PS7_21rocsparse_index_base_SF_SF_SF_bbb ; -- Begin function _ZN9rocsparseL41csrgemm_numeric_fill_block_per_row_kernelILj1024ELj64ELj8192ELj137ELj64Eli21rocsparse_complex_numIdEEEvT5_PKS3_S5_NS_24const_host_device_scalarIT6_EEPKT4_S5_PKS7_SB_S5_SD_S8_SB_S5_SD_SB_S5_PS7_21rocsparse_index_base_SF_SF_SF_bbb
	.p2align	8
	.type	_ZN9rocsparseL41csrgemm_numeric_fill_block_per_row_kernelILj1024ELj64ELj8192ELj137ELj64Eli21rocsparse_complex_numIdEEEvT5_PKS3_S5_NS_24const_host_device_scalarIT6_EEPKT4_S5_PKS7_SB_S5_SD_S8_SB_S5_SD_SB_S5_PS7_21rocsparse_index_base_SF_SF_SF_bbb,@function
_ZN9rocsparseL41csrgemm_numeric_fill_block_per_row_kernelILj1024ELj64ELj8192ELj137ELj64Eli21rocsparse_complex_numIdEEEvT5_PKS3_S5_NS_24const_host_device_scalarIT6_EEPKT4_S5_PKS7_SB_S5_SD_S8_SB_S5_SD_SB_S5_PS7_21rocsparse_index_base_SF_SF_SF_bbb: ; @_ZN9rocsparseL41csrgemm_numeric_fill_block_per_row_kernelILj1024ELj64ELj8192ELj137ELj64Eli21rocsparse_complex_numIdEEEvT5_PKS3_S5_NS_24const_host_device_scalarIT6_EEPKT4_S5_PKS7_SB_S5_SD_S8_SB_S5_SD_SB_S5_PS7_21rocsparse_index_base_SF_SF_SF_bbb
; %bb.0:
	s_clause 0x3
	s_load_b32 s13, s[0:1], 0xa8
	s_load_b256 s[4:11], s[0:1], 0x8
	s_load_b128 s[20:23], s[0:1], 0x58
	s_load_b128 s[16:19], s[0:1], 0x98
	v_mov_b32_e32 v1, 0
	v_mov_b32_e32 v2, 0
	s_waitcnt lgkmcnt(0)
	s_bitcmp1_b32 s13, 0
	v_mov_b32_e32 v3, s8
	s_cselect_b32 s3, -1, 0
	s_bitcmp1_b32 s13, 16
	v_dual_mov_b32 v6, v2 :: v_dual_mov_b32 v5, v1
	s_cselect_b32 s2, -1, 0
	v_mov_b32_e32 v4, s9
	s_xor_b32 s12, s2, -1
	v_dual_mov_b32 v9, s20 :: v_dual_mov_b32 v10, s21
	v_cndmask_b32_e64 v7, 0, 1, s12
	s_bitcmp0_b32 s13, 0
	s_clause 0x1
	scratch_store_b64 off, v[3:4], off offset:16
	scratch_store_b64 off, v[9:10], off offset:24
	v_cmp_ne_u32_e32 vcc_lo, 1, v7
	v_dual_mov_b32 v8, v2 :: v_dual_mov_b32 v7, v1
	s_cbranch_scc1 .LBB233_3
; %bb.1:
	s_mov_b64 s[24:25], src_private_base
	s_and_b32 s14, s2, exec_lo
	s_cselect_b32 s14, s25, s9
	s_delay_alu instid0(SALU_CYCLE_1) | instskip(SKIP_2) | instid1(VALU_DEP_2)
	v_dual_mov_b32 v3, 16 :: v_dual_mov_b32 v4, s14
	v_dual_mov_b32 v7, s10 :: v_dual_mov_b32 v8, s11
	s_and_b32 vcc_lo, exec_lo, vcc_lo
	v_cndmask_b32_e64 v3, s8, v3, s2
	flat_load_b64 v[5:6], v[3:4]
	s_cbranch_vccnz .LBB233_3
; %bb.2:
	v_dual_mov_b32 v3, s8 :: v_dual_mov_b32 v4, s9
	flat_load_b64 v[7:8], v[3:4] offset:8
.LBB233_3:
	s_bitcmp1_b32 s13, 8
	v_dual_mov_b32 v4, v2 :: v_dual_mov_b32 v3, v1
	s_cselect_b32 s14, -1, 0
	s_bfe_u32 s8, s13, 0x10008
	s_delay_alu instid0(SALU_CYCLE_1)
	s_cmp_eq_u32 s8, 0
	s_cbranch_scc1 .LBB233_6
; %bb.4:
	s_mov_b64 s[8:9], src_private_base
	s_and_b32 s8, s2, exec_lo
	s_cselect_b32 s8, s9, s21
	s_delay_alu instid0(SALU_CYCLE_1) | instskip(SKIP_1) | instid1(VALU_DEP_1)
	v_dual_mov_b32 v1, 24 :: v_dual_mov_b32 v2, s8
	s_and_not1_b32 vcc_lo, exec_lo, s12
	v_cndmask_b32_e64 v1, s20, v1, s2
	flat_load_b64 v[3:4], v[1:2]
	v_dual_mov_b32 v1, s22 :: v_dual_mov_b32 v2, s23
	s_cbranch_vccnz .LBB233_6
; %bb.5:
	v_dual_mov_b32 v1, s20 :: v_dual_mov_b32 v2, s21
	flat_load_b64 v[1:2], v[1:2] offset:8
.LBB233_6:
	s_load_b32 s24, s[0:1], 0x0
	s_mov_b32 s8, 0
	v_lshl_add_u32 v25, v0, 2, 0
	s_mov_b32 s9, s8
	v_lshlrev_b32_e32 v26, 4, v0
	s_mov_b32 s10, s8
	s_mov_b32 s11, s8
	v_dual_mov_b32 v10, s9 :: v_dual_mov_b32 v9, s8
	s_delay_alu instid0(VALU_DEP_2) | instskip(SKIP_3) | instid1(VALU_DEP_4)
	v_add3_u32 v14, 0, 0x8000, v26
	v_mad_u32_u24 v13, v0, 12, v25
	v_dual_mov_b32 v12, s11 :: v_dual_mov_b32 v11, s10
	v_lshrrev_b32_e32 v27, 6, v0
	v_add_nc_u32_e32 v17, 0x8000, v14
	s_delay_alu instid0(VALU_DEP_4)
	v_add_nc_u32_e32 v15, 0x8000, v13
	v_mad_i32_i24 v13, v0, -12, v13
	s_waitcnt lgkmcnt(0)
	v_dual_mov_b32 v19, s24 :: v_dual_add_nc_u32 v16, 0x4000, v14
	v_mov_b32_e32 v18, s24
	v_dual_mov_b32 v20, s24 :: v_dual_mov_b32 v21, s24
	v_dual_mov_b32 v22, s24 :: v_dual_mov_b32 v23, s24
	ds_store_b32 v25, v18
	ds_store_2addr_b64 v15, v[9:10], v[11:12] offset1:1
	ds_store_2addr_stride64_b32 v13, v19, v20 offset0:16 offset1:32
	ds_store_2addr_b64 v16, v[9:10], v[11:12] offset1:1
	ds_store_2addr_b64 v17, v[9:10], v[11:12] offset1:1
	v_add_nc_u32_e32 v15, 0xc000, v14
	v_dual_mov_b32 v17, s24 :: v_dual_add_nc_u32 v16, 0x10000, v14
	v_add_nc_u32_e32 v18, 0x14000, v14
	v_add_nc_u32_e32 v20, 0x18000, v14
	;; [unrolled: 1-line block ×3, first 2 shown]
	ds_store_2addr_stride64_b32 v13, v21, v22 offset0:48 offset1:64
	ds_store_2addr_b64 v15, v[9:10], v[11:12] offset1:1
	ds_store_2addr_b64 v16, v[9:10], v[11:12] offset1:1
	ds_store_2addr_stride64_b32 v13, v17, v19 offset0:80 offset1:96
	ds_store_2addr_b64 v18, v[9:10], v[11:12] offset1:1
	ds_store_2addr_b64 v20, v[9:10], v[11:12] offset1:1
	ds_store_b32 v13, v23 offset:28672
	ds_store_2addr_b64 v14, v[9:10], v[11:12] offset1:1
	s_waitcnt vmcnt(0) lgkmcnt(0)
	s_waitcnt_vscnt null, 0x0
	s_barrier
	buffer_gl0_inv
	s_load_b32 s2, s[4:5], 0x0
	s_mov_b32 s5, s8
	s_waitcnt lgkmcnt(0)
	s_add_i32 s4, s2, s15
	s_delay_alu instid0(SALU_CYCLE_1) | instskip(NEXT) | instid1(SALU_CYCLE_1)
	s_lshl_b64 s[4:5], s[4:5], 2
	s_add_u32 s4, s6, s4
	s_addc_u32 s5, s7, s5
	s_and_not1_b32 vcc_lo, exec_lo, s3
	s_load_b32 s20, s[4:5], 0x0
	s_cbranch_vccnz .LBB233_34
; %bb.7:
	s_load_b64 s[2:3], s[0:1], 0x28
	s_waitcnt lgkmcnt(0)
	s_ashr_i32 s21, s20, 31
	s_mov_b32 s15, exec_lo
	s_lshl_b64 s[4:5], s[20:21], 3
	s_delay_alu instid0(SALU_CYCLE_1) | instskip(SKIP_3) | instid1(VALU_DEP_1)
	s_add_u32 s2, s2, s4
	s_addc_u32 s3, s3, s5
	s_load_b128 s[4:7], s[2:3], 0x0
	v_sub_co_u32 v9, s2, v27, s16
	v_sub_co_ci_u32_e64 v10, null, 0, 0, s2
	s_waitcnt lgkmcnt(0)
	s_delay_alu instid0(VALU_DEP_2) | instskip(NEXT) | instid1(VALU_DEP_2)
	v_add_co_u32 v9, vcc_lo, s4, v9
	v_add_co_ci_u32_e32 v10, vcc_lo, s5, v10, vcc_lo
	s_sub_u32 s2, s6, s16
	s_subb_u32 s3, s7, 0
	s_delay_alu instid0(VALU_DEP_1) | instid1(SALU_CYCLE_1)
	v_cmpx_gt_i64_e64 s[2:3], v[9:10]
	s_cbranch_execz .LBB233_33
; %bb.8:
	s_clause 0x1
	s_load_b64 s[12:13], s[0:1], 0x50
	s_load_b256 s[4:11], s[0:1], 0x30
	v_and_b32_e32 v11, 63, v0
	s_mov_b32 s22, s17
	s_delay_alu instid0(VALU_DEP_1) | instskip(NEXT) | instid1(VALU_DEP_1)
	v_sub_co_u32 v28, s21, v11, s17
	v_sub_co_ci_u32_e64 v29, null, 0, 0, s21
	s_mov_b32 s21, 0
	s_branch .LBB233_10
.LBB233_9:                              ;   in Loop: Header=BB233_10 Depth=1
	s_or_b32 exec_lo, exec_lo, s23
	v_add_co_u32 v9, vcc_lo, v9, 16
	v_add_co_ci_u32_e32 v10, vcc_lo, 0, v10, vcc_lo
	s_delay_alu instid0(VALU_DEP_1) | instskip(SKIP_1) | instid1(SALU_CYCLE_1)
	v_cmp_le_i64_e32 vcc_lo, s[2:3], v[9:10]
	s_or_b32 s21, vcc_lo, s21
	s_and_not1_b32 exec_lo, exec_lo, s21
	s_cbranch_execz .LBB233_33
.LBB233_10:                             ; =>This Loop Header: Depth=1
                                        ;     Child Loop BB233_13 Depth 2
                                        ;       Child Loop BB233_15 Depth 3
                                        ;         Child Loop BB233_21 Depth 4
                                        ;         Child Loop BB233_23 Depth 4
	;; [unrolled: 1-line block ×4, first 2 shown]
	v_lshlrev_b64 v[11:12], 2, v[9:10]
	s_mov_b32 s23, exec_lo
	s_waitcnt lgkmcnt(0)
	s_delay_alu instid0(VALU_DEP_1) | instskip(NEXT) | instid1(VALU_DEP_2)
	v_add_co_u32 v11, vcc_lo, s4, v11
	v_add_co_ci_u32_e32 v12, vcc_lo, s5, v12, vcc_lo
	global_load_b32 v11, v[11:12], off
	s_waitcnt vmcnt(0)
	v_subrev_nc_u32_e32 v11, s16, v11
	s_delay_alu instid0(VALU_DEP_1) | instskip(NEXT) | instid1(VALU_DEP_1)
	v_ashrrev_i32_e32 v12, 31, v11
	v_lshlrev_b64 v[11:12], 3, v[11:12]
	s_delay_alu instid0(VALU_DEP_1) | instskip(NEXT) | instid1(VALU_DEP_2)
	v_add_co_u32 v11, vcc_lo, s8, v11
	v_add_co_ci_u32_e32 v12, vcc_lo, s9, v12, vcc_lo
	global_load_b128 v[13:16], v[11:12], off
	s_waitcnt vmcnt(0)
	v_sub_co_u32 v11, vcc_lo, v15, s22
	v_subrev_co_ci_u32_e32 v12, vcc_lo, 0, v16, vcc_lo
	v_add_co_u32 v13, vcc_lo, v13, v28
	v_add_co_ci_u32_e32 v14, vcc_lo, v14, v29, vcc_lo
	s_delay_alu instid0(VALU_DEP_1)
	v_cmpx_lt_i64_e64 v[13:14], v[11:12]
	s_cbranch_execz .LBB233_9
; %bb.11:                               ;   in Loop: Header=BB233_10 Depth=1
	v_lshlrev_b64 v[15:16], 4, v[9:10]
	s_mov_b32 s25, 0
	s_delay_alu instid0(VALU_DEP_1) | instskip(NEXT) | instid1(VALU_DEP_2)
	v_add_co_u32 v15, vcc_lo, s6, v15
	v_add_co_ci_u32_e32 v16, vcc_lo, s7, v16, vcc_lo
	global_load_b128 v[17:20], v[15:16], off
	s_waitcnt vmcnt(0)
	v_mul_f64 v[15:16], v[19:20], -v[7:8]
	v_mul_f64 v[19:20], v[5:6], v[19:20]
	s_delay_alu instid0(VALU_DEP_2) | instskip(NEXT) | instid1(VALU_DEP_2)
	v_fma_f64 v[15:16], v[5:6], v[17:18], v[15:16]
	v_fma_f64 v[17:18], v[7:8], v[17:18], v[19:20]
	s_branch .LBB233_13
.LBB233_12:                             ;   in Loop: Header=BB233_13 Depth=2
	s_or_b32 exec_lo, exec_lo, s26
	v_add_co_u32 v13, vcc_lo, v13, 64
	v_add_co_ci_u32_e32 v14, vcc_lo, 0, v14, vcc_lo
	s_delay_alu instid0(VALU_DEP_1) | instskip(SKIP_1) | instid1(SALU_CYCLE_1)
	v_cmp_ge_i64_e32 vcc_lo, v[13:14], v[11:12]
	s_or_b32 s25, vcc_lo, s25
	s_and_not1_b32 exec_lo, exec_lo, s25
	s_cbranch_execz .LBB233_9
.LBB233_13:                             ;   Parent Loop BB233_10 Depth=1
                                        ; =>  This Loop Header: Depth=2
                                        ;       Child Loop BB233_15 Depth 3
                                        ;         Child Loop BB233_21 Depth 4
                                        ;         Child Loop BB233_23 Depth 4
                                        ;         Child Loop BB233_29 Depth 4
                                        ;         Child Loop BB233_31 Depth 4
	v_lshlrev_b64 v[19:20], 4, v[13:14]
	s_mov_b32 s26, 0
	s_delay_alu instid0(VALU_DEP_1) | instskip(NEXT) | instid1(VALU_DEP_2)
	v_add_co_u32 v19, vcc_lo, s12, v19
	v_add_co_ci_u32_e32 v20, vcc_lo, s13, v20, vcc_lo
	global_load_b128 v[21:24], v[19:20], off
	v_lshlrev_b64 v[19:20], 2, v[13:14]
	s_delay_alu instid0(VALU_DEP_1) | instskip(NEXT) | instid1(VALU_DEP_2)
	v_add_co_u32 v19, vcc_lo, s10, v19
	v_add_co_ci_u32_e32 v20, vcc_lo, s11, v20, vcc_lo
	global_load_b32 v30, v[19:20], off
	s_waitcnt vmcnt(1)
	v_mul_f64 v[19:20], v[23:24], -v[17:18]
	v_mul_f64 v[23:24], v[15:16], v[23:24]
	s_waitcnt vmcnt(0)
	v_subrev_nc_u32_e32 v30, s17, v30
	s_delay_alu instid0(VALU_DEP_3) | instskip(NEXT) | instid1(VALU_DEP_3)
	v_fma_f64 v[19:20], v[15:16], v[21:22], v[19:20]
	v_fma_f64 v[21:22], v[17:18], v[21:22], v[23:24]
	s_delay_alu instid0(VALU_DEP_3) | instskip(NEXT) | instid1(VALU_DEP_1)
	v_mul_lo_u32 v23, 0x89, v30
	v_and_b32_e32 v31, 0x1fff, v23
	s_branch .LBB233_15
.LBB233_14:                             ;   in Loop: Header=BB233_15 Depth=3
	s_or_b32 exec_lo, exec_lo, s27
	s_xor_b32 s27, s28, -1
	s_delay_alu instid0(SALU_CYCLE_1) | instskip(NEXT) | instid1(SALU_CYCLE_1)
	s_and_b32 s27, exec_lo, s27
	s_or_b32 s26, s27, s26
	s_delay_alu instid0(SALU_CYCLE_1)
	s_and_not1_b32 exec_lo, exec_lo, s26
	s_cbranch_execz .LBB233_12
.LBB233_15:                             ;   Parent Loop BB233_10 Depth=1
                                        ;     Parent Loop BB233_13 Depth=2
                                        ; =>    This Loop Header: Depth=3
                                        ;         Child Loop BB233_21 Depth 4
                                        ;         Child Loop BB233_23 Depth 4
	;; [unrolled: 1-line block ×4, first 2 shown]
	s_delay_alu instid0(VALU_DEP_1)
	v_lshl_add_u32 v23, v31, 2, 0
	s_mov_b32 s27, exec_lo
                                        ; implicit-def: $sgpr28
	ds_load_b32 v24, v23
	s_waitcnt lgkmcnt(0)
	v_cmpx_ne_u32_e64 v24, v30
	s_xor_b32 s27, exec_lo, s27
	s_cbranch_execz .LBB233_27
; %bb.16:                               ;   in Loop: Header=BB233_15 Depth=3
	s_mov_b32 s29, exec_lo
                                        ; implicit-def: $sgpr28
	v_cmpx_ne_u32_e64 s24, v24
	s_xor_b32 s29, exec_lo, s29
; %bb.17:                               ;   in Loop: Header=BB233_15 Depth=3
	v_add_nc_u32_e32 v23, 1, v31
	s_mov_b32 s28, -1
	s_delay_alu instid0(VALU_DEP_1)
	v_and_b32_e32 v31, 0x1fff, v23
                                        ; implicit-def: $vgpr23
; %bb.18:                               ;   in Loop: Header=BB233_15 Depth=3
	s_and_not1_saveexec_b32 s29, s29
	s_cbranch_execz .LBB233_26
; %bb.19:                               ;   in Loop: Header=BB233_15 Depth=3
	v_mov_b32_e32 v24, s24
	s_mov_b32 s31, -1
	s_mov_b32 s30, exec_lo
	ds_cmpstore_rtn_b32 v24, v23, v30, v24
	s_waitcnt lgkmcnt(0)
	v_cmpx_eq_u32_e64 s24, v24
	s_cbranch_execz .LBB233_25
; %bb.20:                               ;   in Loop: Header=BB233_15 Depth=3
	v_mul_lo_u32 v24, v31, 12
	s_mov_b32 s31, 0
	s_delay_alu instid0(VALU_DEP_1)
	v_add_nc_u32_e32 v32, v23, v24
	ds_load_b64 v[23:24], v32 offset:32768
.LBB233_21:                             ;   Parent Loop BB233_10 Depth=1
                                        ;     Parent Loop BB233_13 Depth=2
                                        ;       Parent Loop BB233_15 Depth=3
                                        ; =>      This Inner Loop Header: Depth=4
	s_waitcnt lgkmcnt(0)
	v_add_f64 v[33:34], v[23:24], v[19:20]
	ds_cmpstore_rtn_b64 v[33:34], v32, v[33:34], v[23:24] offset:32768
	s_waitcnt lgkmcnt(0)
	v_cmp_eq_u64_e32 vcc_lo, v[33:34], v[23:24]
	v_dual_mov_b32 v23, v33 :: v_dual_mov_b32 v24, v34
	s_or_b32 s31, vcc_lo, s31
	s_delay_alu instid0(SALU_CYCLE_1)
	s_and_not1_b32 exec_lo, exec_lo, s31
	s_cbranch_execnz .LBB233_21
; %bb.22:                               ;   in Loop: Header=BB233_15 Depth=3
	s_or_b32 exec_lo, exec_lo, s31
	ds_load_b64 v[23:24], v32 offset:32776
	s_mov_b32 s31, 0
.LBB233_23:                             ;   Parent Loop BB233_10 Depth=1
                                        ;     Parent Loop BB233_13 Depth=2
                                        ;       Parent Loop BB233_15 Depth=3
                                        ; =>      This Inner Loop Header: Depth=4
	s_waitcnt lgkmcnt(0)
	v_add_f64 v[33:34], v[23:24], v[21:22]
	ds_cmpstore_rtn_b64 v[33:34], v32, v[33:34], v[23:24] offset:32776
	s_waitcnt lgkmcnt(0)
	v_cmp_eq_u64_e32 vcc_lo, v[33:34], v[23:24]
	v_dual_mov_b32 v23, v33 :: v_dual_mov_b32 v24, v34
	s_or_b32 s31, vcc_lo, s31
	s_delay_alu instid0(SALU_CYCLE_1)
	s_and_not1_b32 exec_lo, exec_lo, s31
	s_cbranch_execnz .LBB233_23
; %bb.24:                               ;   in Loop: Header=BB233_15 Depth=3
	s_or_b32 exec_lo, exec_lo, s31
	s_delay_alu instid0(SALU_CYCLE_1)
	s_xor_b32 s31, exec_lo, -1
.LBB233_25:                             ;   in Loop: Header=BB233_15 Depth=3
	s_or_b32 exec_lo, exec_lo, s30
	s_delay_alu instid0(SALU_CYCLE_1) | instskip(SKIP_1) | instid1(SALU_CYCLE_1)
	s_and_not1_b32 s28, s28, exec_lo
	s_and_b32 s30, s31, exec_lo
	s_or_b32 s28, s28, s30
.LBB233_26:                             ;   in Loop: Header=BB233_15 Depth=3
	s_or_b32 exec_lo, exec_lo, s29
	s_delay_alu instid0(SALU_CYCLE_1)
	s_and_b32 s28, s28, exec_lo
                                        ; implicit-def: $vgpr23
.LBB233_27:                             ;   in Loop: Header=BB233_15 Depth=3
	s_and_not1_saveexec_b32 s27, s27
	s_cbranch_execz .LBB233_14
; %bb.28:                               ;   in Loop: Header=BB233_15 Depth=3
	v_mul_lo_u32 v24, v31, 12
	s_mov_b32 s29, 0
	s_delay_alu instid0(VALU_DEP_1)
	v_add_nc_u32_e32 v32, v23, v24
	ds_load_b64 v[23:24], v32 offset:32768
.LBB233_29:                             ;   Parent Loop BB233_10 Depth=1
                                        ;     Parent Loop BB233_13 Depth=2
                                        ;       Parent Loop BB233_15 Depth=3
                                        ; =>      This Inner Loop Header: Depth=4
	s_waitcnt lgkmcnt(0)
	v_add_f64 v[33:34], v[23:24], v[19:20]
	ds_cmpstore_rtn_b64 v[33:34], v32, v[33:34], v[23:24] offset:32768
	s_waitcnt lgkmcnt(0)
	v_cmp_eq_u64_e32 vcc_lo, v[33:34], v[23:24]
	v_dual_mov_b32 v23, v33 :: v_dual_mov_b32 v24, v34
	s_or_b32 s29, vcc_lo, s29
	s_delay_alu instid0(SALU_CYCLE_1)
	s_and_not1_b32 exec_lo, exec_lo, s29
	s_cbranch_execnz .LBB233_29
; %bb.30:                               ;   in Loop: Header=BB233_15 Depth=3
	s_or_b32 exec_lo, exec_lo, s29
	ds_load_b64 v[23:24], v32 offset:32776
	s_mov_b32 s29, 0
.LBB233_31:                             ;   Parent Loop BB233_10 Depth=1
                                        ;     Parent Loop BB233_13 Depth=2
                                        ;       Parent Loop BB233_15 Depth=3
                                        ; =>      This Inner Loop Header: Depth=4
	s_waitcnt lgkmcnt(0)
	v_add_f64 v[33:34], v[23:24], v[21:22]
	ds_cmpstore_rtn_b64 v[33:34], v32, v[33:34], v[23:24] offset:32776
	s_waitcnt lgkmcnt(0)
	v_cmp_eq_u64_e32 vcc_lo, v[33:34], v[23:24]
	v_dual_mov_b32 v23, v33 :: v_dual_mov_b32 v24, v34
	s_or_b32 s29, vcc_lo, s29
	s_delay_alu instid0(SALU_CYCLE_1)
	s_and_not1_b32 exec_lo, exec_lo, s29
	s_cbranch_execnz .LBB233_31
; %bb.32:                               ;   in Loop: Header=BB233_15 Depth=3
	s_or_b32 exec_lo, exec_lo, s29
	s_delay_alu instid0(SALU_CYCLE_1)
	s_and_not1_b32 s28, s28, exec_lo
	s_branch .LBB233_14
.LBB233_33:
	s_or_b32 exec_lo, exec_lo, s15
.LBB233_34:
	s_clause 0x1
	s_load_b64 s[16:17], s[0:1], 0x90
	s_load_b64 s[22:23], s[0:1], 0x80
	s_and_not1_b32 vcc_lo, exec_lo, s14
	s_cbranch_vccnz .LBB233_59
; %bb.35:
	s_load_b64 s[2:3], s[0:1], 0x68
	s_waitcnt lgkmcnt(0)
	s_ashr_i32 s21, s20, 31
	s_delay_alu instid0(SALU_CYCLE_1) | instskip(NEXT) | instid1(SALU_CYCLE_1)
	s_lshl_b64 s[4:5], s[20:21], 3
	s_add_u32 s2, s2, s4
	s_addc_u32 s3, s3, s5
	s_load_b128 s[4:7], s[2:3], 0x0
	v_sub_co_u32 v5, s2, v0, s19
	s_delay_alu instid0(VALU_DEP_1) | instskip(SKIP_1) | instid1(VALU_DEP_2)
	v_sub_co_ci_u32_e64 v6, null, 0, 0, s2
	s_waitcnt lgkmcnt(0)
	v_add_co_u32 v5, vcc_lo, s4, v5
	s_delay_alu instid0(VALU_DEP_2)
	v_add_co_ci_u32_e32 v6, vcc_lo, s5, v6, vcc_lo
	s_sub_u32 s4, s6, s19
	s_subb_u32 s5, s7, 0
	s_mov_b32 s7, 0
	s_mov_b32 s6, exec_lo
	v_cmpx_gt_i64_e64 s[4:5], v[5:6]
	s_cbranch_execz .LBB233_58
; %bb.36:
	s_load_b128 s[0:3], s[0:1], 0x70
	s_branch .LBB233_38
.LBB233_37:                             ;   in Loop: Header=BB233_38 Depth=1
	s_or_b32 exec_lo, exec_lo, s8
	v_add_co_u32 v5, vcc_lo, 0x400, v5
	v_add_co_ci_u32_e32 v6, vcc_lo, 0, v6, vcc_lo
	s_delay_alu instid0(VALU_DEP_1) | instskip(SKIP_1) | instid1(SALU_CYCLE_1)
	v_cmp_le_i64_e32 vcc_lo, s[4:5], v[5:6]
	s_or_b32 s7, vcc_lo, s7
	s_and_not1_b32 exec_lo, exec_lo, s7
	s_cbranch_execz .LBB233_58
.LBB233_38:                             ; =>This Loop Header: Depth=1
                                        ;     Child Loop BB233_40 Depth 2
                                        ;       Child Loop BB233_46 Depth 3
                                        ;       Child Loop BB233_48 Depth 3
	;; [unrolled: 1-line block ×4, first 2 shown]
	v_lshlrev_b64 v[7:8], 4, v[5:6]
	s_mov_b32 s8, 0
	s_waitcnt lgkmcnt(0)
	s_delay_alu instid0(VALU_DEP_1) | instskip(NEXT) | instid1(VALU_DEP_2)
	v_add_co_u32 v7, vcc_lo, s2, v7
	v_add_co_ci_u32_e32 v8, vcc_lo, s3, v8, vcc_lo
	global_load_b128 v[9:12], v[7:8], off
	v_lshlrev_b64 v[7:8], 2, v[5:6]
	s_delay_alu instid0(VALU_DEP_1) | instskip(NEXT) | instid1(VALU_DEP_2)
	v_add_co_u32 v7, vcc_lo, s0, v7
	v_add_co_ci_u32_e32 v8, vcc_lo, s1, v8, vcc_lo
	global_load_b32 v13, v[7:8], off
	s_waitcnt vmcnt(1)
	v_mul_f64 v[7:8], v[11:12], -v[1:2]
	v_mul_f64 v[11:12], v[3:4], v[11:12]
	s_waitcnt vmcnt(0)
	v_subrev_nc_u32_e32 v13, s19, v13
	s_delay_alu instid0(VALU_DEP_3) | instskip(NEXT) | instid1(VALU_DEP_3)
	v_fma_f64 v[7:8], v[3:4], v[9:10], v[7:8]
	v_fma_f64 v[9:10], v[1:2], v[9:10], v[11:12]
	s_delay_alu instid0(VALU_DEP_3) | instskip(NEXT) | instid1(VALU_DEP_1)
	v_mul_lo_u32 v11, 0x89, v13
	v_and_b32_e32 v14, 0x1fff, v11
	s_branch .LBB233_40
.LBB233_39:                             ;   in Loop: Header=BB233_40 Depth=2
	s_or_b32 exec_lo, exec_lo, s9
	s_xor_b32 s9, s10, -1
	s_delay_alu instid0(SALU_CYCLE_1) | instskip(NEXT) | instid1(SALU_CYCLE_1)
	s_and_b32 s9, exec_lo, s9
	s_or_b32 s8, s9, s8
	s_delay_alu instid0(SALU_CYCLE_1)
	s_and_not1_b32 exec_lo, exec_lo, s8
	s_cbranch_execz .LBB233_37
.LBB233_40:                             ;   Parent Loop BB233_38 Depth=1
                                        ; =>  This Loop Header: Depth=2
                                        ;       Child Loop BB233_46 Depth 3
                                        ;       Child Loop BB233_48 Depth 3
	;; [unrolled: 1-line block ×4, first 2 shown]
	s_delay_alu instid0(VALU_DEP_1)
	v_lshl_add_u32 v11, v14, 2, 0
	s_mov_b32 s9, exec_lo
                                        ; implicit-def: $sgpr10
	ds_load_b32 v12, v11
	s_waitcnt lgkmcnt(0)
	v_cmpx_ne_u32_e64 v12, v13
	s_xor_b32 s9, exec_lo, s9
	s_cbranch_execz .LBB233_52
; %bb.41:                               ;   in Loop: Header=BB233_40 Depth=2
	s_mov_b32 s11, exec_lo
                                        ; implicit-def: $sgpr10
	v_cmpx_ne_u32_e64 s24, v12
	s_xor_b32 s11, exec_lo, s11
; %bb.42:                               ;   in Loop: Header=BB233_40 Depth=2
	v_add_nc_u32_e32 v11, 1, v14
	s_mov_b32 s10, -1
	s_delay_alu instid0(VALU_DEP_1)
	v_and_b32_e32 v14, 0x1fff, v11
                                        ; implicit-def: $vgpr11
; %bb.43:                               ;   in Loop: Header=BB233_40 Depth=2
	s_and_not1_saveexec_b32 s11, s11
	s_cbranch_execz .LBB233_51
; %bb.44:                               ;   in Loop: Header=BB233_40 Depth=2
	v_mov_b32_e32 v12, s24
	s_mov_b32 s13, -1
	s_mov_b32 s12, exec_lo
	ds_cmpstore_rtn_b32 v12, v11, v13, v12
	s_waitcnt lgkmcnt(0)
	v_cmpx_eq_u32_e64 s24, v12
	s_cbranch_execz .LBB233_50
; %bb.45:                               ;   in Loop: Header=BB233_40 Depth=2
	v_mul_lo_u32 v12, v14, 12
	s_mov_b32 s13, 0
	s_delay_alu instid0(VALU_DEP_1)
	v_add_nc_u32_e32 v15, v11, v12
	ds_load_b64 v[11:12], v15 offset:32768
.LBB233_46:                             ;   Parent Loop BB233_38 Depth=1
                                        ;     Parent Loop BB233_40 Depth=2
                                        ; =>    This Inner Loop Header: Depth=3
	s_waitcnt lgkmcnt(0)
	v_add_f64 v[16:17], v[11:12], v[7:8]
	ds_cmpstore_rtn_b64 v[16:17], v15, v[16:17], v[11:12] offset:32768
	s_waitcnt lgkmcnt(0)
	v_cmp_eq_u64_e32 vcc_lo, v[16:17], v[11:12]
	v_dual_mov_b32 v11, v16 :: v_dual_mov_b32 v12, v17
	s_or_b32 s13, vcc_lo, s13
	s_delay_alu instid0(SALU_CYCLE_1)
	s_and_not1_b32 exec_lo, exec_lo, s13
	s_cbranch_execnz .LBB233_46
; %bb.47:                               ;   in Loop: Header=BB233_40 Depth=2
	s_or_b32 exec_lo, exec_lo, s13
	ds_load_b64 v[11:12], v15 offset:32776
	s_mov_b32 s13, 0
.LBB233_48:                             ;   Parent Loop BB233_38 Depth=1
                                        ;     Parent Loop BB233_40 Depth=2
                                        ; =>    This Inner Loop Header: Depth=3
	s_waitcnt lgkmcnt(0)
	v_add_f64 v[16:17], v[11:12], v[9:10]
	ds_cmpstore_rtn_b64 v[16:17], v15, v[16:17], v[11:12] offset:32776
	s_waitcnt lgkmcnt(0)
	v_cmp_eq_u64_e32 vcc_lo, v[16:17], v[11:12]
	v_dual_mov_b32 v11, v16 :: v_dual_mov_b32 v12, v17
	s_or_b32 s13, vcc_lo, s13
	s_delay_alu instid0(SALU_CYCLE_1)
	s_and_not1_b32 exec_lo, exec_lo, s13
	s_cbranch_execnz .LBB233_48
; %bb.49:                               ;   in Loop: Header=BB233_40 Depth=2
	s_or_b32 exec_lo, exec_lo, s13
	s_delay_alu instid0(SALU_CYCLE_1)
	s_xor_b32 s13, exec_lo, -1
.LBB233_50:                             ;   in Loop: Header=BB233_40 Depth=2
	s_or_b32 exec_lo, exec_lo, s12
	s_delay_alu instid0(SALU_CYCLE_1) | instskip(SKIP_1) | instid1(SALU_CYCLE_1)
	s_and_not1_b32 s10, s10, exec_lo
	s_and_b32 s12, s13, exec_lo
	s_or_b32 s10, s10, s12
.LBB233_51:                             ;   in Loop: Header=BB233_40 Depth=2
	s_or_b32 exec_lo, exec_lo, s11
	s_delay_alu instid0(SALU_CYCLE_1)
	s_and_b32 s10, s10, exec_lo
                                        ; implicit-def: $vgpr11
.LBB233_52:                             ;   in Loop: Header=BB233_40 Depth=2
	s_and_not1_saveexec_b32 s9, s9
	s_cbranch_execz .LBB233_39
; %bb.53:                               ;   in Loop: Header=BB233_40 Depth=2
	v_mul_lo_u32 v12, v14, 12
	s_mov_b32 s11, 0
	s_delay_alu instid0(VALU_DEP_1)
	v_add_nc_u32_e32 v15, v11, v12
	ds_load_b64 v[11:12], v15 offset:32768
.LBB233_54:                             ;   Parent Loop BB233_38 Depth=1
                                        ;     Parent Loop BB233_40 Depth=2
                                        ; =>    This Inner Loop Header: Depth=3
	s_waitcnt lgkmcnt(0)
	v_add_f64 v[16:17], v[11:12], v[7:8]
	ds_cmpstore_rtn_b64 v[16:17], v15, v[16:17], v[11:12] offset:32768
	s_waitcnt lgkmcnt(0)
	v_cmp_eq_u64_e32 vcc_lo, v[16:17], v[11:12]
	v_dual_mov_b32 v11, v16 :: v_dual_mov_b32 v12, v17
	s_or_b32 s11, vcc_lo, s11
	s_delay_alu instid0(SALU_CYCLE_1)
	s_and_not1_b32 exec_lo, exec_lo, s11
	s_cbranch_execnz .LBB233_54
; %bb.55:                               ;   in Loop: Header=BB233_40 Depth=2
	s_or_b32 exec_lo, exec_lo, s11
	ds_load_b64 v[11:12], v15 offset:32776
	s_mov_b32 s11, 0
.LBB233_56:                             ;   Parent Loop BB233_38 Depth=1
                                        ;     Parent Loop BB233_40 Depth=2
                                        ; =>    This Inner Loop Header: Depth=3
	s_waitcnt lgkmcnt(0)
	v_add_f64 v[16:17], v[11:12], v[9:10]
	ds_cmpstore_rtn_b64 v[16:17], v15, v[16:17], v[11:12] offset:32776
	s_waitcnt lgkmcnt(0)
	v_cmp_eq_u64_e32 vcc_lo, v[16:17], v[11:12]
	v_dual_mov_b32 v11, v16 :: v_dual_mov_b32 v12, v17
	s_or_b32 s11, vcc_lo, s11
	s_delay_alu instid0(SALU_CYCLE_1)
	s_and_not1_b32 exec_lo, exec_lo, s11
	s_cbranch_execnz .LBB233_56
; %bb.57:                               ;   in Loop: Header=BB233_40 Depth=2
	s_or_b32 exec_lo, exec_lo, s11
	s_delay_alu instid0(SALU_CYCLE_1)
	s_and_not1_b32 s10, s10, exec_lo
	s_branch .LBB233_39
.LBB233_58:
	s_or_b32 exec_lo, exec_lo, s6
.LBB233_59:
	v_mbcnt_lo_u32_b32 v1, -1, 0
	v_dual_mov_b32 v5, 0 :: v_dual_lshlrev_b32 v2, 2, v27
	s_add_i32 s36, 0, 0x2803c
	v_cmp_eq_u32_e32 vcc_lo, 0x3ff, v0
	s_delay_alu instid0(VALU_DEP_3) | instskip(NEXT) | instid1(VALU_DEP_3)
	v_xor_b32_e32 v1, 63, v1
	v_add3_u32 v3, 0, 0x28000, v2
	v_cmp_lt_u32_e64 s0, 63, v0
	v_cmp_lt_u32_e64 s1, 0x7f, v0
	;; [unrolled: 1-line block ×3, first 2 shown]
	v_lshrrev_b64 v[1:2], v1, -1
	v_cmp_lt_u32_e64 s3, 0xff, v0
	v_cmp_lt_u32_e64 s4, 0x13f, v0
	;; [unrolled: 1-line block ×12, first 2 shown]
	v_add3_u32 v2, v26, 0, 0x8000
	v_or_b32_e32 v4, 0xfffffc00, v0
	v_mov_b32_e32 v6, s36
	s_mov_b32 s19, 0
	s_add_i32 s21, 0, 0x28000
	s_add_i32 s25, 0, 0x28004
	;; [unrolled: 1-line block ×15, first 2 shown]
	s_waitcnt lgkmcnt(0)
	s_barrier
	buffer_gl0_inv
	s_branch .LBB233_61
.LBB233_60:                             ;   in Loop: Header=BB233_61 Depth=1
	s_or_b32 exec_lo, exec_lo, s15
	s_waitcnt lgkmcnt(0)
	s_barrier
	buffer_gl0_inv
	ds_load_b32 v7, v6
	v_add_nc_u32_e32 v4, 0x400, v4
	v_add_nc_u32_e32 v2, 0x4000, v2
	;; [unrolled: 1-line block ×3, first 2 shown]
	s_delay_alu instid0(VALU_DEP_3) | instskip(NEXT) | instid1(VALU_DEP_1)
	v_cmp_lt_u32_e64 s15, 0x1bff, v4
	s_or_b32 s19, s15, s19
	s_waitcnt lgkmcnt(0)
	v_add_nc_u32_e32 v5, v7, v5
	s_and_not1_b32 exec_lo, exec_lo, s19
	s_cbranch_execz .LBB233_95
.LBB233_61:                             ; =>This Inner Loop Header: Depth=1
	ds_load_b32 v7, v25
	ds_load_2addr_b64 v[8:11], v2 offset1:1
	s_waitcnt lgkmcnt(1)
	v_cmp_gt_i32_e64 s15, s24, v7
	s_waitcnt lgkmcnt(0)
	scratch_store_b128 off, v[8:11], off
	s_waitcnt_vscnt null, 0x0
	s_barrier
	buffer_gl0_inv
	s_bcnt1_i32_b32 s41, s15
	s_delay_alu instid0(SALU_CYCLE_1) | instskip(NEXT) | instid1(VALU_DEP_1)
	v_dual_mov_b32 v9, s41 :: v_dual_and_b32 v8, s15, v1
	v_bcnt_u32_b32 v8, v8, 0
	ds_store_b32 v3, v9
	s_waitcnt lgkmcnt(0)
	s_barrier
	buffer_gl0_inv
	s_and_saveexec_b32 s41, s0
	s_cbranch_execnz .LBB233_78
; %bb.62:                               ;   in Loop: Header=BB233_61 Depth=1
	s_or_b32 exec_lo, exec_lo, s41
	s_and_saveexec_b32 s41, s1
	s_cbranch_execnz .LBB233_79
.LBB233_63:                             ;   in Loop: Header=BB233_61 Depth=1
	s_or_b32 exec_lo, exec_lo, s41
	s_and_saveexec_b32 s41, s2
	s_cbranch_execnz .LBB233_80
.LBB233_64:                             ;   in Loop: Header=BB233_61 Depth=1
	s_or_b32 exec_lo, exec_lo, s41
	s_and_saveexec_b32 s41, s3
	s_cbranch_execnz .LBB233_81
.LBB233_65:                             ;   in Loop: Header=BB233_61 Depth=1
	s_or_b32 exec_lo, exec_lo, s41
	s_and_saveexec_b32 s41, s4
	s_cbranch_execnz .LBB233_82
.LBB233_66:                             ;   in Loop: Header=BB233_61 Depth=1
	s_or_b32 exec_lo, exec_lo, s41
	s_and_saveexec_b32 s41, s5
	s_cbranch_execnz .LBB233_83
.LBB233_67:                             ;   in Loop: Header=BB233_61 Depth=1
	s_or_b32 exec_lo, exec_lo, s41
	s_and_saveexec_b32 s41, s6
	s_cbranch_execnz .LBB233_84
.LBB233_68:                             ;   in Loop: Header=BB233_61 Depth=1
	s_or_b32 exec_lo, exec_lo, s41
	s_and_saveexec_b32 s41, s7
	s_cbranch_execnz .LBB233_85
.LBB233_69:                             ;   in Loop: Header=BB233_61 Depth=1
	s_or_b32 exec_lo, exec_lo, s41
	s_and_saveexec_b32 s41, s8
	s_cbranch_execnz .LBB233_86
.LBB233_70:                             ;   in Loop: Header=BB233_61 Depth=1
	s_or_b32 exec_lo, exec_lo, s41
	s_and_saveexec_b32 s41, s9
	s_cbranch_execnz .LBB233_87
.LBB233_71:                             ;   in Loop: Header=BB233_61 Depth=1
	s_or_b32 exec_lo, exec_lo, s41
	s_and_saveexec_b32 s41, s10
	s_cbranch_execnz .LBB233_88
.LBB233_72:                             ;   in Loop: Header=BB233_61 Depth=1
	s_or_b32 exec_lo, exec_lo, s41
	s_and_saveexec_b32 s41, s11
	s_cbranch_execnz .LBB233_89
.LBB233_73:                             ;   in Loop: Header=BB233_61 Depth=1
	s_or_b32 exec_lo, exec_lo, s41
	s_and_saveexec_b32 s41, s12
	s_cbranch_execnz .LBB233_90
.LBB233_74:                             ;   in Loop: Header=BB233_61 Depth=1
	s_or_b32 exec_lo, exec_lo, s41
	s_and_saveexec_b32 s41, s13
	s_cbranch_execnz .LBB233_91
.LBB233_75:                             ;   in Loop: Header=BB233_61 Depth=1
	s_or_b32 exec_lo, exec_lo, s41
	s_and_saveexec_b32 s41, s14
	s_cbranch_execnz .LBB233_92
.LBB233_76:                             ;   in Loop: Header=BB233_61 Depth=1
	s_or_b32 exec_lo, exec_lo, s41
	s_and_saveexec_b32 s41, s15
	s_cbranch_execnz .LBB233_93
.LBB233_77:                             ;   in Loop: Header=BB233_61 Depth=1
	s_or_b32 exec_lo, exec_lo, s41
	s_and_saveexec_b32 s15, vcc_lo
	s_cbranch_execz .LBB233_60
	s_branch .LBB233_94
.LBB233_78:                             ;   in Loop: Header=BB233_61 Depth=1
	v_mov_b32_e32 v9, s21
	ds_load_b32 v9, v9
	s_waitcnt lgkmcnt(0)
	v_add_nc_u32_e32 v8, v9, v8
	s_or_b32 exec_lo, exec_lo, s41
	s_and_saveexec_b32 s41, s1
	s_cbranch_execz .LBB233_63
.LBB233_79:                             ;   in Loop: Header=BB233_61 Depth=1
	v_mov_b32_e32 v9, s25
	ds_load_b32 v9, v9
	s_waitcnt lgkmcnt(0)
	v_add_nc_u32_e32 v8, v9, v8
	s_or_b32 exec_lo, exec_lo, s41
	s_and_saveexec_b32 s41, s2
	s_cbranch_execz .LBB233_64
.LBB233_80:                             ;   in Loop: Header=BB233_61 Depth=1
	v_mov_b32_e32 v9, s26
	ds_load_b32 v9, v9
	s_waitcnt lgkmcnt(0)
	v_add_nc_u32_e32 v8, v9, v8
	s_or_b32 exec_lo, exec_lo, s41
	s_and_saveexec_b32 s41, s3
	s_cbranch_execz .LBB233_65
.LBB233_81:                             ;   in Loop: Header=BB233_61 Depth=1
	v_mov_b32_e32 v9, s27
	ds_load_b32 v9, v9
	s_waitcnt lgkmcnt(0)
	v_add_nc_u32_e32 v8, v9, v8
	s_or_b32 exec_lo, exec_lo, s41
	s_and_saveexec_b32 s41, s4
	s_cbranch_execz .LBB233_66
.LBB233_82:                             ;   in Loop: Header=BB233_61 Depth=1
	v_mov_b32_e32 v9, s28
	ds_load_b32 v9, v9
	s_waitcnt lgkmcnt(0)
	v_add_nc_u32_e32 v8, v9, v8
	s_or_b32 exec_lo, exec_lo, s41
	s_and_saveexec_b32 s41, s5
	s_cbranch_execz .LBB233_67
.LBB233_83:                             ;   in Loop: Header=BB233_61 Depth=1
	v_mov_b32_e32 v9, s29
	ds_load_b32 v9, v9
	s_waitcnt lgkmcnt(0)
	v_add_nc_u32_e32 v8, v9, v8
	s_or_b32 exec_lo, exec_lo, s41
	s_and_saveexec_b32 s41, s6
	s_cbranch_execz .LBB233_68
.LBB233_84:                             ;   in Loop: Header=BB233_61 Depth=1
	v_mov_b32_e32 v9, s30
	ds_load_b32 v9, v9
	s_waitcnt lgkmcnt(0)
	v_add_nc_u32_e32 v8, v9, v8
	s_or_b32 exec_lo, exec_lo, s41
	s_and_saveexec_b32 s41, s7
	s_cbranch_execz .LBB233_69
.LBB233_85:                             ;   in Loop: Header=BB233_61 Depth=1
	v_mov_b32_e32 v9, s31
	ds_load_b32 v9, v9
	s_waitcnt lgkmcnt(0)
	v_add_nc_u32_e32 v8, v9, v8
	s_or_b32 exec_lo, exec_lo, s41
	s_and_saveexec_b32 s41, s8
	s_cbranch_execz .LBB233_70
.LBB233_86:                             ;   in Loop: Header=BB233_61 Depth=1
	v_mov_b32_e32 v9, s33
	ds_load_b32 v9, v9
	s_waitcnt lgkmcnt(0)
	v_add_nc_u32_e32 v8, v9, v8
	s_or_b32 exec_lo, exec_lo, s41
	s_and_saveexec_b32 s41, s9
	s_cbranch_execz .LBB233_71
.LBB233_87:                             ;   in Loop: Header=BB233_61 Depth=1
	v_mov_b32_e32 v9, s34
	ds_load_b32 v9, v9
	s_waitcnt lgkmcnt(0)
	v_add_nc_u32_e32 v8, v9, v8
	s_or_b32 exec_lo, exec_lo, s41
	s_and_saveexec_b32 s41, s10
	s_cbranch_execz .LBB233_72
.LBB233_88:                             ;   in Loop: Header=BB233_61 Depth=1
	v_mov_b32_e32 v9, s35
	ds_load_b32 v9, v9
	s_waitcnt lgkmcnt(0)
	v_add_nc_u32_e32 v8, v9, v8
	s_or_b32 exec_lo, exec_lo, s41
	s_and_saveexec_b32 s41, s11
	s_cbranch_execz .LBB233_73
.LBB233_89:                             ;   in Loop: Header=BB233_61 Depth=1
	v_mov_b32_e32 v9, s37
	ds_load_b32 v9, v9
	s_waitcnt lgkmcnt(0)
	v_add_nc_u32_e32 v8, v9, v8
	s_or_b32 exec_lo, exec_lo, s41
	s_and_saveexec_b32 s41, s12
	s_cbranch_execz .LBB233_74
.LBB233_90:                             ;   in Loop: Header=BB233_61 Depth=1
	v_mov_b32_e32 v9, s38
	ds_load_b32 v9, v9
	s_waitcnt lgkmcnt(0)
	v_add_nc_u32_e32 v8, v9, v8
	s_or_b32 exec_lo, exec_lo, s41
	s_and_saveexec_b32 s41, s13
	s_cbranch_execz .LBB233_75
.LBB233_91:                             ;   in Loop: Header=BB233_61 Depth=1
	v_mov_b32_e32 v9, s39
	ds_load_b32 v9, v9
	s_waitcnt lgkmcnt(0)
	v_add_nc_u32_e32 v8, v9, v8
	s_or_b32 exec_lo, exec_lo, s41
	s_and_saveexec_b32 s41, s14
	s_cbranch_execz .LBB233_76
.LBB233_92:                             ;   in Loop: Header=BB233_61 Depth=1
	v_mov_b32_e32 v9, s40
	ds_load_b32 v9, v9
	s_waitcnt lgkmcnt(0)
	v_add_nc_u32_e32 v8, v9, v8
	s_or_b32 exec_lo, exec_lo, s41
	s_and_saveexec_b32 s41, s15
	s_cbranch_execz .LBB233_77
.LBB233_93:                             ;   in Loop: Header=BB233_61 Depth=1
	scratch_load_b128 v[9:12], off, off
	v_add3_u32 v13, v5, -1, v8
	s_delay_alu instid0(VALU_DEP_1) | instskip(SKIP_1) | instid1(VALU_DEP_2)
	v_lshlrev_b32_e32 v14, 4, v13
	v_lshl_add_u32 v13, v13, 2, 0
	v_add3_u32 v14, 0, v14, 0x8000
	ds_store_b32 v13, v7
	s_waitcnt vmcnt(0)
	ds_store_2addr_b64 v14, v[9:10], v[11:12] offset1:1
	s_or_b32 exec_lo, exec_lo, s41
	s_and_saveexec_b32 s15, vcc_lo
	s_cbranch_execz .LBB233_60
.LBB233_94:                             ;   in Loop: Header=BB233_61 Depth=1
	v_mov_b32_e32 v7, s36
	ds_store_b32 v7, v8
	s_branch .LBB233_60
.LBB233_95:
	s_or_b32 exec_lo, exec_lo, s19
	s_ashr_i32 s21, s20, 31
	s_mov_b32 s4, exec_lo
	s_lshl_b64 s[0:1], s[20:21], 3
	s_delay_alu instid0(SALU_CYCLE_1) | instskip(SKIP_4) | instid1(SALU_CYCLE_1)
	s_add_u32 s0, s22, s0
	s_addc_u32 s1, s23, s1
	s_load_b128 s[0:3], s[0:1], 0x0
	s_waitcnt lgkmcnt(0)
	s_sub_i32 s3, s2, s0
	v_cmpx_gt_i32_e64 s3, v0
	s_cbranch_execz .LBB233_105
; %bb.96:
	s_sub_u32 s4, s0, s18
	s_subb_u32 s5, s1, 0
	s_sub_i32 s0, s0, s2
	s_and_b32 s1, s3, 7
	s_cmp_lt_u32 s0, -7
	s_mov_b32 s8, 0
	s_cselect_b32 s2, -1, 0
	s_and_b32 s6, s3, -8
	s_cmp_lg_u32 s1, 0
	s_cselect_b32 s7, -1, 0
	s_branch .LBB233_98
.LBB233_97:                             ;   in Loop: Header=BB233_98 Depth=1
	s_waitcnt lgkmcnt(0)
	v_mul_lo_u32 v4, v0, 12
	v_lshlrev_b64 v[1:2], 4, v[1:2]
	v_add_nc_u32_e32 v0, 0x400, v0
	s_delay_alu instid0(VALU_DEP_1) | instskip(NEXT) | instid1(VALU_DEP_4)
	v_cmp_le_i32_e32 vcc_lo, s3, v0
	v_add3_u32 v3, v3, v4, 0x8000
	s_delay_alu instid0(VALU_DEP_4) | instskip(NEXT) | instid1(VALU_DEP_1)
	v_add_co_u32 v1, s0, s16, v1
	v_add_co_ci_u32_e64 v2, s0, s17, v2, s0
	ds_load_2addr_b64 v[3:6], v3 offset1:1
	s_or_b32 s8, vcc_lo, s8
	s_waitcnt lgkmcnt(0)
	global_store_b128 v[1:2], v[3:6], off
	s_and_not1_b32 exec_lo, exec_lo, s8
	s_cbranch_execz .LBB233_105
.LBB233_98:                             ; =>This Loop Header: Depth=1
                                        ;     Child Loop BB233_100 Depth 2
                                        ;     Child Loop BB233_104 Depth 2
	v_lshl_add_u32 v3, v0, 2, 0
	v_dual_mov_b32 v1, s4 :: v_dual_mov_b32 v2, s5
	s_and_not1_b32 vcc_lo, exec_lo, s2
	s_mov_b32 s0, 0
	ds_load_b32 v4, v3
	s_cbranch_vccnz .LBB233_102
; %bb.99:                               ;   in Loop: Header=BB233_98 Depth=1
	v_dual_mov_b32 v1, s4 :: v_dual_mov_b32 v2, s5
	s_mov_b32 s9, 0
	s_mov_b32 s10, 0
.LBB233_100:                            ;   Parent Loop BB233_98 Depth=1
                                        ; =>  This Inner Loop Header: Depth=2
	s_delay_alu instid0(SALU_CYCLE_1)
	v_mov_b32_e32 v11, s10
	s_add_i32 s9, s9, 8
	s_add_i32 s10, s10, 32
	s_cmp_eq_u32 s6, s9
	ds_load_2addr_b32 v[5:6], v11 offset1:1
	ds_load_2addr_b32 v[7:8], v11 offset0:2 offset1:3
	ds_load_2addr_b32 v[9:10], v11 offset0:4 offset1:5
	;; [unrolled: 1-line block ×3, first 2 shown]
	s_waitcnt lgkmcnt(3)
	v_cmp_gt_i32_e32 vcc_lo, v4, v5
	v_cndmask_b32_e64 v5, 0, 1, vcc_lo
	v_cmp_gt_i32_e32 vcc_lo, v4, v6
	v_cndmask_b32_e64 v6, 0, 1, vcc_lo
	s_waitcnt lgkmcnt(2)
	v_cmp_gt_i32_e32 vcc_lo, v4, v7
	v_cndmask_b32_e64 v7, 0, 1, vcc_lo
	v_cmp_gt_i32_e32 vcc_lo, v4, v8
	v_cndmask_b32_e64 v8, 0, 1, vcc_lo
	s_waitcnt lgkmcnt(1)
	v_cmp_gt_i32_e32 vcc_lo, v4, v9
	v_cndmask_b32_e64 v9, 0, 1, vcc_lo
	v_add_co_u32 v1, vcc_lo, v1, v5
	v_add_co_ci_u32_e32 v2, vcc_lo, 0, v2, vcc_lo
	v_cmp_gt_i32_e32 vcc_lo, v4, v10
	s_delay_alu instid0(VALU_DEP_3) | instskip(NEXT) | instid1(VALU_DEP_1)
	v_add_co_u32 v1, s0, v1, v6
	v_add_co_ci_u32_e64 v2, s0, 0, v2, s0
	v_cndmask_b32_e64 v5, 0, 1, vcc_lo
	s_delay_alu instid0(VALU_DEP_3) | instskip(NEXT) | instid1(VALU_DEP_3)
	v_add_co_u32 v1, vcc_lo, v1, v7
	v_add_co_ci_u32_e32 v2, vcc_lo, 0, v2, vcc_lo
	s_waitcnt lgkmcnt(0)
	v_cmp_gt_i32_e32 vcc_lo, v4, v11
	s_delay_alu instid0(VALU_DEP_3) | instskip(NEXT) | instid1(VALU_DEP_1)
	v_add_co_u32 v1, s0, v1, v8
	v_add_co_ci_u32_e64 v2, s0, 0, v2, s0
	v_cndmask_b32_e64 v6, 0, 1, vcc_lo
	s_delay_alu instid0(VALU_DEP_3) | instskip(NEXT) | instid1(VALU_DEP_3)
	v_add_co_u32 v1, vcc_lo, v1, v9
	v_add_co_ci_u32_e32 v2, vcc_lo, 0, v2, vcc_lo
	v_cmp_gt_i32_e32 vcc_lo, v4, v12
	s_delay_alu instid0(VALU_DEP_3) | instskip(NEXT) | instid1(VALU_DEP_1)
	v_add_co_u32 v1, s0, v1, v5
	v_add_co_ci_u32_e64 v2, s0, 0, v2, s0
	v_cndmask_b32_e64 v5, 0, 1, vcc_lo
	s_delay_alu instid0(VALU_DEP_3) | instskip(NEXT) | instid1(VALU_DEP_3)
	v_add_co_u32 v1, vcc_lo, v1, v6
	v_add_co_ci_u32_e32 v2, vcc_lo, 0, v2, vcc_lo
	s_delay_alu instid0(VALU_DEP_2) | instskip(NEXT) | instid1(VALU_DEP_2)
	v_add_co_u32 v1, vcc_lo, v1, v5
	v_add_co_ci_u32_e32 v2, vcc_lo, 0, v2, vcc_lo
	s_cbranch_scc0 .LBB233_100
; %bb.101:                              ;   in Loop: Header=BB233_98 Depth=1
	s_mov_b32 s0, s6
.LBB233_102:                            ;   in Loop: Header=BB233_98 Depth=1
	s_and_not1_b32 vcc_lo, exec_lo, s7
	s_cbranch_vccnz .LBB233_97
; %bb.103:                              ;   in Loop: Header=BB233_98 Depth=1
	s_lshl_b32 s0, s0, 2
	s_mov_b32 s9, s1
	s_add_i32 s0, s0, 0
.LBB233_104:                            ;   Parent Loop BB233_98 Depth=1
                                        ; =>  This Inner Loop Header: Depth=2
	s_delay_alu instid0(SALU_CYCLE_1)
	v_mov_b32_e32 v5, s0
	s_add_i32 s9, s9, -1
	s_add_i32 s0, s0, 4
	s_cmp_lg_u32 s9, 0
	ds_load_b32 v5, v5
	s_waitcnt lgkmcnt(0)
	v_cmp_gt_i32_e32 vcc_lo, v4, v5
	v_cndmask_b32_e64 v5, 0, 1, vcc_lo
	s_delay_alu instid0(VALU_DEP_1)
	v_add_co_u32 v1, vcc_lo, v1, v5
	v_add_co_ci_u32_e32 v2, vcc_lo, 0, v2, vcc_lo
	s_cbranch_scc1 .LBB233_104
	s_branch .LBB233_97
.LBB233_105:
	s_nop 0
	s_sendmsg sendmsg(MSG_DEALLOC_VGPRS)
	s_endpgm
	.section	.rodata,"a",@progbits
	.p2align	6, 0x0
	.amdhsa_kernel _ZN9rocsparseL41csrgemm_numeric_fill_block_per_row_kernelILj1024ELj64ELj8192ELj137ELj64Eli21rocsparse_complex_numIdEEEvT5_PKS3_S5_NS_24const_host_device_scalarIT6_EEPKT4_S5_PKS7_SB_S5_SD_S8_SB_S5_SD_SB_S5_PS7_21rocsparse_index_base_SF_SF_SF_bbb
		.amdhsa_group_segment_fixed_size 0
		.amdhsa_private_segment_fixed_size 40
		.amdhsa_kernarg_size 172
		.amdhsa_user_sgpr_count 15
		.amdhsa_user_sgpr_dispatch_ptr 0
		.amdhsa_user_sgpr_queue_ptr 0
		.amdhsa_user_sgpr_kernarg_segment_ptr 1
		.amdhsa_user_sgpr_dispatch_id 0
		.amdhsa_user_sgpr_private_segment_size 0
		.amdhsa_wavefront_size32 1
		.amdhsa_uses_dynamic_stack 0
		.amdhsa_enable_private_segment 1
		.amdhsa_system_sgpr_workgroup_id_x 1
		.amdhsa_system_sgpr_workgroup_id_y 0
		.amdhsa_system_sgpr_workgroup_id_z 0
		.amdhsa_system_sgpr_workgroup_info 0
		.amdhsa_system_vgpr_workitem_id 0
		.amdhsa_next_free_vgpr 35
		.amdhsa_next_free_sgpr 42
		.amdhsa_reserve_vcc 1
		.amdhsa_float_round_mode_32 0
		.amdhsa_float_round_mode_16_64 0
		.amdhsa_float_denorm_mode_32 3
		.amdhsa_float_denorm_mode_16_64 3
		.amdhsa_dx10_clamp 1
		.amdhsa_ieee_mode 1
		.amdhsa_fp16_overflow 0
		.amdhsa_workgroup_processor_mode 1
		.amdhsa_memory_ordered 1
		.amdhsa_forward_progress 0
		.amdhsa_shared_vgpr_count 0
		.amdhsa_exception_fp_ieee_invalid_op 0
		.amdhsa_exception_fp_denorm_src 0
		.amdhsa_exception_fp_ieee_div_zero 0
		.amdhsa_exception_fp_ieee_overflow 0
		.amdhsa_exception_fp_ieee_underflow 0
		.amdhsa_exception_fp_ieee_inexact 0
		.amdhsa_exception_int_div_zero 0
	.end_amdhsa_kernel
	.section	.text._ZN9rocsparseL41csrgemm_numeric_fill_block_per_row_kernelILj1024ELj64ELj8192ELj137ELj64Eli21rocsparse_complex_numIdEEEvT5_PKS3_S5_NS_24const_host_device_scalarIT6_EEPKT4_S5_PKS7_SB_S5_SD_S8_SB_S5_SD_SB_S5_PS7_21rocsparse_index_base_SF_SF_SF_bbb,"axG",@progbits,_ZN9rocsparseL41csrgemm_numeric_fill_block_per_row_kernelILj1024ELj64ELj8192ELj137ELj64Eli21rocsparse_complex_numIdEEEvT5_PKS3_S5_NS_24const_host_device_scalarIT6_EEPKT4_S5_PKS7_SB_S5_SD_S8_SB_S5_SD_SB_S5_PS7_21rocsparse_index_base_SF_SF_SF_bbb,comdat
.Lfunc_end233:
	.size	_ZN9rocsparseL41csrgemm_numeric_fill_block_per_row_kernelILj1024ELj64ELj8192ELj137ELj64Eli21rocsparse_complex_numIdEEEvT5_PKS3_S5_NS_24const_host_device_scalarIT6_EEPKT4_S5_PKS7_SB_S5_SD_S8_SB_S5_SD_SB_S5_PS7_21rocsparse_index_base_SF_SF_SF_bbb, .Lfunc_end233-_ZN9rocsparseL41csrgemm_numeric_fill_block_per_row_kernelILj1024ELj64ELj8192ELj137ELj64Eli21rocsparse_complex_numIdEEEvT5_PKS3_S5_NS_24const_host_device_scalarIT6_EEPKT4_S5_PKS7_SB_S5_SD_S8_SB_S5_SD_SB_S5_PS7_21rocsparse_index_base_SF_SF_SF_bbb
                                        ; -- End function
	.section	.AMDGPU.csdata,"",@progbits
; Kernel info:
; codeLenInByte = 4688
; NumSgprs: 44
; NumVgprs: 35
; ScratchSize: 40
; MemoryBound: 0
; FloatMode: 240
; IeeeMode: 1
; LDSByteSize: 0 bytes/workgroup (compile time only)
; SGPRBlocks: 5
; VGPRBlocks: 4
; NumSGPRsForWavesPerEU: 44
; NumVGPRsForWavesPerEU: 35
; Occupancy: 16
; WaveLimiterHint : 1
; COMPUTE_PGM_RSRC2:SCRATCH_EN: 1
; COMPUTE_PGM_RSRC2:USER_SGPR: 15
; COMPUTE_PGM_RSRC2:TRAP_HANDLER: 0
; COMPUTE_PGM_RSRC2:TGID_X_EN: 1
; COMPUTE_PGM_RSRC2:TGID_Y_EN: 0
; COMPUTE_PGM_RSRC2:TGID_Z_EN: 0
; COMPUTE_PGM_RSRC2:TIDIG_COMP_CNT: 0
	.section	.text._ZN9rocsparseL41csrgemm_numeric_fill_block_per_row_kernelILj1024ELj64ELj16384ELj137ELj32Eli21rocsparse_complex_numIdEEEvT5_PKS3_S5_NS_24const_host_device_scalarIT6_EEPKT4_S5_PKS7_SB_S5_SD_S8_SB_S5_SD_SB_S5_PS7_21rocsparse_index_base_SF_SF_SF_bbb,"axG",@progbits,_ZN9rocsparseL41csrgemm_numeric_fill_block_per_row_kernelILj1024ELj64ELj16384ELj137ELj32Eli21rocsparse_complex_numIdEEEvT5_PKS3_S5_NS_24const_host_device_scalarIT6_EEPKT4_S5_PKS7_SB_S5_SD_S8_SB_S5_SD_SB_S5_PS7_21rocsparse_index_base_SF_SF_SF_bbb,comdat
	.globl	_ZN9rocsparseL41csrgemm_numeric_fill_block_per_row_kernelILj1024ELj64ELj16384ELj137ELj32Eli21rocsparse_complex_numIdEEEvT5_PKS3_S5_NS_24const_host_device_scalarIT6_EEPKT4_S5_PKS7_SB_S5_SD_S8_SB_S5_SD_SB_S5_PS7_21rocsparse_index_base_SF_SF_SF_bbb ; -- Begin function _ZN9rocsparseL41csrgemm_numeric_fill_block_per_row_kernelILj1024ELj64ELj16384ELj137ELj32Eli21rocsparse_complex_numIdEEEvT5_PKS3_S5_NS_24const_host_device_scalarIT6_EEPKT4_S5_PKS7_SB_S5_SD_S8_SB_S5_SD_SB_S5_PS7_21rocsparse_index_base_SF_SF_SF_bbb
	.p2align	8
	.type	_ZN9rocsparseL41csrgemm_numeric_fill_block_per_row_kernelILj1024ELj64ELj16384ELj137ELj32Eli21rocsparse_complex_numIdEEEvT5_PKS3_S5_NS_24const_host_device_scalarIT6_EEPKT4_S5_PKS7_SB_S5_SD_S8_SB_S5_SD_SB_S5_PS7_21rocsparse_index_base_SF_SF_SF_bbb,@function
_ZN9rocsparseL41csrgemm_numeric_fill_block_per_row_kernelILj1024ELj64ELj16384ELj137ELj32Eli21rocsparse_complex_numIdEEEvT5_PKS3_S5_NS_24const_host_device_scalarIT6_EEPKT4_S5_PKS7_SB_S5_SD_S8_SB_S5_SD_SB_S5_PS7_21rocsparse_index_base_SF_SF_SF_bbb: ; @_ZN9rocsparseL41csrgemm_numeric_fill_block_per_row_kernelILj1024ELj64ELj16384ELj137ELj32Eli21rocsparse_complex_numIdEEEvT5_PKS3_S5_NS_24const_host_device_scalarIT6_EEPKT4_S5_PKS7_SB_S5_SD_S8_SB_S5_SD_SB_S5_PS7_21rocsparse_index_base_SF_SF_SF_bbb
; %bb.0:
	s_clause 0x3
	s_load_b32 s14, s[0:1], 0xa8
	s_load_b128 s[4:7], s[0:1], 0x18
	s_load_b128 s[20:23], s[0:1], 0x58
	;; [unrolled: 1-line block ×3, first 2 shown]
	v_mov_b32_e32 v1, 0
	v_mov_b32_e32 v2, 0
	s_waitcnt lgkmcnt(0)
	s_bitcmp1_b32 s14, 0
	v_mov_b32_e32 v3, s4
	s_cselect_b32 s12, -1, 0
	s_bitcmp1_b32 s14, 16
	v_dual_mov_b32 v6, v2 :: v_dual_mov_b32 v5, v1
	s_cselect_b32 s2, -1, 0
	v_mov_b32_e32 v4, s5
	s_xor_b32 s13, s2, -1
	v_dual_mov_b32 v9, s20 :: v_dual_mov_b32 v10, s21
	v_cndmask_b32_e64 v7, 0, 1, s13
	s_bitcmp0_b32 s14, 0
	s_clause 0x1
	scratch_store_b64 off, v[3:4], off offset:16
	scratch_store_b64 off, v[9:10], off offset:24
	v_cmp_ne_u32_e32 vcc_lo, 1, v7
	v_dual_mov_b32 v8, v2 :: v_dual_mov_b32 v7, v1
	s_cbranch_scc1 .LBB234_3
; %bb.1:
	s_mov_b64 s[8:9], src_private_base
	s_and_b32 s3, s2, exec_lo
	s_cselect_b32 s3, s9, s5
	s_delay_alu instid0(SALU_CYCLE_1) | instskip(SKIP_2) | instid1(VALU_DEP_2)
	v_dual_mov_b32 v3, 16 :: v_dual_mov_b32 v4, s3
	v_dual_mov_b32 v8, s7 :: v_dual_mov_b32 v7, s6
	s_and_b32 vcc_lo, exec_lo, vcc_lo
	v_cndmask_b32_e64 v3, s4, v3, s2
	flat_load_b64 v[5:6], v[3:4]
	s_cbranch_vccnz .LBB234_3
; %bb.2:
	v_dual_mov_b32 v3, s4 :: v_dual_mov_b32 v4, s5
	flat_load_b64 v[7:8], v[3:4] offset:8
.LBB234_3:
	s_clause 0x4
	s_load_b64 s[34:35], s[0:1], 0x90
	s_load_b256 s[36:43], s[0:1], 0x68
	s_load_b128 s[16:19], s[0:1], 0x48
	s_load_b128 s[24:27], s[0:1], 0x8
	s_load_b256 s[4:11], s[0:1], 0x28
	s_bitcmp1_b32 s14, 8
	v_dual_mov_b32 v4, v2 :: v_dual_mov_b32 v3, v1
	s_cselect_b32 s3, -1, 0
	s_bfe_u32 s14, s14, 0x10008
	s_delay_alu instid0(SALU_CYCLE_1)
	s_cmp_eq_u32 s14, 0
	s_cbranch_scc1 .LBB234_6
; %bb.4:
	s_mov_b64 s[28:29], src_private_base
	s_and_b32 s14, s2, exec_lo
	s_cselect_b32 s14, s29, s21
	s_delay_alu instid0(SALU_CYCLE_1) | instskip(SKIP_1) | instid1(VALU_DEP_1)
	v_dual_mov_b32 v1, 24 :: v_dual_mov_b32 v2, s14
	s_and_not1_b32 vcc_lo, exec_lo, s13
	v_cndmask_b32_e64 v1, s20, v1, s2
	flat_load_b64 v[3:4], v[1:2]
	v_dual_mov_b32 v1, s22 :: v_dual_mov_b32 v2, s23
	s_cbranch_vccnz .LBB234_6
; %bb.5:
	v_dual_mov_b32 v1, s20 :: v_dual_mov_b32 v2, s21
	flat_load_b64 v[1:2], v[1:2] offset:8
.LBB234_6:
	s_load_b32 s33, s[0:1], 0x0
	s_mov_b32 s0, 0
	v_or_b32_e32 v25, 0xfffffc00, v0
	v_lshl_add_u32 v26, v0, 2, 0
	s_mov_b32 s1, s0
	s_delay_alu instid0(SALU_CYCLE_1)
	v_dual_mov_b32 v10, s1 :: v_dual_lshlrev_b32 v27, 4, v0
	s_mov_b32 s20, s0
	s_mov_b32 s21, s0
	v_dual_mov_b32 v11, s20 :: v_dual_mov_b32 v14, v26
	v_dual_mov_b32 v9, s0 :: v_dual_mov_b32 v12, s21
	v_add3_u32 v13, v27, 0, 0x10008
	s_waitcnt lgkmcnt(0)
	v_dual_mov_b32 v16, v25 :: v_dual_mov_b32 v15, s33
.LBB234_7:                              ; =>This Inner Loop Header: Depth=1
	s_delay_alu instid0(VALU_DEP_1)
	v_add_nc_u32_e32 v16, 0x400, v16
	ds_store_b32 v14, v15
	v_add_nc_u32_e32 v17, -8, v13
	v_add_nc_u32_e32 v13, 0x4000, v13
	v_add_nc_u32_e32 v14, 0x1000, v14
	v_cmp_lt_u32_e32 vcc_lo, 0x3bff, v16
	ds_store_2addr_b64 v17, v[9:10], v[11:12] offset1:1
	s_or_b32 s0, vcc_lo, s0
	s_delay_alu instid0(SALU_CYCLE_1)
	s_and_not1_b32 exec_lo, exec_lo, s0
	s_cbranch_execnz .LBB234_7
; %bb.8:
	s_or_b32 exec_lo, exec_lo, s0
	s_waitcnt vmcnt(0) lgkmcnt(0)
	s_waitcnt_vscnt null, 0x0
	s_barrier
	buffer_gl0_inv
	s_load_b32 s0, s[24:25], 0x0
	s_mov_b32 s1, 0
	s_waitcnt lgkmcnt(0)
	s_add_i32 s0, s0, s15
	s_delay_alu instid0(SALU_CYCLE_1) | instskip(NEXT) | instid1(SALU_CYCLE_1)
	s_lshl_b64 s[0:1], s[0:1], 2
	s_add_u32 s0, s26, s0
	s_addc_u32 s1, s27, s1
	s_and_b32 vcc_lo, exec_lo, s12
	s_load_b32 s48, s[0:1], 0x0
	s_cbranch_vccz .LBB234_36
; %bb.9:
	s_waitcnt lgkmcnt(0)
	s_ashr_i32 s49, s48, 31
	v_lshrrev_b32_e32 v9, 6, v0
	s_lshl_b64 s[0:1], s[48:49], 3
	s_mov_b32 s2, exec_lo
	s_add_u32 s0, s4, s0
	s_addc_u32 s1, s5, s1
	s_load_b128 s[12:15], s[0:1], 0x0
	v_sub_co_u32 v9, s0, v9, s44
	s_delay_alu instid0(VALU_DEP_1) | instskip(SKIP_1) | instid1(VALU_DEP_2)
	v_sub_co_ci_u32_e64 v10, null, 0, 0, s0
	s_waitcnt lgkmcnt(0)
	v_add_co_u32 v9, vcc_lo, s12, v9
	s_delay_alu instid0(VALU_DEP_2)
	v_add_co_ci_u32_e32 v10, vcc_lo, s13, v10, vcc_lo
	s_sub_u32 s0, s14, s44
	s_subb_u32 s1, s15, 0
	s_delay_alu instid0(VALU_DEP_1) | instid1(SALU_CYCLE_1)
	v_cmpx_gt_i64_e64 s[0:1], v[9:10]
	s_cbranch_execz .LBB234_35
; %bb.10:
	v_and_b32_e32 v11, 63, v0
	s_mov_b32 s5, s45
	s_delay_alu instid0(VALU_DEP_1) | instskip(NEXT) | instid1(VALU_DEP_1)
	v_sub_co_u32 v28, s4, v11, s45
	v_sub_co_ci_u32_e64 v29, null, 0, 0, s4
	s_mov_b32 s4, 0
	s_branch .LBB234_12
.LBB234_11:                             ;   in Loop: Header=BB234_12 Depth=1
	s_or_b32 exec_lo, exec_lo, s12
	v_add_co_u32 v9, vcc_lo, v9, 16
	v_add_co_ci_u32_e32 v10, vcc_lo, 0, v10, vcc_lo
	s_delay_alu instid0(VALU_DEP_1) | instskip(SKIP_1) | instid1(SALU_CYCLE_1)
	v_cmp_le_i64_e32 vcc_lo, s[0:1], v[9:10]
	s_or_b32 s4, vcc_lo, s4
	s_and_not1_b32 exec_lo, exec_lo, s4
	s_cbranch_execz .LBB234_35
.LBB234_12:                             ; =>This Loop Header: Depth=1
                                        ;     Child Loop BB234_15 Depth 2
                                        ;       Child Loop BB234_17 Depth 3
                                        ;         Child Loop BB234_23 Depth 4
                                        ;         Child Loop BB234_25 Depth 4
	;; [unrolled: 1-line block ×4, first 2 shown]
	v_lshlrev_b64 v[11:12], 2, v[9:10]
	s_mov_b32 s12, exec_lo
	s_delay_alu instid0(VALU_DEP_1) | instskip(NEXT) | instid1(VALU_DEP_2)
	v_add_co_u32 v11, vcc_lo, s6, v11
	v_add_co_ci_u32_e32 v12, vcc_lo, s7, v12, vcc_lo
	global_load_b32 v11, v[11:12], off
	s_waitcnt vmcnt(0)
	v_subrev_nc_u32_e32 v11, s44, v11
	s_delay_alu instid0(VALU_DEP_1) | instskip(NEXT) | instid1(VALU_DEP_1)
	v_ashrrev_i32_e32 v12, 31, v11
	v_lshlrev_b64 v[11:12], 3, v[11:12]
	s_delay_alu instid0(VALU_DEP_1) | instskip(NEXT) | instid1(VALU_DEP_2)
	v_add_co_u32 v11, vcc_lo, s10, v11
	v_add_co_ci_u32_e32 v12, vcc_lo, s11, v12, vcc_lo
	global_load_b128 v[13:16], v[11:12], off
	s_waitcnt vmcnt(0)
	v_sub_co_u32 v11, vcc_lo, v15, s5
	v_subrev_co_ci_u32_e32 v12, vcc_lo, 0, v16, vcc_lo
	v_add_co_u32 v13, vcc_lo, v13, v28
	v_add_co_ci_u32_e32 v14, vcc_lo, v14, v29, vcc_lo
	s_delay_alu instid0(VALU_DEP_1)
	v_cmpx_lt_i64_e64 v[13:14], v[11:12]
	s_cbranch_execz .LBB234_11
; %bb.13:                               ;   in Loop: Header=BB234_12 Depth=1
	v_lshlrev_b64 v[15:16], 4, v[9:10]
	s_mov_b32 s13, 0
	s_delay_alu instid0(VALU_DEP_1) | instskip(NEXT) | instid1(VALU_DEP_2)
	v_add_co_u32 v15, vcc_lo, s8, v15
	v_add_co_ci_u32_e32 v16, vcc_lo, s9, v16, vcc_lo
	global_load_b128 v[17:20], v[15:16], off
	s_waitcnt vmcnt(0)
	v_mul_f64 v[15:16], v[19:20], -v[7:8]
	v_mul_f64 v[19:20], v[5:6], v[19:20]
	s_delay_alu instid0(VALU_DEP_2) | instskip(NEXT) | instid1(VALU_DEP_2)
	v_fma_f64 v[15:16], v[5:6], v[17:18], v[15:16]
	v_fma_f64 v[17:18], v[7:8], v[17:18], v[19:20]
	s_branch .LBB234_15
.LBB234_14:                             ;   in Loop: Header=BB234_15 Depth=2
	s_or_b32 exec_lo, exec_lo, s14
	v_add_co_u32 v13, vcc_lo, v13, 64
	v_add_co_ci_u32_e32 v14, vcc_lo, 0, v14, vcc_lo
	s_delay_alu instid0(VALU_DEP_1) | instskip(SKIP_1) | instid1(SALU_CYCLE_1)
	v_cmp_ge_i64_e32 vcc_lo, v[13:14], v[11:12]
	s_or_b32 s13, vcc_lo, s13
	s_and_not1_b32 exec_lo, exec_lo, s13
	s_cbranch_execz .LBB234_11
.LBB234_15:                             ;   Parent Loop BB234_12 Depth=1
                                        ; =>  This Loop Header: Depth=2
                                        ;       Child Loop BB234_17 Depth 3
                                        ;         Child Loop BB234_23 Depth 4
                                        ;         Child Loop BB234_25 Depth 4
	;; [unrolled: 1-line block ×4, first 2 shown]
	v_lshlrev_b64 v[19:20], 4, v[13:14]
	s_mov_b32 s14, 0
	s_delay_alu instid0(VALU_DEP_1) | instskip(NEXT) | instid1(VALU_DEP_2)
	v_add_co_u32 v19, vcc_lo, s18, v19
	v_add_co_ci_u32_e32 v20, vcc_lo, s19, v20, vcc_lo
	global_load_b128 v[21:24], v[19:20], off
	v_lshlrev_b64 v[19:20], 2, v[13:14]
	s_delay_alu instid0(VALU_DEP_1) | instskip(NEXT) | instid1(VALU_DEP_2)
	v_add_co_u32 v19, vcc_lo, s16, v19
	v_add_co_ci_u32_e32 v20, vcc_lo, s17, v20, vcc_lo
	global_load_b32 v30, v[19:20], off
	s_waitcnt vmcnt(1)
	v_mul_f64 v[19:20], v[23:24], -v[17:18]
	v_mul_f64 v[23:24], v[15:16], v[23:24]
	s_waitcnt vmcnt(0)
	v_subrev_nc_u32_e32 v30, s45, v30
	s_delay_alu instid0(VALU_DEP_3) | instskip(NEXT) | instid1(VALU_DEP_3)
	v_fma_f64 v[19:20], v[15:16], v[21:22], v[19:20]
	v_fma_f64 v[21:22], v[17:18], v[21:22], v[23:24]
	s_delay_alu instid0(VALU_DEP_3) | instskip(NEXT) | instid1(VALU_DEP_1)
	v_mul_lo_u32 v23, 0x89, v30
	v_and_b32_e32 v31, 0x3fff, v23
	s_branch .LBB234_17
.LBB234_16:                             ;   in Loop: Header=BB234_17 Depth=3
	s_or_b32 exec_lo, exec_lo, s15
	s_xor_b32 s15, s20, -1
	s_delay_alu instid0(SALU_CYCLE_1) | instskip(NEXT) | instid1(SALU_CYCLE_1)
	s_and_b32 s15, exec_lo, s15
	s_or_b32 s14, s15, s14
	s_delay_alu instid0(SALU_CYCLE_1)
	s_and_not1_b32 exec_lo, exec_lo, s14
	s_cbranch_execz .LBB234_14
.LBB234_17:                             ;   Parent Loop BB234_12 Depth=1
                                        ;     Parent Loop BB234_15 Depth=2
                                        ; =>    This Loop Header: Depth=3
                                        ;         Child Loop BB234_23 Depth 4
                                        ;         Child Loop BB234_25 Depth 4
	;; [unrolled: 1-line block ×4, first 2 shown]
	s_delay_alu instid0(VALU_DEP_1)
	v_lshl_add_u32 v23, v31, 2, 0
	s_mov_b32 s15, exec_lo
                                        ; implicit-def: $sgpr20
	ds_load_b32 v24, v23
	s_waitcnt lgkmcnt(0)
	v_cmpx_ne_u32_e64 v24, v30
	s_xor_b32 s15, exec_lo, s15
	s_cbranch_execz .LBB234_29
; %bb.18:                               ;   in Loop: Header=BB234_17 Depth=3
	s_mov_b32 s21, exec_lo
                                        ; implicit-def: $sgpr20
	v_cmpx_ne_u32_e64 s33, v24
	s_xor_b32 s21, exec_lo, s21
; %bb.19:                               ;   in Loop: Header=BB234_17 Depth=3
	v_add_nc_u32_e32 v23, 1, v31
	s_mov_b32 s20, -1
	s_delay_alu instid0(VALU_DEP_1)
	v_and_b32_e32 v31, 0x3fff, v23
                                        ; implicit-def: $vgpr23
; %bb.20:                               ;   in Loop: Header=BB234_17 Depth=3
	s_and_not1_saveexec_b32 s21, s21
	s_cbranch_execz .LBB234_28
; %bb.21:                               ;   in Loop: Header=BB234_17 Depth=3
	v_mov_b32_e32 v24, s33
	s_mov_b32 s23, -1
	s_mov_b32 s22, exec_lo
	ds_cmpstore_rtn_b32 v23, v23, v30, v24
	s_waitcnt lgkmcnt(0)
	v_cmpx_eq_u32_e64 s33, v23
	s_cbranch_execz .LBB234_27
; %bb.22:                               ;   in Loop: Header=BB234_17 Depth=3
	v_lshlrev_b32_e32 v23, 4, v31
	s_mov_b32 s23, 0
	s_delay_alu instid0(VALU_DEP_1)
	v_add3_u32 v32, 0, v23, 0x10000
	ds_load_b64 v[23:24], v32
.LBB234_23:                             ;   Parent Loop BB234_12 Depth=1
                                        ;     Parent Loop BB234_15 Depth=2
                                        ;       Parent Loop BB234_17 Depth=3
                                        ; =>      This Inner Loop Header: Depth=4
	s_waitcnt lgkmcnt(0)
	v_add_f64 v[33:34], v[23:24], v[19:20]
	ds_cmpstore_rtn_b64 v[33:34], v32, v[33:34], v[23:24]
	s_waitcnt lgkmcnt(0)
	v_cmp_eq_u64_e32 vcc_lo, v[33:34], v[23:24]
	v_dual_mov_b32 v23, v33 :: v_dual_mov_b32 v24, v34
	s_or_b32 s23, vcc_lo, s23
	s_delay_alu instid0(SALU_CYCLE_1)
	s_and_not1_b32 exec_lo, exec_lo, s23
	s_cbranch_execnz .LBB234_23
; %bb.24:                               ;   in Loop: Header=BB234_17 Depth=3
	s_or_b32 exec_lo, exec_lo, s23
	ds_load_b64 v[23:24], v32 offset:8
	s_mov_b32 s23, 0
.LBB234_25:                             ;   Parent Loop BB234_12 Depth=1
                                        ;     Parent Loop BB234_15 Depth=2
                                        ;       Parent Loop BB234_17 Depth=3
                                        ; =>      This Inner Loop Header: Depth=4
	s_waitcnt lgkmcnt(0)
	v_add_f64 v[33:34], v[23:24], v[21:22]
	ds_cmpstore_rtn_b64 v[33:34], v32, v[33:34], v[23:24] offset:8
	s_waitcnt lgkmcnt(0)
	v_cmp_eq_u64_e32 vcc_lo, v[33:34], v[23:24]
	v_dual_mov_b32 v23, v33 :: v_dual_mov_b32 v24, v34
	s_or_b32 s23, vcc_lo, s23
	s_delay_alu instid0(SALU_CYCLE_1)
	s_and_not1_b32 exec_lo, exec_lo, s23
	s_cbranch_execnz .LBB234_25
; %bb.26:                               ;   in Loop: Header=BB234_17 Depth=3
	s_or_b32 exec_lo, exec_lo, s23
	s_delay_alu instid0(SALU_CYCLE_1)
	s_xor_b32 s23, exec_lo, -1
.LBB234_27:                             ;   in Loop: Header=BB234_17 Depth=3
	s_or_b32 exec_lo, exec_lo, s22
	s_delay_alu instid0(SALU_CYCLE_1) | instskip(SKIP_1) | instid1(SALU_CYCLE_1)
	s_and_not1_b32 s20, s20, exec_lo
	s_and_b32 s22, s23, exec_lo
	s_or_b32 s20, s20, s22
.LBB234_28:                             ;   in Loop: Header=BB234_17 Depth=3
	s_or_b32 exec_lo, exec_lo, s21
	s_delay_alu instid0(SALU_CYCLE_1)
	s_and_b32 s20, s20, exec_lo
.LBB234_29:                             ;   in Loop: Header=BB234_17 Depth=3
	s_and_not1_saveexec_b32 s15, s15
	s_cbranch_execz .LBB234_16
; %bb.30:                               ;   in Loop: Header=BB234_17 Depth=3
	v_lshlrev_b32_e32 v23, 4, v31
	s_mov_b32 s21, 0
	s_delay_alu instid0(VALU_DEP_1)
	v_add3_u32 v32, 0, v23, 0x10000
	ds_load_b64 v[23:24], v32
.LBB234_31:                             ;   Parent Loop BB234_12 Depth=1
                                        ;     Parent Loop BB234_15 Depth=2
                                        ;       Parent Loop BB234_17 Depth=3
                                        ; =>      This Inner Loop Header: Depth=4
	s_waitcnt lgkmcnt(0)
	v_add_f64 v[33:34], v[23:24], v[19:20]
	ds_cmpstore_rtn_b64 v[33:34], v32, v[33:34], v[23:24]
	s_waitcnt lgkmcnt(0)
	v_cmp_eq_u64_e32 vcc_lo, v[33:34], v[23:24]
	v_dual_mov_b32 v23, v33 :: v_dual_mov_b32 v24, v34
	s_or_b32 s21, vcc_lo, s21
	s_delay_alu instid0(SALU_CYCLE_1)
	s_and_not1_b32 exec_lo, exec_lo, s21
	s_cbranch_execnz .LBB234_31
; %bb.32:                               ;   in Loop: Header=BB234_17 Depth=3
	s_or_b32 exec_lo, exec_lo, s21
	ds_load_b64 v[23:24], v32 offset:8
	s_mov_b32 s21, 0
.LBB234_33:                             ;   Parent Loop BB234_12 Depth=1
                                        ;     Parent Loop BB234_15 Depth=2
                                        ;       Parent Loop BB234_17 Depth=3
                                        ; =>      This Inner Loop Header: Depth=4
	s_waitcnt lgkmcnt(0)
	v_add_f64 v[33:34], v[23:24], v[21:22]
	ds_cmpstore_rtn_b64 v[33:34], v32, v[33:34], v[23:24] offset:8
	s_waitcnt lgkmcnt(0)
	v_cmp_eq_u64_e32 vcc_lo, v[33:34], v[23:24]
	v_dual_mov_b32 v23, v33 :: v_dual_mov_b32 v24, v34
	s_or_b32 s21, vcc_lo, s21
	s_delay_alu instid0(SALU_CYCLE_1)
	s_and_not1_b32 exec_lo, exec_lo, s21
	s_cbranch_execnz .LBB234_33
; %bb.34:                               ;   in Loop: Header=BB234_17 Depth=3
	s_or_b32 exec_lo, exec_lo, s21
	s_delay_alu instid0(SALU_CYCLE_1)
	s_and_not1_b32 s20, s20, exec_lo
	s_branch .LBB234_16
.LBB234_35:
	s_or_b32 exec_lo, exec_lo, s2
.LBB234_36:
	s_delay_alu instid0(SALU_CYCLE_1)
	s_and_not1_b32 vcc_lo, exec_lo, s3
	s_cbranch_vccnz .LBB234_39
; %bb.37:
	s_waitcnt lgkmcnt(0)
	s_ashr_i32 s49, s48, 31
	v_sub_co_u32 v5, s4, v0, s47
	s_lshl_b64 s[0:1], s[48:49], 3
	v_sub_co_ci_u32_e64 v6, null, 0, 0, s4
	s_add_u32 s0, s36, s0
	s_addc_u32 s1, s37, s1
	s_load_b128 s[0:3], s[0:1], 0x0
	s_waitcnt lgkmcnt(0)
	v_add_co_u32 v5, vcc_lo, s0, v5
	v_add_co_ci_u32_e32 v6, vcc_lo, s1, v6, vcc_lo
	s_sub_u32 s0, s2, s47
	s_subb_u32 s1, s3, 0
	s_mov_b32 s3, 0
	s_mov_b32 s2, exec_lo
	v_cmpx_gt_i64_e64 s[0:1], v[5:6]
	s_cbranch_execnz .LBB234_108
.LBB234_38:
	s_or_b32 exec_lo, exec_lo, s2
.LBB234_39:
	v_mbcnt_lo_u32_b32 v1, -1, 0
	v_lshrrev_b32_e32 v2, 3, v0
	s_add_i32 s68, 0, 0x5007c
	v_cmp_eq_u32_e32 vcc_lo, 0x3ff, v0
	v_cmp_lt_u32_e64 s0, 31, v0
	v_xor_b32_e32 v1, 63, v1
	v_dual_mov_b32 v4, 0 :: v_dual_and_b32 v3, 0x7c, v2
	v_cmp_lt_u32_e64 s1, 63, v0
	v_cmp_lt_u32_e64 s2, 0x5f, v0
	s_delay_alu instid0(VALU_DEP_4) | instskip(NEXT) | instid1(VALU_DEP_4)
	v_lshrrev_b64 v[1:2], v1, -1
	v_add3_u32 v2, 0, 0x50000, v3
	v_cmp_lt_u32_e64 s3, 0x7f, v0
	v_cmp_lt_u32_e64 s4, 0x9f, v0
	;; [unrolled: 1-line block ×28, first 2 shown]
	v_add3_u32 v3, v27, 0, 0x10000
	v_mov_b32_e32 v5, s68
	s_mov_b32 s36, 0
	s_add_i32 s37, 0, 0x50000
	s_add_i32 s38, 0, 0x50004
	;; [unrolled: 1-line block ×31, first 2 shown]
	s_waitcnt lgkmcnt(0)
	s_barrier
	buffer_gl0_inv
	s_branch .LBB234_41
.LBB234_40:                             ;   in Loop: Header=BB234_41 Depth=1
	s_or_b32 exec_lo, exec_lo, s31
	s_waitcnt lgkmcnt(0)
	s_barrier
	buffer_gl0_inv
	ds_load_b32 v6, v5
	v_add_nc_u32_e32 v25, 0x400, v25
	v_add_nc_u32_e32 v3, 0x4000, v3
	;; [unrolled: 1-line block ×3, first 2 shown]
	s_delay_alu instid0(VALU_DEP_3) | instskip(NEXT) | instid1(VALU_DEP_1)
	v_cmp_lt_u32_e64 s31, 0x3bff, v25
	s_or_b32 s36, s31, s36
	s_waitcnt lgkmcnt(0)
	v_add_nc_u32_e32 v4, v6, v4
	s_and_not1_b32 exec_lo, exec_lo, s36
	s_cbranch_execz .LBB234_128
.LBB234_41:                             ; =>This Inner Loop Header: Depth=1
	ds_load_b32 v6, v26
	ds_load_2addr_b64 v[7:10], v3 offset1:1
	s_waitcnt lgkmcnt(1)
	v_cmp_gt_i32_e64 s31, s33, v6
	s_waitcnt lgkmcnt(0)
	scratch_store_b128 off, v[7:10], off
	s_waitcnt_vscnt null, 0x0
	s_barrier
	buffer_gl0_inv
	s_bcnt1_i32_b32 s73, s31
	s_delay_alu instid0(SALU_CYCLE_1) | instskip(NEXT) | instid1(VALU_DEP_1)
	v_dual_mov_b32 v8, s73 :: v_dual_and_b32 v7, s31, v1
	v_bcnt_u32_b32 v7, v7, 0
	ds_store_b32 v2, v8
	s_waitcnt lgkmcnt(0)
	s_barrier
	buffer_gl0_inv
	s_and_saveexec_b32 s73, s0
	s_cbranch_execnz .LBB234_74
; %bb.42:                               ;   in Loop: Header=BB234_41 Depth=1
	s_or_b32 exec_lo, exec_lo, s73
	s_and_saveexec_b32 s73, s1
	s_cbranch_execnz .LBB234_75
.LBB234_43:                             ;   in Loop: Header=BB234_41 Depth=1
	s_or_b32 exec_lo, exec_lo, s73
	s_and_saveexec_b32 s73, s2
	s_cbranch_execnz .LBB234_76
.LBB234_44:                             ;   in Loop: Header=BB234_41 Depth=1
	s_or_b32 exec_lo, exec_lo, s73
	s_and_saveexec_b32 s73, s3
	s_cbranch_execnz .LBB234_77
.LBB234_45:                             ;   in Loop: Header=BB234_41 Depth=1
	s_or_b32 exec_lo, exec_lo, s73
	s_and_saveexec_b32 s73, s4
	s_cbranch_execnz .LBB234_78
.LBB234_46:                             ;   in Loop: Header=BB234_41 Depth=1
	s_or_b32 exec_lo, exec_lo, s73
	s_and_saveexec_b32 s73, s5
	s_cbranch_execnz .LBB234_79
.LBB234_47:                             ;   in Loop: Header=BB234_41 Depth=1
	s_or_b32 exec_lo, exec_lo, s73
	s_and_saveexec_b32 s73, s6
	s_cbranch_execnz .LBB234_80
.LBB234_48:                             ;   in Loop: Header=BB234_41 Depth=1
	s_or_b32 exec_lo, exec_lo, s73
	s_and_saveexec_b32 s73, s7
	s_cbranch_execnz .LBB234_81
.LBB234_49:                             ;   in Loop: Header=BB234_41 Depth=1
	s_or_b32 exec_lo, exec_lo, s73
	s_and_saveexec_b32 s73, s8
	s_cbranch_execnz .LBB234_82
.LBB234_50:                             ;   in Loop: Header=BB234_41 Depth=1
	s_or_b32 exec_lo, exec_lo, s73
	s_and_saveexec_b32 s73, s9
	s_cbranch_execnz .LBB234_83
.LBB234_51:                             ;   in Loop: Header=BB234_41 Depth=1
	s_or_b32 exec_lo, exec_lo, s73
	s_and_saveexec_b32 s73, s10
	s_cbranch_execnz .LBB234_84
.LBB234_52:                             ;   in Loop: Header=BB234_41 Depth=1
	s_or_b32 exec_lo, exec_lo, s73
	s_and_saveexec_b32 s73, s11
	s_cbranch_execnz .LBB234_85
.LBB234_53:                             ;   in Loop: Header=BB234_41 Depth=1
	s_or_b32 exec_lo, exec_lo, s73
	s_and_saveexec_b32 s73, s12
	s_cbranch_execnz .LBB234_86
.LBB234_54:                             ;   in Loop: Header=BB234_41 Depth=1
	s_or_b32 exec_lo, exec_lo, s73
	s_and_saveexec_b32 s73, s13
	s_cbranch_execnz .LBB234_87
.LBB234_55:                             ;   in Loop: Header=BB234_41 Depth=1
	s_or_b32 exec_lo, exec_lo, s73
	s_and_saveexec_b32 s73, s14
	s_cbranch_execnz .LBB234_88
.LBB234_56:                             ;   in Loop: Header=BB234_41 Depth=1
	s_or_b32 exec_lo, exec_lo, s73
	s_and_saveexec_b32 s73, s15
	s_cbranch_execnz .LBB234_89
.LBB234_57:                             ;   in Loop: Header=BB234_41 Depth=1
	s_or_b32 exec_lo, exec_lo, s73
	s_and_saveexec_b32 s73, s16
	s_cbranch_execnz .LBB234_90
.LBB234_58:                             ;   in Loop: Header=BB234_41 Depth=1
	s_or_b32 exec_lo, exec_lo, s73
	s_and_saveexec_b32 s73, s17
	s_cbranch_execnz .LBB234_91
.LBB234_59:                             ;   in Loop: Header=BB234_41 Depth=1
	s_or_b32 exec_lo, exec_lo, s73
	s_and_saveexec_b32 s73, s18
	s_cbranch_execnz .LBB234_92
.LBB234_60:                             ;   in Loop: Header=BB234_41 Depth=1
	s_or_b32 exec_lo, exec_lo, s73
	s_and_saveexec_b32 s73, s19
	s_cbranch_execnz .LBB234_93
.LBB234_61:                             ;   in Loop: Header=BB234_41 Depth=1
	s_or_b32 exec_lo, exec_lo, s73
	s_and_saveexec_b32 s73, s20
	s_cbranch_execnz .LBB234_94
.LBB234_62:                             ;   in Loop: Header=BB234_41 Depth=1
	s_or_b32 exec_lo, exec_lo, s73
	s_and_saveexec_b32 s73, s21
	s_cbranch_execnz .LBB234_95
.LBB234_63:                             ;   in Loop: Header=BB234_41 Depth=1
	s_or_b32 exec_lo, exec_lo, s73
	s_and_saveexec_b32 s73, s22
	s_cbranch_execnz .LBB234_96
.LBB234_64:                             ;   in Loop: Header=BB234_41 Depth=1
	s_or_b32 exec_lo, exec_lo, s73
	s_and_saveexec_b32 s73, s23
	s_cbranch_execnz .LBB234_97
.LBB234_65:                             ;   in Loop: Header=BB234_41 Depth=1
	s_or_b32 exec_lo, exec_lo, s73
	s_and_saveexec_b32 s73, s24
	s_cbranch_execnz .LBB234_98
.LBB234_66:                             ;   in Loop: Header=BB234_41 Depth=1
	s_or_b32 exec_lo, exec_lo, s73
	s_and_saveexec_b32 s73, s25
	s_cbranch_execnz .LBB234_99
.LBB234_67:                             ;   in Loop: Header=BB234_41 Depth=1
	s_or_b32 exec_lo, exec_lo, s73
	s_and_saveexec_b32 s73, s26
	s_cbranch_execnz .LBB234_100
.LBB234_68:                             ;   in Loop: Header=BB234_41 Depth=1
	s_or_b32 exec_lo, exec_lo, s73
	s_and_saveexec_b32 s73, s27
	s_cbranch_execnz .LBB234_101
.LBB234_69:                             ;   in Loop: Header=BB234_41 Depth=1
	s_or_b32 exec_lo, exec_lo, s73
	s_and_saveexec_b32 s73, s28
	s_cbranch_execnz .LBB234_102
.LBB234_70:                             ;   in Loop: Header=BB234_41 Depth=1
	s_or_b32 exec_lo, exec_lo, s73
	s_and_saveexec_b32 s73, s29
	s_cbranch_execnz .LBB234_103
.LBB234_71:                             ;   in Loop: Header=BB234_41 Depth=1
	s_or_b32 exec_lo, exec_lo, s73
	s_and_saveexec_b32 s73, s30
	s_cbranch_execnz .LBB234_104
.LBB234_72:                             ;   in Loop: Header=BB234_41 Depth=1
	s_or_b32 exec_lo, exec_lo, s73
	s_and_saveexec_b32 s73, s31
	s_cbranch_execnz .LBB234_105
.LBB234_73:                             ;   in Loop: Header=BB234_41 Depth=1
	s_or_b32 exec_lo, exec_lo, s73
	s_and_saveexec_b32 s31, vcc_lo
	s_cbranch_execz .LBB234_40
	s_branch .LBB234_106
.LBB234_74:                             ;   in Loop: Header=BB234_41 Depth=1
	v_mov_b32_e32 v8, s37
	ds_load_b32 v8, v8
	s_waitcnt lgkmcnt(0)
	v_add_nc_u32_e32 v7, v8, v7
	s_or_b32 exec_lo, exec_lo, s73
	s_and_saveexec_b32 s73, s1
	s_cbranch_execz .LBB234_43
.LBB234_75:                             ;   in Loop: Header=BB234_41 Depth=1
	v_mov_b32_e32 v8, s38
	ds_load_b32 v8, v8
	s_waitcnt lgkmcnt(0)
	v_add_nc_u32_e32 v7, v8, v7
	s_or_b32 exec_lo, exec_lo, s73
	s_and_saveexec_b32 s73, s2
	s_cbranch_execz .LBB234_44
.LBB234_76:                             ;   in Loop: Header=BB234_41 Depth=1
	v_mov_b32_e32 v8, s39
	ds_load_b32 v8, v8
	s_waitcnt lgkmcnt(0)
	v_add_nc_u32_e32 v7, v8, v7
	s_or_b32 exec_lo, exec_lo, s73
	s_and_saveexec_b32 s73, s3
	s_cbranch_execz .LBB234_45
.LBB234_77:                             ;   in Loop: Header=BB234_41 Depth=1
	v_mov_b32_e32 v8, s40
	ds_load_b32 v8, v8
	s_waitcnt lgkmcnt(0)
	v_add_nc_u32_e32 v7, v8, v7
	s_or_b32 exec_lo, exec_lo, s73
	s_and_saveexec_b32 s73, s4
	s_cbranch_execz .LBB234_46
.LBB234_78:                             ;   in Loop: Header=BB234_41 Depth=1
	v_mov_b32_e32 v8, s41
	ds_load_b32 v8, v8
	s_waitcnt lgkmcnt(0)
	v_add_nc_u32_e32 v7, v8, v7
	s_or_b32 exec_lo, exec_lo, s73
	s_and_saveexec_b32 s73, s5
	s_cbranch_execz .LBB234_47
.LBB234_79:                             ;   in Loop: Header=BB234_41 Depth=1
	v_mov_b32_e32 v8, s44
	ds_load_b32 v8, v8
	s_waitcnt lgkmcnt(0)
	v_add_nc_u32_e32 v7, v8, v7
	s_or_b32 exec_lo, exec_lo, s73
	s_and_saveexec_b32 s73, s6
	s_cbranch_execz .LBB234_48
.LBB234_80:                             ;   in Loop: Header=BB234_41 Depth=1
	v_mov_b32_e32 v8, s45
	ds_load_b32 v8, v8
	s_waitcnt lgkmcnt(0)
	v_add_nc_u32_e32 v7, v8, v7
	s_or_b32 exec_lo, exec_lo, s73
	s_and_saveexec_b32 s73, s7
	s_cbranch_execz .LBB234_49
.LBB234_81:                             ;   in Loop: Header=BB234_41 Depth=1
	v_mov_b32_e32 v8, s47
	ds_load_b32 v8, v8
	s_waitcnt lgkmcnt(0)
	v_add_nc_u32_e32 v7, v8, v7
	s_or_b32 exec_lo, exec_lo, s73
	s_and_saveexec_b32 s73, s8
	s_cbranch_execz .LBB234_50
.LBB234_82:                             ;   in Loop: Header=BB234_41 Depth=1
	v_mov_b32_e32 v8, s49
	ds_load_b32 v8, v8
	s_waitcnt lgkmcnt(0)
	v_add_nc_u32_e32 v7, v8, v7
	s_or_b32 exec_lo, exec_lo, s73
	s_and_saveexec_b32 s73, s9
	s_cbranch_execz .LBB234_51
.LBB234_83:                             ;   in Loop: Header=BB234_41 Depth=1
	v_mov_b32_e32 v8, s50
	ds_load_b32 v8, v8
	s_waitcnt lgkmcnt(0)
	v_add_nc_u32_e32 v7, v8, v7
	s_or_b32 exec_lo, exec_lo, s73
	s_and_saveexec_b32 s73, s10
	s_cbranch_execz .LBB234_52
.LBB234_84:                             ;   in Loop: Header=BB234_41 Depth=1
	v_mov_b32_e32 v8, s51
	ds_load_b32 v8, v8
	s_waitcnt lgkmcnt(0)
	v_add_nc_u32_e32 v7, v8, v7
	s_or_b32 exec_lo, exec_lo, s73
	s_and_saveexec_b32 s73, s11
	s_cbranch_execz .LBB234_53
.LBB234_85:                             ;   in Loop: Header=BB234_41 Depth=1
	v_mov_b32_e32 v8, s52
	ds_load_b32 v8, v8
	s_waitcnt lgkmcnt(0)
	v_add_nc_u32_e32 v7, v8, v7
	s_or_b32 exec_lo, exec_lo, s73
	s_and_saveexec_b32 s73, s12
	s_cbranch_execz .LBB234_54
.LBB234_86:                             ;   in Loop: Header=BB234_41 Depth=1
	v_mov_b32_e32 v8, s53
	ds_load_b32 v8, v8
	s_waitcnt lgkmcnt(0)
	v_add_nc_u32_e32 v7, v8, v7
	s_or_b32 exec_lo, exec_lo, s73
	s_and_saveexec_b32 s73, s13
	s_cbranch_execz .LBB234_55
.LBB234_87:                             ;   in Loop: Header=BB234_41 Depth=1
	v_mov_b32_e32 v8, s54
	ds_load_b32 v8, v8
	s_waitcnt lgkmcnt(0)
	v_add_nc_u32_e32 v7, v8, v7
	s_or_b32 exec_lo, exec_lo, s73
	s_and_saveexec_b32 s73, s14
	s_cbranch_execz .LBB234_56
.LBB234_88:                             ;   in Loop: Header=BB234_41 Depth=1
	v_mov_b32_e32 v8, s55
	ds_load_b32 v8, v8
	s_waitcnt lgkmcnt(0)
	v_add_nc_u32_e32 v7, v8, v7
	s_or_b32 exec_lo, exec_lo, s73
	s_and_saveexec_b32 s73, s15
	s_cbranch_execz .LBB234_57
.LBB234_89:                             ;   in Loop: Header=BB234_41 Depth=1
	v_mov_b32_e32 v8, s56
	ds_load_b32 v8, v8
	s_waitcnt lgkmcnt(0)
	v_add_nc_u32_e32 v7, v8, v7
	s_or_b32 exec_lo, exec_lo, s73
	s_and_saveexec_b32 s73, s16
	s_cbranch_execz .LBB234_58
.LBB234_90:                             ;   in Loop: Header=BB234_41 Depth=1
	v_mov_b32_e32 v8, s57
	ds_load_b32 v8, v8
	s_waitcnt lgkmcnt(0)
	v_add_nc_u32_e32 v7, v8, v7
	s_or_b32 exec_lo, exec_lo, s73
	s_and_saveexec_b32 s73, s17
	s_cbranch_execz .LBB234_59
.LBB234_91:                             ;   in Loop: Header=BB234_41 Depth=1
	v_mov_b32_e32 v8, s58
	ds_load_b32 v8, v8
	s_waitcnt lgkmcnt(0)
	v_add_nc_u32_e32 v7, v8, v7
	s_or_b32 exec_lo, exec_lo, s73
	s_and_saveexec_b32 s73, s18
	s_cbranch_execz .LBB234_60
.LBB234_92:                             ;   in Loop: Header=BB234_41 Depth=1
	v_mov_b32_e32 v8, s59
	ds_load_b32 v8, v8
	s_waitcnt lgkmcnt(0)
	v_add_nc_u32_e32 v7, v8, v7
	s_or_b32 exec_lo, exec_lo, s73
	s_and_saveexec_b32 s73, s19
	s_cbranch_execz .LBB234_61
.LBB234_93:                             ;   in Loop: Header=BB234_41 Depth=1
	v_mov_b32_e32 v8, s60
	ds_load_b32 v8, v8
	s_waitcnt lgkmcnt(0)
	v_add_nc_u32_e32 v7, v8, v7
	s_or_b32 exec_lo, exec_lo, s73
	s_and_saveexec_b32 s73, s20
	s_cbranch_execz .LBB234_62
.LBB234_94:                             ;   in Loop: Header=BB234_41 Depth=1
	v_mov_b32_e32 v8, s61
	ds_load_b32 v8, v8
	s_waitcnt lgkmcnt(0)
	v_add_nc_u32_e32 v7, v8, v7
	s_or_b32 exec_lo, exec_lo, s73
	s_and_saveexec_b32 s73, s21
	s_cbranch_execz .LBB234_63
.LBB234_95:                             ;   in Loop: Header=BB234_41 Depth=1
	v_mov_b32_e32 v8, s62
	ds_load_b32 v8, v8
	s_waitcnt lgkmcnt(0)
	v_add_nc_u32_e32 v7, v8, v7
	s_or_b32 exec_lo, exec_lo, s73
	s_and_saveexec_b32 s73, s22
	s_cbranch_execz .LBB234_64
.LBB234_96:                             ;   in Loop: Header=BB234_41 Depth=1
	v_mov_b32_e32 v8, s63
	ds_load_b32 v8, v8
	s_waitcnt lgkmcnt(0)
	v_add_nc_u32_e32 v7, v8, v7
	s_or_b32 exec_lo, exec_lo, s73
	s_and_saveexec_b32 s73, s23
	s_cbranch_execz .LBB234_65
.LBB234_97:                             ;   in Loop: Header=BB234_41 Depth=1
	v_mov_b32_e32 v8, s64
	ds_load_b32 v8, v8
	s_waitcnt lgkmcnt(0)
	v_add_nc_u32_e32 v7, v8, v7
	s_or_b32 exec_lo, exec_lo, s73
	s_and_saveexec_b32 s73, s24
	s_cbranch_execz .LBB234_66
.LBB234_98:                             ;   in Loop: Header=BB234_41 Depth=1
	v_mov_b32_e32 v8, s65
	ds_load_b32 v8, v8
	s_waitcnt lgkmcnt(0)
	v_add_nc_u32_e32 v7, v8, v7
	s_or_b32 exec_lo, exec_lo, s73
	s_and_saveexec_b32 s73, s25
	s_cbranch_execz .LBB234_67
.LBB234_99:                             ;   in Loop: Header=BB234_41 Depth=1
	v_mov_b32_e32 v8, s66
	ds_load_b32 v8, v8
	s_waitcnt lgkmcnt(0)
	v_add_nc_u32_e32 v7, v8, v7
	s_or_b32 exec_lo, exec_lo, s73
	s_and_saveexec_b32 s73, s26
	s_cbranch_execz .LBB234_68
.LBB234_100:                            ;   in Loop: Header=BB234_41 Depth=1
	v_mov_b32_e32 v8, s67
	ds_load_b32 v8, v8
	s_waitcnt lgkmcnt(0)
	v_add_nc_u32_e32 v7, v8, v7
	s_or_b32 exec_lo, exec_lo, s73
	s_and_saveexec_b32 s73, s27
	s_cbranch_execz .LBB234_69
.LBB234_101:                            ;   in Loop: Header=BB234_41 Depth=1
	v_mov_b32_e32 v8, s69
	ds_load_b32 v8, v8
	s_waitcnt lgkmcnt(0)
	v_add_nc_u32_e32 v7, v8, v7
	s_or_b32 exec_lo, exec_lo, s73
	s_and_saveexec_b32 s73, s28
	s_cbranch_execz .LBB234_70
.LBB234_102:                            ;   in Loop: Header=BB234_41 Depth=1
	v_mov_b32_e32 v8, s70
	ds_load_b32 v8, v8
	s_waitcnt lgkmcnt(0)
	v_add_nc_u32_e32 v7, v8, v7
	s_or_b32 exec_lo, exec_lo, s73
	s_and_saveexec_b32 s73, s29
	s_cbranch_execz .LBB234_71
.LBB234_103:                            ;   in Loop: Header=BB234_41 Depth=1
	v_mov_b32_e32 v8, s71
	ds_load_b32 v8, v8
	s_waitcnt lgkmcnt(0)
	v_add_nc_u32_e32 v7, v8, v7
	s_or_b32 exec_lo, exec_lo, s73
	s_and_saveexec_b32 s73, s30
	s_cbranch_execz .LBB234_72
.LBB234_104:                            ;   in Loop: Header=BB234_41 Depth=1
	v_mov_b32_e32 v8, s72
	ds_load_b32 v8, v8
	s_waitcnt lgkmcnt(0)
	v_add_nc_u32_e32 v7, v8, v7
	s_or_b32 exec_lo, exec_lo, s73
	s_and_saveexec_b32 s73, s31
	s_cbranch_execz .LBB234_73
.LBB234_105:                            ;   in Loop: Header=BB234_41 Depth=1
	scratch_load_b128 v[8:11], off, off
	v_add3_u32 v12, v4, -1, v7
	s_delay_alu instid0(VALU_DEP_1) | instskip(SKIP_1) | instid1(VALU_DEP_2)
	v_lshlrev_b32_e32 v13, 4, v12
	v_lshl_add_u32 v12, v12, 2, 0
	v_add3_u32 v13, 0, v13, 0x10000
	ds_store_b32 v12, v6
	s_waitcnt vmcnt(0)
	ds_store_2addr_b64 v13, v[8:9], v[10:11] offset1:1
	s_or_b32 exec_lo, exec_lo, s73
	s_and_saveexec_b32 s31, vcc_lo
	s_cbranch_execz .LBB234_40
.LBB234_106:                            ;   in Loop: Header=BB234_41 Depth=1
	v_mov_b32_e32 v6, s68
	ds_store_b32 v6, v7
	s_branch .LBB234_40
.LBB234_107:                            ;   in Loop: Header=BB234_108 Depth=1
	s_or_b32 exec_lo, exec_lo, s4
	v_add_co_u32 v5, vcc_lo, 0x400, v5
	v_add_co_ci_u32_e32 v6, vcc_lo, 0, v6, vcc_lo
	s_delay_alu instid0(VALU_DEP_1) | instskip(SKIP_1) | instid1(SALU_CYCLE_1)
	v_cmp_le_i64_e32 vcc_lo, s[0:1], v[5:6]
	s_or_b32 s3, vcc_lo, s3
	s_and_not1_b32 exec_lo, exec_lo, s3
	s_cbranch_execz .LBB234_38
.LBB234_108:                            ; =>This Loop Header: Depth=1
                                        ;     Child Loop BB234_110 Depth 2
                                        ;       Child Loop BB234_116 Depth 3
                                        ;       Child Loop BB234_118 Depth 3
	;; [unrolled: 1-line block ×4, first 2 shown]
	v_lshlrev_b64 v[7:8], 4, v[5:6]
	s_mov_b32 s4, 0
	s_delay_alu instid0(VALU_DEP_1) | instskip(NEXT) | instid1(VALU_DEP_2)
	v_add_co_u32 v7, vcc_lo, s40, v7
	v_add_co_ci_u32_e32 v8, vcc_lo, s41, v8, vcc_lo
	global_load_b128 v[9:12], v[7:8], off
	v_lshlrev_b64 v[7:8], 2, v[5:6]
	s_delay_alu instid0(VALU_DEP_1) | instskip(NEXT) | instid1(VALU_DEP_2)
	v_add_co_u32 v7, vcc_lo, s38, v7
	v_add_co_ci_u32_e32 v8, vcc_lo, s39, v8, vcc_lo
	global_load_b32 v13, v[7:8], off
	s_waitcnt vmcnt(1)
	v_mul_f64 v[7:8], v[11:12], -v[1:2]
	v_mul_f64 v[11:12], v[3:4], v[11:12]
	s_waitcnt vmcnt(0)
	v_subrev_nc_u32_e32 v13, s47, v13
	s_delay_alu instid0(VALU_DEP_3) | instskip(NEXT) | instid1(VALU_DEP_3)
	v_fma_f64 v[7:8], v[3:4], v[9:10], v[7:8]
	v_fma_f64 v[9:10], v[1:2], v[9:10], v[11:12]
	s_delay_alu instid0(VALU_DEP_3) | instskip(NEXT) | instid1(VALU_DEP_1)
	v_mul_lo_u32 v11, 0x89, v13
	v_and_b32_e32 v14, 0x3fff, v11
	s_branch .LBB234_110
.LBB234_109:                            ;   in Loop: Header=BB234_110 Depth=2
	s_or_b32 exec_lo, exec_lo, s5
	s_xor_b32 s5, s6, -1
	s_delay_alu instid0(SALU_CYCLE_1) | instskip(NEXT) | instid1(SALU_CYCLE_1)
	s_and_b32 s5, exec_lo, s5
	s_or_b32 s4, s5, s4
	s_delay_alu instid0(SALU_CYCLE_1)
	s_and_not1_b32 exec_lo, exec_lo, s4
	s_cbranch_execz .LBB234_107
.LBB234_110:                            ;   Parent Loop BB234_108 Depth=1
                                        ; =>  This Loop Header: Depth=2
                                        ;       Child Loop BB234_116 Depth 3
                                        ;       Child Loop BB234_118 Depth 3
                                        ;       Child Loop BB234_124 Depth 3
                                        ;       Child Loop BB234_126 Depth 3
	s_delay_alu instid0(VALU_DEP_1)
	v_lshl_add_u32 v11, v14, 2, 0
	s_mov_b32 s5, exec_lo
                                        ; implicit-def: $sgpr6
	ds_load_b32 v12, v11
	s_waitcnt lgkmcnt(0)
	v_cmpx_ne_u32_e64 v12, v13
	s_xor_b32 s5, exec_lo, s5
	s_cbranch_execz .LBB234_122
; %bb.111:                              ;   in Loop: Header=BB234_110 Depth=2
	s_mov_b32 s7, exec_lo
                                        ; implicit-def: $sgpr6
	v_cmpx_ne_u32_e64 s33, v12
	s_xor_b32 s7, exec_lo, s7
; %bb.112:                              ;   in Loop: Header=BB234_110 Depth=2
	v_add_nc_u32_e32 v11, 1, v14
	s_mov_b32 s6, -1
	s_delay_alu instid0(VALU_DEP_1)
	v_and_b32_e32 v14, 0x3fff, v11
                                        ; implicit-def: $vgpr11
; %bb.113:                              ;   in Loop: Header=BB234_110 Depth=2
	s_and_not1_saveexec_b32 s7, s7
	s_cbranch_execz .LBB234_121
; %bb.114:                              ;   in Loop: Header=BB234_110 Depth=2
	v_mov_b32_e32 v12, s33
	s_mov_b32 s9, -1
	s_mov_b32 s8, exec_lo
	ds_cmpstore_rtn_b32 v11, v11, v13, v12
	s_waitcnt lgkmcnt(0)
	v_cmpx_eq_u32_e64 s33, v11
	s_cbranch_execz .LBB234_120
; %bb.115:                              ;   in Loop: Header=BB234_110 Depth=2
	v_lshlrev_b32_e32 v11, 4, v14
	s_mov_b32 s9, 0
	s_delay_alu instid0(VALU_DEP_1)
	v_add3_u32 v15, 0, v11, 0x10000
	ds_load_b64 v[11:12], v15
.LBB234_116:                            ;   Parent Loop BB234_108 Depth=1
                                        ;     Parent Loop BB234_110 Depth=2
                                        ; =>    This Inner Loop Header: Depth=3
	s_waitcnt lgkmcnt(0)
	v_add_f64 v[16:17], v[11:12], v[7:8]
	ds_cmpstore_rtn_b64 v[16:17], v15, v[16:17], v[11:12]
	s_waitcnt lgkmcnt(0)
	v_cmp_eq_u64_e32 vcc_lo, v[16:17], v[11:12]
	v_dual_mov_b32 v11, v16 :: v_dual_mov_b32 v12, v17
	s_or_b32 s9, vcc_lo, s9
	s_delay_alu instid0(SALU_CYCLE_1)
	s_and_not1_b32 exec_lo, exec_lo, s9
	s_cbranch_execnz .LBB234_116
; %bb.117:                              ;   in Loop: Header=BB234_110 Depth=2
	s_or_b32 exec_lo, exec_lo, s9
	ds_load_b64 v[11:12], v15 offset:8
	s_mov_b32 s9, 0
.LBB234_118:                            ;   Parent Loop BB234_108 Depth=1
                                        ;     Parent Loop BB234_110 Depth=2
                                        ; =>    This Inner Loop Header: Depth=3
	s_waitcnt lgkmcnt(0)
	v_add_f64 v[16:17], v[11:12], v[9:10]
	ds_cmpstore_rtn_b64 v[16:17], v15, v[16:17], v[11:12] offset:8
	s_waitcnt lgkmcnt(0)
	v_cmp_eq_u64_e32 vcc_lo, v[16:17], v[11:12]
	v_dual_mov_b32 v11, v16 :: v_dual_mov_b32 v12, v17
	s_or_b32 s9, vcc_lo, s9
	s_delay_alu instid0(SALU_CYCLE_1)
	s_and_not1_b32 exec_lo, exec_lo, s9
	s_cbranch_execnz .LBB234_118
; %bb.119:                              ;   in Loop: Header=BB234_110 Depth=2
	s_or_b32 exec_lo, exec_lo, s9
	s_delay_alu instid0(SALU_CYCLE_1)
	s_xor_b32 s9, exec_lo, -1
.LBB234_120:                            ;   in Loop: Header=BB234_110 Depth=2
	s_or_b32 exec_lo, exec_lo, s8
	s_delay_alu instid0(SALU_CYCLE_1) | instskip(SKIP_1) | instid1(SALU_CYCLE_1)
	s_and_not1_b32 s6, s6, exec_lo
	s_and_b32 s8, s9, exec_lo
	s_or_b32 s6, s6, s8
.LBB234_121:                            ;   in Loop: Header=BB234_110 Depth=2
	s_or_b32 exec_lo, exec_lo, s7
	s_delay_alu instid0(SALU_CYCLE_1)
	s_and_b32 s6, s6, exec_lo
.LBB234_122:                            ;   in Loop: Header=BB234_110 Depth=2
	s_and_not1_saveexec_b32 s5, s5
	s_cbranch_execz .LBB234_109
; %bb.123:                              ;   in Loop: Header=BB234_110 Depth=2
	v_lshlrev_b32_e32 v11, 4, v14
	s_mov_b32 s7, 0
	s_delay_alu instid0(VALU_DEP_1)
	v_add3_u32 v15, 0, v11, 0x10000
	ds_load_b64 v[11:12], v15
.LBB234_124:                            ;   Parent Loop BB234_108 Depth=1
                                        ;     Parent Loop BB234_110 Depth=2
                                        ; =>    This Inner Loop Header: Depth=3
	s_waitcnt lgkmcnt(0)
	v_add_f64 v[16:17], v[11:12], v[7:8]
	ds_cmpstore_rtn_b64 v[16:17], v15, v[16:17], v[11:12]
	s_waitcnt lgkmcnt(0)
	v_cmp_eq_u64_e32 vcc_lo, v[16:17], v[11:12]
	v_dual_mov_b32 v11, v16 :: v_dual_mov_b32 v12, v17
	s_or_b32 s7, vcc_lo, s7
	s_delay_alu instid0(SALU_CYCLE_1)
	s_and_not1_b32 exec_lo, exec_lo, s7
	s_cbranch_execnz .LBB234_124
; %bb.125:                              ;   in Loop: Header=BB234_110 Depth=2
	s_or_b32 exec_lo, exec_lo, s7
	ds_load_b64 v[11:12], v15 offset:8
	s_mov_b32 s7, 0
.LBB234_126:                            ;   Parent Loop BB234_108 Depth=1
                                        ;     Parent Loop BB234_110 Depth=2
                                        ; =>    This Inner Loop Header: Depth=3
	s_waitcnt lgkmcnt(0)
	v_add_f64 v[16:17], v[11:12], v[9:10]
	ds_cmpstore_rtn_b64 v[16:17], v15, v[16:17], v[11:12] offset:8
	s_waitcnt lgkmcnt(0)
	v_cmp_eq_u64_e32 vcc_lo, v[16:17], v[11:12]
	v_dual_mov_b32 v11, v16 :: v_dual_mov_b32 v12, v17
	s_or_b32 s7, vcc_lo, s7
	s_delay_alu instid0(SALU_CYCLE_1)
	s_and_not1_b32 exec_lo, exec_lo, s7
	s_cbranch_execnz .LBB234_126
; %bb.127:                              ;   in Loop: Header=BB234_110 Depth=2
	s_or_b32 exec_lo, exec_lo, s7
	s_delay_alu instid0(SALU_CYCLE_1)
	s_and_not1_b32 s6, s6, exec_lo
	s_branch .LBB234_109
.LBB234_128:
	s_or_b32 exec_lo, exec_lo, s36
	s_ashr_i32 s49, s48, 31
	s_mov_b32 s4, exec_lo
	s_lshl_b64 s[0:1], s[48:49], 3
	s_delay_alu instid0(SALU_CYCLE_1) | instskip(SKIP_4) | instid1(SALU_CYCLE_1)
	s_add_u32 s0, s42, s0
	s_addc_u32 s1, s43, s1
	s_load_b128 s[0:3], s[0:1], 0x0
	s_waitcnt lgkmcnt(0)
	s_sub_i32 s3, s2, s0
	v_cmpx_gt_i32_e64 s3, v0
	s_cbranch_execz .LBB234_138
; %bb.129:
	s_sub_u32 s4, s0, s46
	s_subb_u32 s5, s1, 0
	s_sub_i32 s0, s0, s2
	s_and_b32 s1, s3, 7
	s_cmp_lt_u32 s0, -7
	s_mov_b32 s8, 0
	s_cselect_b32 s2, -1, 0
	s_and_b32 s6, s3, -8
	s_cmp_lg_u32 s1, 0
	s_cselect_b32 s7, -1, 0
	s_branch .LBB234_131
.LBB234_130:                            ;   in Loop: Header=BB234_131 Depth=1
	s_waitcnt lgkmcnt(0)
	v_lshlrev_b32_e32 v3, 4, v0
	v_lshlrev_b64 v[1:2], 4, v[1:2]
	v_add_nc_u32_e32 v0, 0x400, v0
	s_delay_alu instid0(VALU_DEP_3) | instskip(NEXT) | instid1(VALU_DEP_2)
	v_add3_u32 v3, 0, v3, 0x10000
	v_cmp_le_i32_e32 vcc_lo, s3, v0
	s_delay_alu instid0(VALU_DEP_4)
	v_add_co_u32 v1, s0, s34, v1
	ds_load_2addr_b64 v[3:6], v3 offset1:1
	v_add_co_ci_u32_e64 v2, s0, s35, v2, s0
	s_or_b32 s8, vcc_lo, s8
	s_waitcnt lgkmcnt(0)
	global_store_b128 v[1:2], v[3:6], off
	s_and_not1_b32 exec_lo, exec_lo, s8
	s_cbranch_execz .LBB234_138
.LBB234_131:                            ; =>This Loop Header: Depth=1
                                        ;     Child Loop BB234_133 Depth 2
                                        ;     Child Loop BB234_137 Depth 2
	v_lshl_add_u32 v1, v0, 2, 0
	s_and_not1_b32 vcc_lo, exec_lo, s2
	s_mov_b32 s0, 0
	ds_load_b32 v3, v1
	v_dual_mov_b32 v1, s4 :: v_dual_mov_b32 v2, s5
	s_cbranch_vccnz .LBB234_135
; %bb.132:                              ;   in Loop: Header=BB234_131 Depth=1
	v_dual_mov_b32 v1, s4 :: v_dual_mov_b32 v2, s5
	s_mov_b32 s9, 0
	s_mov_b32 s10, 0
.LBB234_133:                            ;   Parent Loop BB234_131 Depth=1
                                        ; =>  This Inner Loop Header: Depth=2
	s_delay_alu instid0(SALU_CYCLE_1)
	v_mov_b32_e32 v10, s10
	s_add_i32 s9, s9, 8
	s_add_i32 s10, s10, 32
	s_cmp_eq_u32 s6, s9
	ds_load_2addr_b32 v[4:5], v10 offset1:1
	ds_load_2addr_b32 v[6:7], v10 offset0:2 offset1:3
	ds_load_2addr_b32 v[8:9], v10 offset0:4 offset1:5
	;; [unrolled: 1-line block ×3, first 2 shown]
	s_waitcnt lgkmcnt(3)
	v_cmp_gt_i32_e32 vcc_lo, v3, v4
	v_cndmask_b32_e64 v4, 0, 1, vcc_lo
	v_cmp_gt_i32_e32 vcc_lo, v3, v5
	v_cndmask_b32_e64 v5, 0, 1, vcc_lo
	s_waitcnt lgkmcnt(2)
	v_cmp_gt_i32_e32 vcc_lo, v3, v6
	v_cndmask_b32_e64 v6, 0, 1, vcc_lo
	v_cmp_gt_i32_e32 vcc_lo, v3, v7
	v_cndmask_b32_e64 v7, 0, 1, vcc_lo
	s_waitcnt lgkmcnt(1)
	v_cmp_gt_i32_e32 vcc_lo, v3, v8
	v_cndmask_b32_e64 v8, 0, 1, vcc_lo
	v_add_co_u32 v1, vcc_lo, v1, v4
	v_add_co_ci_u32_e32 v2, vcc_lo, 0, v2, vcc_lo
	v_cmp_gt_i32_e32 vcc_lo, v3, v9
	s_delay_alu instid0(VALU_DEP_3) | instskip(NEXT) | instid1(VALU_DEP_1)
	v_add_co_u32 v1, s0, v1, v5
	v_add_co_ci_u32_e64 v2, s0, 0, v2, s0
	v_cndmask_b32_e64 v4, 0, 1, vcc_lo
	s_delay_alu instid0(VALU_DEP_3) | instskip(NEXT) | instid1(VALU_DEP_3)
	v_add_co_u32 v1, vcc_lo, v1, v6
	v_add_co_ci_u32_e32 v2, vcc_lo, 0, v2, vcc_lo
	s_waitcnt lgkmcnt(0)
	v_cmp_gt_i32_e32 vcc_lo, v3, v10
	s_delay_alu instid0(VALU_DEP_3) | instskip(NEXT) | instid1(VALU_DEP_1)
	v_add_co_u32 v1, s0, v1, v7
	v_add_co_ci_u32_e64 v2, s0, 0, v2, s0
	v_cndmask_b32_e64 v5, 0, 1, vcc_lo
	s_delay_alu instid0(VALU_DEP_3) | instskip(NEXT) | instid1(VALU_DEP_3)
	v_add_co_u32 v1, vcc_lo, v1, v8
	v_add_co_ci_u32_e32 v2, vcc_lo, 0, v2, vcc_lo
	v_cmp_gt_i32_e32 vcc_lo, v3, v11
	s_delay_alu instid0(VALU_DEP_3) | instskip(NEXT) | instid1(VALU_DEP_1)
	v_add_co_u32 v1, s0, v1, v4
	v_add_co_ci_u32_e64 v2, s0, 0, v2, s0
	v_cndmask_b32_e64 v4, 0, 1, vcc_lo
	s_delay_alu instid0(VALU_DEP_3) | instskip(NEXT) | instid1(VALU_DEP_3)
	v_add_co_u32 v1, vcc_lo, v1, v5
	v_add_co_ci_u32_e32 v2, vcc_lo, 0, v2, vcc_lo
	s_delay_alu instid0(VALU_DEP_2) | instskip(NEXT) | instid1(VALU_DEP_2)
	v_add_co_u32 v1, vcc_lo, v1, v4
	v_add_co_ci_u32_e32 v2, vcc_lo, 0, v2, vcc_lo
	s_cbranch_scc0 .LBB234_133
; %bb.134:                              ;   in Loop: Header=BB234_131 Depth=1
	s_mov_b32 s0, s6
.LBB234_135:                            ;   in Loop: Header=BB234_131 Depth=1
	s_and_not1_b32 vcc_lo, exec_lo, s7
	s_cbranch_vccnz .LBB234_130
; %bb.136:                              ;   in Loop: Header=BB234_131 Depth=1
	s_lshl_b32 s0, s0, 2
	s_mov_b32 s9, s1
	s_add_i32 s0, s0, 0
.LBB234_137:                            ;   Parent Loop BB234_131 Depth=1
                                        ; =>  This Inner Loop Header: Depth=2
	s_delay_alu instid0(SALU_CYCLE_1)
	v_mov_b32_e32 v4, s0
	s_add_i32 s9, s9, -1
	s_add_i32 s0, s0, 4
	s_cmp_lg_u32 s9, 0
	ds_load_b32 v4, v4
	s_waitcnt lgkmcnt(0)
	v_cmp_gt_i32_e32 vcc_lo, v3, v4
	v_cndmask_b32_e64 v4, 0, 1, vcc_lo
	s_delay_alu instid0(VALU_DEP_1)
	v_add_co_u32 v1, vcc_lo, v1, v4
	v_add_co_ci_u32_e32 v2, vcc_lo, 0, v2, vcc_lo
	s_cbranch_scc1 .LBB234_137
	s_branch .LBB234_130
.LBB234_138:
	s_nop 0
	s_sendmsg sendmsg(MSG_DEALLOC_VGPRS)
	s_endpgm
	.section	.rodata,"a",@progbits
	.p2align	6, 0x0
	.amdhsa_kernel _ZN9rocsparseL41csrgemm_numeric_fill_block_per_row_kernelILj1024ELj64ELj16384ELj137ELj32Eli21rocsparse_complex_numIdEEEvT5_PKS3_S5_NS_24const_host_device_scalarIT6_EEPKT4_S5_PKS7_SB_S5_SD_S8_SB_S5_SD_SB_S5_PS7_21rocsparse_index_base_SF_SF_SF_bbb
		.amdhsa_group_segment_fixed_size 0
		.amdhsa_private_segment_fixed_size 40
		.amdhsa_kernarg_size 172
		.amdhsa_user_sgpr_count 15
		.amdhsa_user_sgpr_dispatch_ptr 0
		.amdhsa_user_sgpr_queue_ptr 0
		.amdhsa_user_sgpr_kernarg_segment_ptr 1
		.amdhsa_user_sgpr_dispatch_id 0
		.amdhsa_user_sgpr_private_segment_size 0
		.amdhsa_wavefront_size32 1
		.amdhsa_uses_dynamic_stack 0
		.amdhsa_enable_private_segment 1
		.amdhsa_system_sgpr_workgroup_id_x 1
		.amdhsa_system_sgpr_workgroup_id_y 0
		.amdhsa_system_sgpr_workgroup_id_z 0
		.amdhsa_system_sgpr_workgroup_info 0
		.amdhsa_system_vgpr_workitem_id 0
		.amdhsa_next_free_vgpr 35
		.amdhsa_next_free_sgpr 74
		.amdhsa_reserve_vcc 1
		.amdhsa_float_round_mode_32 0
		.amdhsa_float_round_mode_16_64 0
		.amdhsa_float_denorm_mode_32 3
		.amdhsa_float_denorm_mode_16_64 3
		.amdhsa_dx10_clamp 1
		.amdhsa_ieee_mode 1
		.amdhsa_fp16_overflow 0
		.amdhsa_workgroup_processor_mode 1
		.amdhsa_memory_ordered 1
		.amdhsa_forward_progress 0
		.amdhsa_shared_vgpr_count 0
		.amdhsa_exception_fp_ieee_invalid_op 0
		.amdhsa_exception_fp_denorm_src 0
		.amdhsa_exception_fp_ieee_div_zero 0
		.amdhsa_exception_fp_ieee_overflow 0
		.amdhsa_exception_fp_ieee_underflow 0
		.amdhsa_exception_fp_ieee_inexact 0
		.amdhsa_exception_int_div_zero 0
	.end_amdhsa_kernel
	.section	.text._ZN9rocsparseL41csrgemm_numeric_fill_block_per_row_kernelILj1024ELj64ELj16384ELj137ELj32Eli21rocsparse_complex_numIdEEEvT5_PKS3_S5_NS_24const_host_device_scalarIT6_EEPKT4_S5_PKS7_SB_S5_SD_S8_SB_S5_SD_SB_S5_PS7_21rocsparse_index_base_SF_SF_SF_bbb,"axG",@progbits,_ZN9rocsparseL41csrgemm_numeric_fill_block_per_row_kernelILj1024ELj64ELj16384ELj137ELj32Eli21rocsparse_complex_numIdEEEvT5_PKS3_S5_NS_24const_host_device_scalarIT6_EEPKT4_S5_PKS7_SB_S5_SD_S8_SB_S5_SD_SB_S5_PS7_21rocsparse_index_base_SF_SF_SF_bbb,comdat
.Lfunc_end234:
	.size	_ZN9rocsparseL41csrgemm_numeric_fill_block_per_row_kernelILj1024ELj64ELj16384ELj137ELj32Eli21rocsparse_complex_numIdEEEvT5_PKS3_S5_NS_24const_host_device_scalarIT6_EEPKT4_S5_PKS7_SB_S5_SD_S8_SB_S5_SD_SB_S5_PS7_21rocsparse_index_base_SF_SF_SF_bbb, .Lfunc_end234-_ZN9rocsparseL41csrgemm_numeric_fill_block_per_row_kernelILj1024ELj64ELj16384ELj137ELj32Eli21rocsparse_complex_numIdEEEvT5_PKS3_S5_NS_24const_host_device_scalarIT6_EEPKT4_S5_PKS7_SB_S5_SD_S8_SB_S5_SD_SB_S5_PS7_21rocsparse_index_base_SF_SF_SF_bbb
                                        ; -- End function
	.section	.AMDGPU.csdata,"",@progbits
; Kernel info:
; codeLenInByte = 5560
; NumSgprs: 76
; NumVgprs: 35
; ScratchSize: 40
; MemoryBound: 0
; FloatMode: 240
; IeeeMode: 1
; LDSByteSize: 0 bytes/workgroup (compile time only)
; SGPRBlocks: 9
; VGPRBlocks: 4
; NumSGPRsForWavesPerEU: 76
; NumVGPRsForWavesPerEU: 35
; Occupancy: 16
; WaveLimiterHint : 1
; COMPUTE_PGM_RSRC2:SCRATCH_EN: 1
; COMPUTE_PGM_RSRC2:USER_SGPR: 15
; COMPUTE_PGM_RSRC2:TRAP_HANDLER: 0
; COMPUTE_PGM_RSRC2:TGID_X_EN: 1
; COMPUTE_PGM_RSRC2:TGID_Y_EN: 0
; COMPUTE_PGM_RSRC2:TGID_Z_EN: 0
; COMPUTE_PGM_RSRC2:TIDIG_COMP_CNT: 0
	.section	.text._ZN9rocsparseL41csrgemm_numeric_fill_block_per_row_kernelILj1024ELj64ELj16384ELj137ELj64Eli21rocsparse_complex_numIdEEEvT5_PKS3_S5_NS_24const_host_device_scalarIT6_EEPKT4_S5_PKS7_SB_S5_SD_S8_SB_S5_SD_SB_S5_PS7_21rocsparse_index_base_SF_SF_SF_bbb,"axG",@progbits,_ZN9rocsparseL41csrgemm_numeric_fill_block_per_row_kernelILj1024ELj64ELj16384ELj137ELj64Eli21rocsparse_complex_numIdEEEvT5_PKS3_S5_NS_24const_host_device_scalarIT6_EEPKT4_S5_PKS7_SB_S5_SD_S8_SB_S5_SD_SB_S5_PS7_21rocsparse_index_base_SF_SF_SF_bbb,comdat
	.globl	_ZN9rocsparseL41csrgemm_numeric_fill_block_per_row_kernelILj1024ELj64ELj16384ELj137ELj64Eli21rocsparse_complex_numIdEEEvT5_PKS3_S5_NS_24const_host_device_scalarIT6_EEPKT4_S5_PKS7_SB_S5_SD_S8_SB_S5_SD_SB_S5_PS7_21rocsparse_index_base_SF_SF_SF_bbb ; -- Begin function _ZN9rocsparseL41csrgemm_numeric_fill_block_per_row_kernelILj1024ELj64ELj16384ELj137ELj64Eli21rocsparse_complex_numIdEEEvT5_PKS3_S5_NS_24const_host_device_scalarIT6_EEPKT4_S5_PKS7_SB_S5_SD_S8_SB_S5_SD_SB_S5_PS7_21rocsparse_index_base_SF_SF_SF_bbb
	.p2align	8
	.type	_ZN9rocsparseL41csrgemm_numeric_fill_block_per_row_kernelILj1024ELj64ELj16384ELj137ELj64Eli21rocsparse_complex_numIdEEEvT5_PKS3_S5_NS_24const_host_device_scalarIT6_EEPKT4_S5_PKS7_SB_S5_SD_S8_SB_S5_SD_SB_S5_PS7_21rocsparse_index_base_SF_SF_SF_bbb,@function
_ZN9rocsparseL41csrgemm_numeric_fill_block_per_row_kernelILj1024ELj64ELj16384ELj137ELj64Eli21rocsparse_complex_numIdEEEvT5_PKS3_S5_NS_24const_host_device_scalarIT6_EEPKT4_S5_PKS7_SB_S5_SD_S8_SB_S5_SD_SB_S5_PS7_21rocsparse_index_base_SF_SF_SF_bbb: ; @_ZN9rocsparseL41csrgemm_numeric_fill_block_per_row_kernelILj1024ELj64ELj16384ELj137ELj64Eli21rocsparse_complex_numIdEEEvT5_PKS3_S5_NS_24const_host_device_scalarIT6_EEPKT4_S5_PKS7_SB_S5_SD_S8_SB_S5_SD_SB_S5_PS7_21rocsparse_index_base_SF_SF_SF_bbb
; %bb.0:
	s_clause 0x3
	s_load_b32 s14, s[0:1], 0xa8
	s_load_b128 s[4:7], s[0:1], 0x18
	s_load_b128 s[36:39], s[0:1], 0x58
	;; [unrolled: 1-line block ×3, first 2 shown]
	v_mov_b32_e32 v1, 0
	v_mov_b32_e32 v2, 0
	s_waitcnt lgkmcnt(0)
	s_bitcmp1_b32 s14, 0
	v_mov_b32_e32 v3, s4
	s_cselect_b32 s12, -1, 0
	s_bitcmp1_b32 s14, 16
	v_dual_mov_b32 v6, v2 :: v_dual_mov_b32 v5, v1
	s_cselect_b32 s2, -1, 0
	v_mov_b32_e32 v4, s5
	s_xor_b32 s13, s2, -1
	v_dual_mov_b32 v9, s36 :: v_dual_mov_b32 v10, s37
	v_cndmask_b32_e64 v7, 0, 1, s13
	s_bitcmp0_b32 s14, 0
	s_clause 0x1
	scratch_store_b64 off, v[3:4], off offset:16
	scratch_store_b64 off, v[9:10], off offset:24
	v_cmp_ne_u32_e32 vcc_lo, 1, v7
	v_dual_mov_b32 v8, v2 :: v_dual_mov_b32 v7, v1
	s_cbranch_scc1 .LBB235_3
; %bb.1:
	s_mov_b64 s[8:9], src_private_base
	s_and_b32 s3, s2, exec_lo
	s_cselect_b32 s3, s9, s5
	s_delay_alu instid0(SALU_CYCLE_1) | instskip(SKIP_2) | instid1(VALU_DEP_2)
	v_dual_mov_b32 v3, 16 :: v_dual_mov_b32 v4, s3
	v_dual_mov_b32 v8, s7 :: v_dual_mov_b32 v7, s6
	s_and_b32 vcc_lo, exec_lo, vcc_lo
	v_cndmask_b32_e64 v3, s4, v3, s2
	flat_load_b64 v[5:6], v[3:4]
	s_cbranch_vccnz .LBB235_3
; %bb.2:
	v_dual_mov_b32 v3, s4 :: v_dual_mov_b32 v4, s5
	flat_load_b64 v[7:8], v[3:4] offset:8
.LBB235_3:
	s_clause 0x4
	s_load_b64 s[34:35], s[0:1], 0x90
	s_load_b256 s[16:23], s[0:1], 0x68
	s_load_b128 s[28:31], s[0:1], 0x48
	s_load_b128 s[40:43], s[0:1], 0x8
	s_load_b256 s[4:11], s[0:1], 0x28
	s_bitcmp1_b32 s14, 8
	v_dual_mov_b32 v4, v2 :: v_dual_mov_b32 v3, v1
	s_cselect_b32 s3, -1, 0
	s_bfe_u32 s14, s14, 0x10008
	s_delay_alu instid0(SALU_CYCLE_1)
	s_cmp_eq_u32 s14, 0
	s_cbranch_scc1 .LBB235_6
; %bb.4:
	s_mov_b64 s[44:45], src_private_base
	s_and_b32 s14, s2, exec_lo
	s_cselect_b32 s14, s45, s37
	s_delay_alu instid0(SALU_CYCLE_1) | instskip(SKIP_1) | instid1(VALU_DEP_1)
	v_dual_mov_b32 v1, 24 :: v_dual_mov_b32 v2, s14
	s_and_not1_b32 vcc_lo, exec_lo, s13
	v_cndmask_b32_e64 v1, s36, v1, s2
	flat_load_b64 v[3:4], v[1:2]
	v_dual_mov_b32 v1, s38 :: v_dual_mov_b32 v2, s39
	s_cbranch_vccnz .LBB235_6
; %bb.5:
	v_dual_mov_b32 v1, s36 :: v_dual_mov_b32 v2, s37
	flat_load_b64 v[1:2], v[1:2] offset:8
.LBB235_6:
	s_load_b32 s33, s[0:1], 0x0
	s_mov_b32 s0, 0
	v_or_b32_e32 v25, 0xfffffc00, v0
	v_lshl_add_u32 v26, v0, 2, 0
	s_mov_b32 s1, s0
	s_delay_alu instid0(SALU_CYCLE_1)
	v_dual_mov_b32 v10, s1 :: v_dual_lshlrev_b32 v27, 4, v0
	s_mov_b32 s36, s0
	s_mov_b32 s37, s0
	v_dual_mov_b32 v11, s36 :: v_dual_mov_b32 v14, v26
	v_dual_mov_b32 v9, s0 :: v_dual_mov_b32 v12, s37
	v_add3_u32 v13, v27, 0, 0x10008
	s_waitcnt lgkmcnt(0)
	v_dual_mov_b32 v16, v25 :: v_dual_mov_b32 v15, s33
.LBB235_7:                              ; =>This Inner Loop Header: Depth=1
	s_delay_alu instid0(VALU_DEP_1)
	v_add_nc_u32_e32 v16, 0x400, v16
	ds_store_b32 v14, v15
	v_add_nc_u32_e32 v17, -8, v13
	v_add_nc_u32_e32 v13, 0x4000, v13
	v_add_nc_u32_e32 v14, 0x1000, v14
	v_cmp_lt_u32_e32 vcc_lo, 0x3bff, v16
	ds_store_2addr_b64 v17, v[9:10], v[11:12] offset1:1
	s_or_b32 s0, vcc_lo, s0
	s_delay_alu instid0(SALU_CYCLE_1)
	s_and_not1_b32 exec_lo, exec_lo, s0
	s_cbranch_execnz .LBB235_7
; %bb.8:
	s_or_b32 exec_lo, exec_lo, s0
	s_waitcnt vmcnt(0) lgkmcnt(0)
	s_waitcnt_vscnt null, 0x0
	s_barrier
	buffer_gl0_inv
	s_load_b32 s0, s[40:41], 0x0
	s_mov_b32 s1, 0
	v_lshrrev_b32_e32 v28, 6, v0
	s_waitcnt lgkmcnt(0)
	s_add_i32 s0, s0, s15
	s_delay_alu instid0(SALU_CYCLE_1) | instskip(NEXT) | instid1(SALU_CYCLE_1)
	s_lshl_b64 s[0:1], s[0:1], 2
	s_add_u32 s0, s42, s0
	s_addc_u32 s1, s43, s1
	s_and_b32 vcc_lo, exec_lo, s12
	s_load_b32 s36, s[0:1], 0x0
	s_cbranch_vccz .LBB235_36
; %bb.9:
	s_waitcnt lgkmcnt(0)
	s_ashr_i32 s37, s36, 31
	s_mov_b32 s2, exec_lo
	s_lshl_b64 s[0:1], s[36:37], 3
	s_delay_alu instid0(SALU_CYCLE_1) | instskip(SKIP_3) | instid1(VALU_DEP_1)
	s_add_u32 s0, s4, s0
	s_addc_u32 s1, s5, s1
	s_load_b128 s[12:15], s[0:1], 0x0
	v_sub_co_u32 v9, s0, v28, s24
	v_sub_co_ci_u32_e64 v10, null, 0, 0, s0
	s_waitcnt lgkmcnt(0)
	s_delay_alu instid0(VALU_DEP_2) | instskip(NEXT) | instid1(VALU_DEP_2)
	v_add_co_u32 v9, vcc_lo, s12, v9
	v_add_co_ci_u32_e32 v10, vcc_lo, s13, v10, vcc_lo
	s_sub_u32 s0, s14, s24
	s_subb_u32 s1, s15, 0
	s_delay_alu instid0(VALU_DEP_1) | instid1(SALU_CYCLE_1)
	v_cmpx_gt_i64_e64 s[0:1], v[9:10]
	s_cbranch_execz .LBB235_35
; %bb.10:
	v_and_b32_e32 v11, 63, v0
	s_mov_b32 s5, s25
	s_delay_alu instid0(VALU_DEP_1) | instskip(NEXT) | instid1(VALU_DEP_1)
	v_sub_co_u32 v29, s4, v11, s25
	v_sub_co_ci_u32_e64 v30, null, 0, 0, s4
	s_mov_b32 s4, 0
	s_branch .LBB235_12
.LBB235_11:                             ;   in Loop: Header=BB235_12 Depth=1
	s_or_b32 exec_lo, exec_lo, s12
	v_add_co_u32 v9, vcc_lo, v9, 16
	v_add_co_ci_u32_e32 v10, vcc_lo, 0, v10, vcc_lo
	s_delay_alu instid0(VALU_DEP_1) | instskip(SKIP_1) | instid1(SALU_CYCLE_1)
	v_cmp_le_i64_e32 vcc_lo, s[0:1], v[9:10]
	s_or_b32 s4, vcc_lo, s4
	s_and_not1_b32 exec_lo, exec_lo, s4
	s_cbranch_execz .LBB235_35
.LBB235_12:                             ; =>This Loop Header: Depth=1
                                        ;     Child Loop BB235_15 Depth 2
                                        ;       Child Loop BB235_17 Depth 3
                                        ;         Child Loop BB235_23 Depth 4
                                        ;         Child Loop BB235_25 Depth 4
	;; [unrolled: 1-line block ×4, first 2 shown]
	v_lshlrev_b64 v[11:12], 2, v[9:10]
	s_mov_b32 s12, exec_lo
	s_delay_alu instid0(VALU_DEP_1) | instskip(NEXT) | instid1(VALU_DEP_2)
	v_add_co_u32 v11, vcc_lo, s6, v11
	v_add_co_ci_u32_e32 v12, vcc_lo, s7, v12, vcc_lo
	global_load_b32 v11, v[11:12], off
	s_waitcnt vmcnt(0)
	v_subrev_nc_u32_e32 v11, s24, v11
	s_delay_alu instid0(VALU_DEP_1) | instskip(NEXT) | instid1(VALU_DEP_1)
	v_ashrrev_i32_e32 v12, 31, v11
	v_lshlrev_b64 v[11:12], 3, v[11:12]
	s_delay_alu instid0(VALU_DEP_1) | instskip(NEXT) | instid1(VALU_DEP_2)
	v_add_co_u32 v11, vcc_lo, s10, v11
	v_add_co_ci_u32_e32 v12, vcc_lo, s11, v12, vcc_lo
	global_load_b128 v[13:16], v[11:12], off
	s_waitcnt vmcnt(0)
	v_sub_co_u32 v11, vcc_lo, v15, s5
	v_subrev_co_ci_u32_e32 v12, vcc_lo, 0, v16, vcc_lo
	v_add_co_u32 v13, vcc_lo, v13, v29
	v_add_co_ci_u32_e32 v14, vcc_lo, v14, v30, vcc_lo
	s_delay_alu instid0(VALU_DEP_1)
	v_cmpx_lt_i64_e64 v[13:14], v[11:12]
	s_cbranch_execz .LBB235_11
; %bb.13:                               ;   in Loop: Header=BB235_12 Depth=1
	v_lshlrev_b64 v[15:16], 4, v[9:10]
	s_mov_b32 s13, 0
	s_delay_alu instid0(VALU_DEP_1) | instskip(NEXT) | instid1(VALU_DEP_2)
	v_add_co_u32 v15, vcc_lo, s8, v15
	v_add_co_ci_u32_e32 v16, vcc_lo, s9, v16, vcc_lo
	global_load_b128 v[17:20], v[15:16], off
	s_waitcnt vmcnt(0)
	v_mul_f64 v[15:16], v[19:20], -v[7:8]
	v_mul_f64 v[19:20], v[5:6], v[19:20]
	s_delay_alu instid0(VALU_DEP_2) | instskip(NEXT) | instid1(VALU_DEP_2)
	v_fma_f64 v[15:16], v[5:6], v[17:18], v[15:16]
	v_fma_f64 v[17:18], v[7:8], v[17:18], v[19:20]
	s_branch .LBB235_15
.LBB235_14:                             ;   in Loop: Header=BB235_15 Depth=2
	s_or_b32 exec_lo, exec_lo, s14
	v_add_co_u32 v13, vcc_lo, v13, 64
	v_add_co_ci_u32_e32 v14, vcc_lo, 0, v14, vcc_lo
	s_delay_alu instid0(VALU_DEP_1) | instskip(SKIP_1) | instid1(SALU_CYCLE_1)
	v_cmp_ge_i64_e32 vcc_lo, v[13:14], v[11:12]
	s_or_b32 s13, vcc_lo, s13
	s_and_not1_b32 exec_lo, exec_lo, s13
	s_cbranch_execz .LBB235_11
.LBB235_15:                             ;   Parent Loop BB235_12 Depth=1
                                        ; =>  This Loop Header: Depth=2
                                        ;       Child Loop BB235_17 Depth 3
                                        ;         Child Loop BB235_23 Depth 4
                                        ;         Child Loop BB235_25 Depth 4
	;; [unrolled: 1-line block ×4, first 2 shown]
	v_lshlrev_b64 v[19:20], 4, v[13:14]
	s_mov_b32 s14, 0
	s_delay_alu instid0(VALU_DEP_1) | instskip(NEXT) | instid1(VALU_DEP_2)
	v_add_co_u32 v19, vcc_lo, s30, v19
	v_add_co_ci_u32_e32 v20, vcc_lo, s31, v20, vcc_lo
	global_load_b128 v[21:24], v[19:20], off
	v_lshlrev_b64 v[19:20], 2, v[13:14]
	s_delay_alu instid0(VALU_DEP_1) | instskip(NEXT) | instid1(VALU_DEP_2)
	v_add_co_u32 v19, vcc_lo, s28, v19
	v_add_co_ci_u32_e32 v20, vcc_lo, s29, v20, vcc_lo
	global_load_b32 v31, v[19:20], off
	s_waitcnt vmcnt(1)
	v_mul_f64 v[19:20], v[23:24], -v[17:18]
	v_mul_f64 v[23:24], v[15:16], v[23:24]
	s_waitcnt vmcnt(0)
	v_subrev_nc_u32_e32 v31, s25, v31
	s_delay_alu instid0(VALU_DEP_3) | instskip(NEXT) | instid1(VALU_DEP_3)
	v_fma_f64 v[19:20], v[15:16], v[21:22], v[19:20]
	v_fma_f64 v[21:22], v[17:18], v[21:22], v[23:24]
	s_delay_alu instid0(VALU_DEP_3) | instskip(NEXT) | instid1(VALU_DEP_1)
	v_mul_lo_u32 v23, 0x89, v31
	v_and_b32_e32 v32, 0x3fff, v23
	s_branch .LBB235_17
.LBB235_16:                             ;   in Loop: Header=BB235_17 Depth=3
	s_or_b32 exec_lo, exec_lo, s15
	s_xor_b32 s15, s37, -1
	s_delay_alu instid0(SALU_CYCLE_1) | instskip(NEXT) | instid1(SALU_CYCLE_1)
	s_and_b32 s15, exec_lo, s15
	s_or_b32 s14, s15, s14
	s_delay_alu instid0(SALU_CYCLE_1)
	s_and_not1_b32 exec_lo, exec_lo, s14
	s_cbranch_execz .LBB235_14
.LBB235_17:                             ;   Parent Loop BB235_12 Depth=1
                                        ;     Parent Loop BB235_15 Depth=2
                                        ; =>    This Loop Header: Depth=3
                                        ;         Child Loop BB235_23 Depth 4
                                        ;         Child Loop BB235_25 Depth 4
	;; [unrolled: 1-line block ×4, first 2 shown]
	s_delay_alu instid0(VALU_DEP_1)
	v_lshl_add_u32 v23, v32, 2, 0
	s_mov_b32 s15, exec_lo
                                        ; implicit-def: $sgpr37
	ds_load_b32 v24, v23
	s_waitcnt lgkmcnt(0)
	v_cmpx_ne_u32_e64 v24, v31
	s_xor_b32 s15, exec_lo, s15
	s_cbranch_execz .LBB235_29
; %bb.18:                               ;   in Loop: Header=BB235_17 Depth=3
	s_mov_b32 s38, exec_lo
                                        ; implicit-def: $sgpr37
	v_cmpx_ne_u32_e64 s33, v24
	s_xor_b32 s38, exec_lo, s38
; %bb.19:                               ;   in Loop: Header=BB235_17 Depth=3
	v_add_nc_u32_e32 v23, 1, v32
	s_mov_b32 s37, -1
	s_delay_alu instid0(VALU_DEP_1)
	v_and_b32_e32 v32, 0x3fff, v23
                                        ; implicit-def: $vgpr23
; %bb.20:                               ;   in Loop: Header=BB235_17 Depth=3
	s_and_not1_saveexec_b32 s38, s38
	s_cbranch_execz .LBB235_28
; %bb.21:                               ;   in Loop: Header=BB235_17 Depth=3
	v_mov_b32_e32 v24, s33
	s_mov_b32 s40, -1
	s_mov_b32 s39, exec_lo
	ds_cmpstore_rtn_b32 v23, v23, v31, v24
	s_waitcnt lgkmcnt(0)
	v_cmpx_eq_u32_e64 s33, v23
	s_cbranch_execz .LBB235_27
; %bb.22:                               ;   in Loop: Header=BB235_17 Depth=3
	v_lshlrev_b32_e32 v23, 4, v32
	s_mov_b32 s40, 0
	s_delay_alu instid0(VALU_DEP_1)
	v_add3_u32 v33, 0, v23, 0x10000
	ds_load_b64 v[23:24], v33
.LBB235_23:                             ;   Parent Loop BB235_12 Depth=1
                                        ;     Parent Loop BB235_15 Depth=2
                                        ;       Parent Loop BB235_17 Depth=3
                                        ; =>      This Inner Loop Header: Depth=4
	s_waitcnt lgkmcnt(0)
	v_add_f64 v[34:35], v[23:24], v[19:20]
	ds_cmpstore_rtn_b64 v[34:35], v33, v[34:35], v[23:24]
	s_waitcnt lgkmcnt(0)
	v_cmp_eq_u64_e32 vcc_lo, v[34:35], v[23:24]
	v_dual_mov_b32 v23, v34 :: v_dual_mov_b32 v24, v35
	s_or_b32 s40, vcc_lo, s40
	s_delay_alu instid0(SALU_CYCLE_1)
	s_and_not1_b32 exec_lo, exec_lo, s40
	s_cbranch_execnz .LBB235_23
; %bb.24:                               ;   in Loop: Header=BB235_17 Depth=3
	s_or_b32 exec_lo, exec_lo, s40
	ds_load_b64 v[23:24], v33 offset:8
	s_mov_b32 s40, 0
.LBB235_25:                             ;   Parent Loop BB235_12 Depth=1
                                        ;     Parent Loop BB235_15 Depth=2
                                        ;       Parent Loop BB235_17 Depth=3
                                        ; =>      This Inner Loop Header: Depth=4
	s_waitcnt lgkmcnt(0)
	v_add_f64 v[34:35], v[23:24], v[21:22]
	ds_cmpstore_rtn_b64 v[34:35], v33, v[34:35], v[23:24] offset:8
	s_waitcnt lgkmcnt(0)
	v_cmp_eq_u64_e32 vcc_lo, v[34:35], v[23:24]
	v_dual_mov_b32 v23, v34 :: v_dual_mov_b32 v24, v35
	s_or_b32 s40, vcc_lo, s40
	s_delay_alu instid0(SALU_CYCLE_1)
	s_and_not1_b32 exec_lo, exec_lo, s40
	s_cbranch_execnz .LBB235_25
; %bb.26:                               ;   in Loop: Header=BB235_17 Depth=3
	s_or_b32 exec_lo, exec_lo, s40
	s_delay_alu instid0(SALU_CYCLE_1)
	s_xor_b32 s40, exec_lo, -1
.LBB235_27:                             ;   in Loop: Header=BB235_17 Depth=3
	s_or_b32 exec_lo, exec_lo, s39
	s_delay_alu instid0(SALU_CYCLE_1) | instskip(SKIP_1) | instid1(SALU_CYCLE_1)
	s_and_not1_b32 s37, s37, exec_lo
	s_and_b32 s39, s40, exec_lo
	s_or_b32 s37, s37, s39
.LBB235_28:                             ;   in Loop: Header=BB235_17 Depth=3
	s_or_b32 exec_lo, exec_lo, s38
	s_delay_alu instid0(SALU_CYCLE_1)
	s_and_b32 s37, s37, exec_lo
.LBB235_29:                             ;   in Loop: Header=BB235_17 Depth=3
	s_and_not1_saveexec_b32 s15, s15
	s_cbranch_execz .LBB235_16
; %bb.30:                               ;   in Loop: Header=BB235_17 Depth=3
	v_lshlrev_b32_e32 v23, 4, v32
	s_mov_b32 s38, 0
	s_delay_alu instid0(VALU_DEP_1)
	v_add3_u32 v33, 0, v23, 0x10000
	ds_load_b64 v[23:24], v33
.LBB235_31:                             ;   Parent Loop BB235_12 Depth=1
                                        ;     Parent Loop BB235_15 Depth=2
                                        ;       Parent Loop BB235_17 Depth=3
                                        ; =>      This Inner Loop Header: Depth=4
	s_waitcnt lgkmcnt(0)
	v_add_f64 v[34:35], v[23:24], v[19:20]
	ds_cmpstore_rtn_b64 v[34:35], v33, v[34:35], v[23:24]
	s_waitcnt lgkmcnt(0)
	v_cmp_eq_u64_e32 vcc_lo, v[34:35], v[23:24]
	v_dual_mov_b32 v23, v34 :: v_dual_mov_b32 v24, v35
	s_or_b32 s38, vcc_lo, s38
	s_delay_alu instid0(SALU_CYCLE_1)
	s_and_not1_b32 exec_lo, exec_lo, s38
	s_cbranch_execnz .LBB235_31
; %bb.32:                               ;   in Loop: Header=BB235_17 Depth=3
	s_or_b32 exec_lo, exec_lo, s38
	ds_load_b64 v[23:24], v33 offset:8
	s_mov_b32 s38, 0
.LBB235_33:                             ;   Parent Loop BB235_12 Depth=1
                                        ;     Parent Loop BB235_15 Depth=2
                                        ;       Parent Loop BB235_17 Depth=3
                                        ; =>      This Inner Loop Header: Depth=4
	s_waitcnt lgkmcnt(0)
	v_add_f64 v[34:35], v[23:24], v[21:22]
	ds_cmpstore_rtn_b64 v[34:35], v33, v[34:35], v[23:24] offset:8
	s_waitcnt lgkmcnt(0)
	v_cmp_eq_u64_e32 vcc_lo, v[34:35], v[23:24]
	v_dual_mov_b32 v23, v34 :: v_dual_mov_b32 v24, v35
	s_or_b32 s38, vcc_lo, s38
	s_delay_alu instid0(SALU_CYCLE_1)
	s_and_not1_b32 exec_lo, exec_lo, s38
	s_cbranch_execnz .LBB235_33
; %bb.34:                               ;   in Loop: Header=BB235_17 Depth=3
	s_or_b32 exec_lo, exec_lo, s38
	s_delay_alu instid0(SALU_CYCLE_1)
	s_and_not1_b32 s37, s37, exec_lo
	s_branch .LBB235_16
.LBB235_35:
	s_or_b32 exec_lo, exec_lo, s2
.LBB235_36:
	s_delay_alu instid0(SALU_CYCLE_1)
	s_and_not1_b32 vcc_lo, exec_lo, s3
	s_cbranch_vccnz .LBB235_39
; %bb.37:
	s_waitcnt lgkmcnt(0)
	s_ashr_i32 s37, s36, 31
	v_sub_co_u32 v5, s4, v0, s27
	s_lshl_b64 s[0:1], s[36:37], 3
	v_sub_co_ci_u32_e64 v6, null, 0, 0, s4
	s_add_u32 s0, s16, s0
	s_addc_u32 s1, s17, s1
	s_load_b128 s[0:3], s[0:1], 0x0
	s_waitcnt lgkmcnt(0)
	v_add_co_u32 v5, vcc_lo, s0, v5
	v_add_co_ci_u32_e32 v6, vcc_lo, s1, v6, vcc_lo
	s_sub_u32 s0, s2, s27
	s_subb_u32 s1, s3, 0
	s_mov_b32 s3, 0
	s_mov_b32 s2, exec_lo
	v_cmpx_gt_i64_e64 s[0:1], v[5:6]
	s_cbranch_execnz .LBB235_76
.LBB235_38:
	s_or_b32 exec_lo, exec_lo, s2
.LBB235_39:
	v_mbcnt_lo_u32_b32 v1, -1, 0
	s_add_i32 s31, 0, 0x5003c
	s_delay_alu instid0(SALU_CYCLE_1) | instskip(SKIP_1) | instid1(VALU_DEP_3)
	v_dual_mov_b32 v5, s31 :: v_dual_lshlrev_b32 v2, 2, v28
	v_cmp_eq_u32_e32 vcc_lo, 0x3ff, v0
	v_xor_b32_e32 v1, 63, v1
	v_cmp_lt_u32_e64 s0, 63, v0
	s_delay_alu instid0(VALU_DEP_4)
	v_add3_u32 v3, 0, 0x50000, v2
	v_cmp_lt_u32_e64 s1, 0x7f, v0
	v_cmp_lt_u32_e64 s2, 0xbf, v0
	v_lshrrev_b64 v[1:2], v1, -1
	v_cmp_lt_u32_e64 s3, 0xff, v0
	v_cmp_lt_u32_e64 s4, 0x13f, v0
	;; [unrolled: 1-line block ×12, first 2 shown]
	v_add3_u32 v2, v27, 0, 0x10000
	v_mov_b32_e32 v4, 0
	s_mov_b32 s16, 0
	s_add_i32 s17, 0, 0x50000
	s_add_i32 s18, 0, 0x50004
	;; [unrolled: 1-line block ×15, first 2 shown]
	s_waitcnt lgkmcnt(0)
	s_barrier
	buffer_gl0_inv
	s_branch .LBB235_41
.LBB235_40:                             ;   in Loop: Header=BB235_41 Depth=1
	s_or_b32 exec_lo, exec_lo, s15
	s_waitcnt lgkmcnt(0)
	s_barrier
	buffer_gl0_inv
	ds_load_b32 v6, v5
	v_add_nc_u32_e32 v25, 0x400, v25
	v_add_nc_u32_e32 v2, 0x4000, v2
	;; [unrolled: 1-line block ×3, first 2 shown]
	s_delay_alu instid0(VALU_DEP_3) | instskip(NEXT) | instid1(VALU_DEP_1)
	v_cmp_lt_u32_e64 s15, 0x3bff, v25
	s_or_b32 s16, s15, s16
	s_waitcnt lgkmcnt(0)
	v_add_nc_u32_e32 v4, v6, v4
	s_and_not1_b32 exec_lo, exec_lo, s16
	s_cbranch_execz .LBB235_96
.LBB235_41:                             ; =>This Inner Loop Header: Depth=1
	ds_load_b32 v6, v26
	ds_load_2addr_b64 v[7:10], v2 offset1:1
	s_waitcnt lgkmcnt(1)
	v_cmp_gt_i32_e64 s15, s33, v6
	s_waitcnt lgkmcnt(0)
	scratch_store_b128 off, v[7:10], off
	s_waitcnt_vscnt null, 0x0
	s_barrier
	buffer_gl0_inv
	s_bcnt1_i32_b32 s41, s15
	s_delay_alu instid0(SALU_CYCLE_1) | instskip(NEXT) | instid1(VALU_DEP_1)
	v_dual_mov_b32 v8, s41 :: v_dual_and_b32 v7, s15, v1
	v_bcnt_u32_b32 v7, v7, 0
	ds_store_b32 v3, v8
	s_waitcnt lgkmcnt(0)
	s_barrier
	buffer_gl0_inv
	s_and_saveexec_b32 s41, s0
	s_cbranch_execnz .LBB235_58
; %bb.42:                               ;   in Loop: Header=BB235_41 Depth=1
	s_or_b32 exec_lo, exec_lo, s41
	s_and_saveexec_b32 s41, s1
	s_cbranch_execnz .LBB235_59
.LBB235_43:                             ;   in Loop: Header=BB235_41 Depth=1
	s_or_b32 exec_lo, exec_lo, s41
	s_and_saveexec_b32 s41, s2
	s_cbranch_execnz .LBB235_60
.LBB235_44:                             ;   in Loop: Header=BB235_41 Depth=1
	s_or_b32 exec_lo, exec_lo, s41
	s_and_saveexec_b32 s41, s3
	s_cbranch_execnz .LBB235_61
.LBB235_45:                             ;   in Loop: Header=BB235_41 Depth=1
	s_or_b32 exec_lo, exec_lo, s41
	s_and_saveexec_b32 s41, s4
	s_cbranch_execnz .LBB235_62
.LBB235_46:                             ;   in Loop: Header=BB235_41 Depth=1
	s_or_b32 exec_lo, exec_lo, s41
	s_and_saveexec_b32 s41, s5
	s_cbranch_execnz .LBB235_63
.LBB235_47:                             ;   in Loop: Header=BB235_41 Depth=1
	s_or_b32 exec_lo, exec_lo, s41
	s_and_saveexec_b32 s41, s6
	s_cbranch_execnz .LBB235_64
.LBB235_48:                             ;   in Loop: Header=BB235_41 Depth=1
	s_or_b32 exec_lo, exec_lo, s41
	s_and_saveexec_b32 s41, s7
	s_cbranch_execnz .LBB235_65
.LBB235_49:                             ;   in Loop: Header=BB235_41 Depth=1
	s_or_b32 exec_lo, exec_lo, s41
	s_and_saveexec_b32 s41, s8
	s_cbranch_execnz .LBB235_66
.LBB235_50:                             ;   in Loop: Header=BB235_41 Depth=1
	s_or_b32 exec_lo, exec_lo, s41
	s_and_saveexec_b32 s41, s9
	s_cbranch_execnz .LBB235_67
.LBB235_51:                             ;   in Loop: Header=BB235_41 Depth=1
	s_or_b32 exec_lo, exec_lo, s41
	s_and_saveexec_b32 s41, s10
	s_cbranch_execnz .LBB235_68
.LBB235_52:                             ;   in Loop: Header=BB235_41 Depth=1
	s_or_b32 exec_lo, exec_lo, s41
	s_and_saveexec_b32 s41, s11
	s_cbranch_execnz .LBB235_69
.LBB235_53:                             ;   in Loop: Header=BB235_41 Depth=1
	s_or_b32 exec_lo, exec_lo, s41
	s_and_saveexec_b32 s41, s12
	s_cbranch_execnz .LBB235_70
.LBB235_54:                             ;   in Loop: Header=BB235_41 Depth=1
	s_or_b32 exec_lo, exec_lo, s41
	s_and_saveexec_b32 s41, s13
	s_cbranch_execnz .LBB235_71
.LBB235_55:                             ;   in Loop: Header=BB235_41 Depth=1
	s_or_b32 exec_lo, exec_lo, s41
	s_and_saveexec_b32 s41, s14
	s_cbranch_execnz .LBB235_72
.LBB235_56:                             ;   in Loop: Header=BB235_41 Depth=1
	s_or_b32 exec_lo, exec_lo, s41
	s_and_saveexec_b32 s41, s15
	s_cbranch_execnz .LBB235_73
.LBB235_57:                             ;   in Loop: Header=BB235_41 Depth=1
	s_or_b32 exec_lo, exec_lo, s41
	s_and_saveexec_b32 s15, vcc_lo
	s_cbranch_execz .LBB235_40
	s_branch .LBB235_74
.LBB235_58:                             ;   in Loop: Header=BB235_41 Depth=1
	v_mov_b32_e32 v8, s17
	ds_load_b32 v8, v8
	s_waitcnt lgkmcnt(0)
	v_add_nc_u32_e32 v7, v8, v7
	s_or_b32 exec_lo, exec_lo, s41
	s_and_saveexec_b32 s41, s1
	s_cbranch_execz .LBB235_43
.LBB235_59:                             ;   in Loop: Header=BB235_41 Depth=1
	v_mov_b32_e32 v8, s18
	ds_load_b32 v8, v8
	s_waitcnt lgkmcnt(0)
	v_add_nc_u32_e32 v7, v8, v7
	s_or_b32 exec_lo, exec_lo, s41
	s_and_saveexec_b32 s41, s2
	s_cbranch_execz .LBB235_44
.LBB235_60:                             ;   in Loop: Header=BB235_41 Depth=1
	v_mov_b32_e32 v8, s19
	ds_load_b32 v8, v8
	s_waitcnt lgkmcnt(0)
	v_add_nc_u32_e32 v7, v8, v7
	s_or_b32 exec_lo, exec_lo, s41
	s_and_saveexec_b32 s41, s3
	s_cbranch_execz .LBB235_45
.LBB235_61:                             ;   in Loop: Header=BB235_41 Depth=1
	v_mov_b32_e32 v8, s20
	ds_load_b32 v8, v8
	s_waitcnt lgkmcnt(0)
	v_add_nc_u32_e32 v7, v8, v7
	s_or_b32 exec_lo, exec_lo, s41
	s_and_saveexec_b32 s41, s4
	s_cbranch_execz .LBB235_46
.LBB235_62:                             ;   in Loop: Header=BB235_41 Depth=1
	v_mov_b32_e32 v8, s21
	ds_load_b32 v8, v8
	s_waitcnt lgkmcnt(0)
	v_add_nc_u32_e32 v7, v8, v7
	s_or_b32 exec_lo, exec_lo, s41
	s_and_saveexec_b32 s41, s5
	s_cbranch_execz .LBB235_47
.LBB235_63:                             ;   in Loop: Header=BB235_41 Depth=1
	v_mov_b32_e32 v8, s24
	ds_load_b32 v8, v8
	s_waitcnt lgkmcnt(0)
	v_add_nc_u32_e32 v7, v8, v7
	s_or_b32 exec_lo, exec_lo, s41
	s_and_saveexec_b32 s41, s6
	s_cbranch_execz .LBB235_48
.LBB235_64:                             ;   in Loop: Header=BB235_41 Depth=1
	v_mov_b32_e32 v8, s25
	ds_load_b32 v8, v8
	s_waitcnt lgkmcnt(0)
	v_add_nc_u32_e32 v7, v8, v7
	s_or_b32 exec_lo, exec_lo, s41
	s_and_saveexec_b32 s41, s7
	s_cbranch_execz .LBB235_49
.LBB235_65:                             ;   in Loop: Header=BB235_41 Depth=1
	v_mov_b32_e32 v8, s27
	ds_load_b32 v8, v8
	s_waitcnt lgkmcnt(0)
	v_add_nc_u32_e32 v7, v8, v7
	s_or_b32 exec_lo, exec_lo, s41
	s_and_saveexec_b32 s41, s8
	s_cbranch_execz .LBB235_50
.LBB235_66:                             ;   in Loop: Header=BB235_41 Depth=1
	v_mov_b32_e32 v8, s28
	ds_load_b32 v8, v8
	s_waitcnt lgkmcnt(0)
	v_add_nc_u32_e32 v7, v8, v7
	s_or_b32 exec_lo, exec_lo, s41
	s_and_saveexec_b32 s41, s9
	s_cbranch_execz .LBB235_51
.LBB235_67:                             ;   in Loop: Header=BB235_41 Depth=1
	v_mov_b32_e32 v8, s29
	ds_load_b32 v8, v8
	s_waitcnt lgkmcnt(0)
	v_add_nc_u32_e32 v7, v8, v7
	s_or_b32 exec_lo, exec_lo, s41
	s_and_saveexec_b32 s41, s10
	s_cbranch_execz .LBB235_52
.LBB235_68:                             ;   in Loop: Header=BB235_41 Depth=1
	v_mov_b32_e32 v8, s30
	ds_load_b32 v8, v8
	s_waitcnt lgkmcnt(0)
	v_add_nc_u32_e32 v7, v8, v7
	s_or_b32 exec_lo, exec_lo, s41
	s_and_saveexec_b32 s41, s11
	s_cbranch_execz .LBB235_53
.LBB235_69:                             ;   in Loop: Header=BB235_41 Depth=1
	v_mov_b32_e32 v8, s37
	ds_load_b32 v8, v8
	s_waitcnt lgkmcnt(0)
	v_add_nc_u32_e32 v7, v8, v7
	s_or_b32 exec_lo, exec_lo, s41
	s_and_saveexec_b32 s41, s12
	s_cbranch_execz .LBB235_54
.LBB235_70:                             ;   in Loop: Header=BB235_41 Depth=1
	v_mov_b32_e32 v8, s38
	ds_load_b32 v8, v8
	s_waitcnt lgkmcnt(0)
	v_add_nc_u32_e32 v7, v8, v7
	s_or_b32 exec_lo, exec_lo, s41
	s_and_saveexec_b32 s41, s13
	s_cbranch_execz .LBB235_55
.LBB235_71:                             ;   in Loop: Header=BB235_41 Depth=1
	v_mov_b32_e32 v8, s39
	ds_load_b32 v8, v8
	s_waitcnt lgkmcnt(0)
	v_add_nc_u32_e32 v7, v8, v7
	s_or_b32 exec_lo, exec_lo, s41
	s_and_saveexec_b32 s41, s14
	s_cbranch_execz .LBB235_56
.LBB235_72:                             ;   in Loop: Header=BB235_41 Depth=1
	v_mov_b32_e32 v8, s40
	ds_load_b32 v8, v8
	s_waitcnt lgkmcnt(0)
	v_add_nc_u32_e32 v7, v8, v7
	s_or_b32 exec_lo, exec_lo, s41
	s_and_saveexec_b32 s41, s15
	s_cbranch_execz .LBB235_57
.LBB235_73:                             ;   in Loop: Header=BB235_41 Depth=1
	scratch_load_b128 v[8:11], off, off
	v_add3_u32 v12, v4, -1, v7
	s_delay_alu instid0(VALU_DEP_1) | instskip(SKIP_1) | instid1(VALU_DEP_2)
	v_lshlrev_b32_e32 v13, 4, v12
	v_lshl_add_u32 v12, v12, 2, 0
	v_add3_u32 v13, 0, v13, 0x10000
	ds_store_b32 v12, v6
	s_waitcnt vmcnt(0)
	ds_store_2addr_b64 v13, v[8:9], v[10:11] offset1:1
	s_or_b32 exec_lo, exec_lo, s41
	s_and_saveexec_b32 s15, vcc_lo
	s_cbranch_execz .LBB235_40
.LBB235_74:                             ;   in Loop: Header=BB235_41 Depth=1
	v_mov_b32_e32 v6, s31
	ds_store_b32 v6, v7
	s_branch .LBB235_40
.LBB235_75:                             ;   in Loop: Header=BB235_76 Depth=1
	s_or_b32 exec_lo, exec_lo, s4
	v_add_co_u32 v5, vcc_lo, 0x400, v5
	v_add_co_ci_u32_e32 v6, vcc_lo, 0, v6, vcc_lo
	s_delay_alu instid0(VALU_DEP_1) | instskip(SKIP_1) | instid1(SALU_CYCLE_1)
	v_cmp_le_i64_e32 vcc_lo, s[0:1], v[5:6]
	s_or_b32 s3, vcc_lo, s3
	s_and_not1_b32 exec_lo, exec_lo, s3
	s_cbranch_execz .LBB235_38
.LBB235_76:                             ; =>This Loop Header: Depth=1
                                        ;     Child Loop BB235_78 Depth 2
                                        ;       Child Loop BB235_84 Depth 3
                                        ;       Child Loop BB235_86 Depth 3
	;; [unrolled: 1-line block ×4, first 2 shown]
	v_lshlrev_b64 v[7:8], 4, v[5:6]
	s_mov_b32 s4, 0
	s_delay_alu instid0(VALU_DEP_1) | instskip(NEXT) | instid1(VALU_DEP_2)
	v_add_co_u32 v7, vcc_lo, s20, v7
	v_add_co_ci_u32_e32 v8, vcc_lo, s21, v8, vcc_lo
	global_load_b128 v[9:12], v[7:8], off
	v_lshlrev_b64 v[7:8], 2, v[5:6]
	s_delay_alu instid0(VALU_DEP_1) | instskip(NEXT) | instid1(VALU_DEP_2)
	v_add_co_u32 v7, vcc_lo, s18, v7
	v_add_co_ci_u32_e32 v8, vcc_lo, s19, v8, vcc_lo
	global_load_b32 v13, v[7:8], off
	s_waitcnt vmcnt(1)
	v_mul_f64 v[7:8], v[11:12], -v[1:2]
	v_mul_f64 v[11:12], v[3:4], v[11:12]
	s_waitcnt vmcnt(0)
	v_subrev_nc_u32_e32 v13, s27, v13
	s_delay_alu instid0(VALU_DEP_3) | instskip(NEXT) | instid1(VALU_DEP_3)
	v_fma_f64 v[7:8], v[3:4], v[9:10], v[7:8]
	v_fma_f64 v[9:10], v[1:2], v[9:10], v[11:12]
	s_delay_alu instid0(VALU_DEP_3) | instskip(NEXT) | instid1(VALU_DEP_1)
	v_mul_lo_u32 v11, 0x89, v13
	v_and_b32_e32 v14, 0x3fff, v11
	s_branch .LBB235_78
.LBB235_77:                             ;   in Loop: Header=BB235_78 Depth=2
	s_or_b32 exec_lo, exec_lo, s5
	s_xor_b32 s5, s6, -1
	s_delay_alu instid0(SALU_CYCLE_1) | instskip(NEXT) | instid1(SALU_CYCLE_1)
	s_and_b32 s5, exec_lo, s5
	s_or_b32 s4, s5, s4
	s_delay_alu instid0(SALU_CYCLE_1)
	s_and_not1_b32 exec_lo, exec_lo, s4
	s_cbranch_execz .LBB235_75
.LBB235_78:                             ;   Parent Loop BB235_76 Depth=1
                                        ; =>  This Loop Header: Depth=2
                                        ;       Child Loop BB235_84 Depth 3
                                        ;       Child Loop BB235_86 Depth 3
	;; [unrolled: 1-line block ×4, first 2 shown]
	s_delay_alu instid0(VALU_DEP_1)
	v_lshl_add_u32 v11, v14, 2, 0
	s_mov_b32 s5, exec_lo
                                        ; implicit-def: $sgpr6
	ds_load_b32 v12, v11
	s_waitcnt lgkmcnt(0)
	v_cmpx_ne_u32_e64 v12, v13
	s_xor_b32 s5, exec_lo, s5
	s_cbranch_execz .LBB235_90
; %bb.79:                               ;   in Loop: Header=BB235_78 Depth=2
	s_mov_b32 s7, exec_lo
                                        ; implicit-def: $sgpr6
	v_cmpx_ne_u32_e64 s33, v12
	s_xor_b32 s7, exec_lo, s7
; %bb.80:                               ;   in Loop: Header=BB235_78 Depth=2
	v_add_nc_u32_e32 v11, 1, v14
	s_mov_b32 s6, -1
	s_delay_alu instid0(VALU_DEP_1)
	v_and_b32_e32 v14, 0x3fff, v11
                                        ; implicit-def: $vgpr11
; %bb.81:                               ;   in Loop: Header=BB235_78 Depth=2
	s_and_not1_saveexec_b32 s7, s7
	s_cbranch_execz .LBB235_89
; %bb.82:                               ;   in Loop: Header=BB235_78 Depth=2
	v_mov_b32_e32 v12, s33
	s_mov_b32 s9, -1
	s_mov_b32 s8, exec_lo
	ds_cmpstore_rtn_b32 v11, v11, v13, v12
	s_waitcnt lgkmcnt(0)
	v_cmpx_eq_u32_e64 s33, v11
	s_cbranch_execz .LBB235_88
; %bb.83:                               ;   in Loop: Header=BB235_78 Depth=2
	v_lshlrev_b32_e32 v11, 4, v14
	s_mov_b32 s9, 0
	s_delay_alu instid0(VALU_DEP_1)
	v_add3_u32 v15, 0, v11, 0x10000
	ds_load_b64 v[11:12], v15
.LBB235_84:                             ;   Parent Loop BB235_76 Depth=1
                                        ;     Parent Loop BB235_78 Depth=2
                                        ; =>    This Inner Loop Header: Depth=3
	s_waitcnt lgkmcnt(0)
	v_add_f64 v[16:17], v[11:12], v[7:8]
	ds_cmpstore_rtn_b64 v[16:17], v15, v[16:17], v[11:12]
	s_waitcnt lgkmcnt(0)
	v_cmp_eq_u64_e32 vcc_lo, v[16:17], v[11:12]
	v_dual_mov_b32 v11, v16 :: v_dual_mov_b32 v12, v17
	s_or_b32 s9, vcc_lo, s9
	s_delay_alu instid0(SALU_CYCLE_1)
	s_and_not1_b32 exec_lo, exec_lo, s9
	s_cbranch_execnz .LBB235_84
; %bb.85:                               ;   in Loop: Header=BB235_78 Depth=2
	s_or_b32 exec_lo, exec_lo, s9
	ds_load_b64 v[11:12], v15 offset:8
	s_mov_b32 s9, 0
.LBB235_86:                             ;   Parent Loop BB235_76 Depth=1
                                        ;     Parent Loop BB235_78 Depth=2
                                        ; =>    This Inner Loop Header: Depth=3
	s_waitcnt lgkmcnt(0)
	v_add_f64 v[16:17], v[11:12], v[9:10]
	ds_cmpstore_rtn_b64 v[16:17], v15, v[16:17], v[11:12] offset:8
	s_waitcnt lgkmcnt(0)
	v_cmp_eq_u64_e32 vcc_lo, v[16:17], v[11:12]
	v_dual_mov_b32 v11, v16 :: v_dual_mov_b32 v12, v17
	s_or_b32 s9, vcc_lo, s9
	s_delay_alu instid0(SALU_CYCLE_1)
	s_and_not1_b32 exec_lo, exec_lo, s9
	s_cbranch_execnz .LBB235_86
; %bb.87:                               ;   in Loop: Header=BB235_78 Depth=2
	s_or_b32 exec_lo, exec_lo, s9
	s_delay_alu instid0(SALU_CYCLE_1)
	s_xor_b32 s9, exec_lo, -1
.LBB235_88:                             ;   in Loop: Header=BB235_78 Depth=2
	s_or_b32 exec_lo, exec_lo, s8
	s_delay_alu instid0(SALU_CYCLE_1) | instskip(SKIP_1) | instid1(SALU_CYCLE_1)
	s_and_not1_b32 s6, s6, exec_lo
	s_and_b32 s8, s9, exec_lo
	s_or_b32 s6, s6, s8
.LBB235_89:                             ;   in Loop: Header=BB235_78 Depth=2
	s_or_b32 exec_lo, exec_lo, s7
	s_delay_alu instid0(SALU_CYCLE_1)
	s_and_b32 s6, s6, exec_lo
.LBB235_90:                             ;   in Loop: Header=BB235_78 Depth=2
	s_and_not1_saveexec_b32 s5, s5
	s_cbranch_execz .LBB235_77
; %bb.91:                               ;   in Loop: Header=BB235_78 Depth=2
	v_lshlrev_b32_e32 v11, 4, v14
	s_mov_b32 s7, 0
	s_delay_alu instid0(VALU_DEP_1)
	v_add3_u32 v15, 0, v11, 0x10000
	ds_load_b64 v[11:12], v15
.LBB235_92:                             ;   Parent Loop BB235_76 Depth=1
                                        ;     Parent Loop BB235_78 Depth=2
                                        ; =>    This Inner Loop Header: Depth=3
	s_waitcnt lgkmcnt(0)
	v_add_f64 v[16:17], v[11:12], v[7:8]
	ds_cmpstore_rtn_b64 v[16:17], v15, v[16:17], v[11:12]
	s_waitcnt lgkmcnt(0)
	v_cmp_eq_u64_e32 vcc_lo, v[16:17], v[11:12]
	v_dual_mov_b32 v11, v16 :: v_dual_mov_b32 v12, v17
	s_or_b32 s7, vcc_lo, s7
	s_delay_alu instid0(SALU_CYCLE_1)
	s_and_not1_b32 exec_lo, exec_lo, s7
	s_cbranch_execnz .LBB235_92
; %bb.93:                               ;   in Loop: Header=BB235_78 Depth=2
	s_or_b32 exec_lo, exec_lo, s7
	ds_load_b64 v[11:12], v15 offset:8
	s_mov_b32 s7, 0
.LBB235_94:                             ;   Parent Loop BB235_76 Depth=1
                                        ;     Parent Loop BB235_78 Depth=2
                                        ; =>    This Inner Loop Header: Depth=3
	s_waitcnt lgkmcnt(0)
	v_add_f64 v[16:17], v[11:12], v[9:10]
	ds_cmpstore_rtn_b64 v[16:17], v15, v[16:17], v[11:12] offset:8
	s_waitcnt lgkmcnt(0)
	v_cmp_eq_u64_e32 vcc_lo, v[16:17], v[11:12]
	v_dual_mov_b32 v11, v16 :: v_dual_mov_b32 v12, v17
	s_or_b32 s7, vcc_lo, s7
	s_delay_alu instid0(SALU_CYCLE_1)
	s_and_not1_b32 exec_lo, exec_lo, s7
	s_cbranch_execnz .LBB235_94
; %bb.95:                               ;   in Loop: Header=BB235_78 Depth=2
	s_or_b32 exec_lo, exec_lo, s7
	s_delay_alu instid0(SALU_CYCLE_1)
	s_and_not1_b32 s6, s6, exec_lo
	s_branch .LBB235_77
.LBB235_96:
	s_or_b32 exec_lo, exec_lo, s16
	s_ashr_i32 s37, s36, 31
	s_mov_b32 s4, exec_lo
	s_lshl_b64 s[0:1], s[36:37], 3
	s_delay_alu instid0(SALU_CYCLE_1) | instskip(SKIP_4) | instid1(SALU_CYCLE_1)
	s_add_u32 s0, s22, s0
	s_addc_u32 s1, s23, s1
	s_load_b128 s[0:3], s[0:1], 0x0
	s_waitcnt lgkmcnt(0)
	s_sub_i32 s3, s2, s0
	v_cmpx_gt_i32_e64 s3, v0
	s_cbranch_execz .LBB235_106
; %bb.97:
	s_sub_u32 s4, s0, s26
	s_subb_u32 s5, s1, 0
	s_sub_i32 s0, s0, s2
	s_and_b32 s1, s3, 7
	s_cmp_lt_u32 s0, -7
	s_mov_b32 s8, 0
	s_cselect_b32 s2, -1, 0
	s_and_b32 s6, s3, -8
	s_cmp_lg_u32 s1, 0
	s_cselect_b32 s7, -1, 0
	s_branch .LBB235_99
.LBB235_98:                             ;   in Loop: Header=BB235_99 Depth=1
	s_waitcnt lgkmcnt(0)
	v_lshlrev_b32_e32 v3, 4, v0
	v_lshlrev_b64 v[1:2], 4, v[1:2]
	v_add_nc_u32_e32 v0, 0x400, v0
	s_delay_alu instid0(VALU_DEP_3) | instskip(NEXT) | instid1(VALU_DEP_2)
	v_add3_u32 v3, 0, v3, 0x10000
	v_cmp_le_i32_e32 vcc_lo, s3, v0
	s_delay_alu instid0(VALU_DEP_4)
	v_add_co_u32 v1, s0, s34, v1
	ds_load_2addr_b64 v[3:6], v3 offset1:1
	v_add_co_ci_u32_e64 v2, s0, s35, v2, s0
	s_or_b32 s8, vcc_lo, s8
	s_waitcnt lgkmcnt(0)
	global_store_b128 v[1:2], v[3:6], off
	s_and_not1_b32 exec_lo, exec_lo, s8
	s_cbranch_execz .LBB235_106
.LBB235_99:                             ; =>This Loop Header: Depth=1
                                        ;     Child Loop BB235_101 Depth 2
                                        ;     Child Loop BB235_105 Depth 2
	v_lshl_add_u32 v1, v0, 2, 0
	s_and_not1_b32 vcc_lo, exec_lo, s2
	s_mov_b32 s0, 0
	ds_load_b32 v3, v1
	v_dual_mov_b32 v1, s4 :: v_dual_mov_b32 v2, s5
	s_cbranch_vccnz .LBB235_103
; %bb.100:                              ;   in Loop: Header=BB235_99 Depth=1
	v_dual_mov_b32 v1, s4 :: v_dual_mov_b32 v2, s5
	s_mov_b32 s9, 0
	s_mov_b32 s10, 0
.LBB235_101:                            ;   Parent Loop BB235_99 Depth=1
                                        ; =>  This Inner Loop Header: Depth=2
	s_delay_alu instid0(SALU_CYCLE_1)
	v_mov_b32_e32 v10, s10
	s_add_i32 s9, s9, 8
	s_add_i32 s10, s10, 32
	s_cmp_eq_u32 s6, s9
	ds_load_2addr_b32 v[4:5], v10 offset1:1
	ds_load_2addr_b32 v[6:7], v10 offset0:2 offset1:3
	ds_load_2addr_b32 v[8:9], v10 offset0:4 offset1:5
	;; [unrolled: 1-line block ×3, first 2 shown]
	s_waitcnt lgkmcnt(3)
	v_cmp_gt_i32_e32 vcc_lo, v3, v4
	v_cndmask_b32_e64 v4, 0, 1, vcc_lo
	v_cmp_gt_i32_e32 vcc_lo, v3, v5
	v_cndmask_b32_e64 v5, 0, 1, vcc_lo
	s_waitcnt lgkmcnt(2)
	v_cmp_gt_i32_e32 vcc_lo, v3, v6
	v_cndmask_b32_e64 v6, 0, 1, vcc_lo
	v_cmp_gt_i32_e32 vcc_lo, v3, v7
	v_cndmask_b32_e64 v7, 0, 1, vcc_lo
	s_waitcnt lgkmcnt(1)
	v_cmp_gt_i32_e32 vcc_lo, v3, v8
	v_cndmask_b32_e64 v8, 0, 1, vcc_lo
	v_add_co_u32 v1, vcc_lo, v1, v4
	v_add_co_ci_u32_e32 v2, vcc_lo, 0, v2, vcc_lo
	v_cmp_gt_i32_e32 vcc_lo, v3, v9
	s_delay_alu instid0(VALU_DEP_3) | instskip(NEXT) | instid1(VALU_DEP_1)
	v_add_co_u32 v1, s0, v1, v5
	v_add_co_ci_u32_e64 v2, s0, 0, v2, s0
	v_cndmask_b32_e64 v4, 0, 1, vcc_lo
	s_delay_alu instid0(VALU_DEP_3) | instskip(NEXT) | instid1(VALU_DEP_3)
	v_add_co_u32 v1, vcc_lo, v1, v6
	v_add_co_ci_u32_e32 v2, vcc_lo, 0, v2, vcc_lo
	s_waitcnt lgkmcnt(0)
	v_cmp_gt_i32_e32 vcc_lo, v3, v10
	s_delay_alu instid0(VALU_DEP_3) | instskip(NEXT) | instid1(VALU_DEP_1)
	v_add_co_u32 v1, s0, v1, v7
	v_add_co_ci_u32_e64 v2, s0, 0, v2, s0
	v_cndmask_b32_e64 v5, 0, 1, vcc_lo
	s_delay_alu instid0(VALU_DEP_3) | instskip(NEXT) | instid1(VALU_DEP_3)
	v_add_co_u32 v1, vcc_lo, v1, v8
	v_add_co_ci_u32_e32 v2, vcc_lo, 0, v2, vcc_lo
	v_cmp_gt_i32_e32 vcc_lo, v3, v11
	s_delay_alu instid0(VALU_DEP_3) | instskip(NEXT) | instid1(VALU_DEP_1)
	v_add_co_u32 v1, s0, v1, v4
	v_add_co_ci_u32_e64 v2, s0, 0, v2, s0
	v_cndmask_b32_e64 v4, 0, 1, vcc_lo
	s_delay_alu instid0(VALU_DEP_3) | instskip(NEXT) | instid1(VALU_DEP_3)
	v_add_co_u32 v1, vcc_lo, v1, v5
	v_add_co_ci_u32_e32 v2, vcc_lo, 0, v2, vcc_lo
	s_delay_alu instid0(VALU_DEP_2) | instskip(NEXT) | instid1(VALU_DEP_2)
	v_add_co_u32 v1, vcc_lo, v1, v4
	v_add_co_ci_u32_e32 v2, vcc_lo, 0, v2, vcc_lo
	s_cbranch_scc0 .LBB235_101
; %bb.102:                              ;   in Loop: Header=BB235_99 Depth=1
	s_mov_b32 s0, s6
.LBB235_103:                            ;   in Loop: Header=BB235_99 Depth=1
	s_and_not1_b32 vcc_lo, exec_lo, s7
	s_cbranch_vccnz .LBB235_98
; %bb.104:                              ;   in Loop: Header=BB235_99 Depth=1
	s_lshl_b32 s0, s0, 2
	s_mov_b32 s9, s1
	s_add_i32 s0, s0, 0
.LBB235_105:                            ;   Parent Loop BB235_99 Depth=1
                                        ; =>  This Inner Loop Header: Depth=2
	s_delay_alu instid0(SALU_CYCLE_1)
	v_mov_b32_e32 v4, s0
	s_add_i32 s9, s9, -1
	s_add_i32 s0, s0, 4
	s_cmp_lg_u32 s9, 0
	ds_load_b32 v4, v4
	s_waitcnt lgkmcnt(0)
	v_cmp_gt_i32_e32 vcc_lo, v3, v4
	v_cndmask_b32_e64 v4, 0, 1, vcc_lo
	s_delay_alu instid0(VALU_DEP_1)
	v_add_co_u32 v1, vcc_lo, v1, v4
	v_add_co_ci_u32_e32 v2, vcc_lo, 0, v2, vcc_lo
	s_cbranch_scc1 .LBB235_105
	s_branch .LBB235_98
.LBB235_106:
	s_nop 0
	s_sendmsg sendmsg(MSG_DEALLOC_VGPRS)
	s_endpgm
	.section	.rodata,"a",@progbits
	.p2align	6, 0x0
	.amdhsa_kernel _ZN9rocsparseL41csrgemm_numeric_fill_block_per_row_kernelILj1024ELj64ELj16384ELj137ELj64Eli21rocsparse_complex_numIdEEEvT5_PKS3_S5_NS_24const_host_device_scalarIT6_EEPKT4_S5_PKS7_SB_S5_SD_S8_SB_S5_SD_SB_S5_PS7_21rocsparse_index_base_SF_SF_SF_bbb
		.amdhsa_group_segment_fixed_size 0
		.amdhsa_private_segment_fixed_size 40
		.amdhsa_kernarg_size 172
		.amdhsa_user_sgpr_count 15
		.amdhsa_user_sgpr_dispatch_ptr 0
		.amdhsa_user_sgpr_queue_ptr 0
		.amdhsa_user_sgpr_kernarg_segment_ptr 1
		.amdhsa_user_sgpr_dispatch_id 0
		.amdhsa_user_sgpr_private_segment_size 0
		.amdhsa_wavefront_size32 1
		.amdhsa_uses_dynamic_stack 0
		.amdhsa_enable_private_segment 1
		.amdhsa_system_sgpr_workgroup_id_x 1
		.amdhsa_system_sgpr_workgroup_id_y 0
		.amdhsa_system_sgpr_workgroup_id_z 0
		.amdhsa_system_sgpr_workgroup_info 0
		.amdhsa_system_vgpr_workitem_id 0
		.amdhsa_next_free_vgpr 36
		.amdhsa_next_free_sgpr 46
		.amdhsa_reserve_vcc 1
		.amdhsa_float_round_mode_32 0
		.amdhsa_float_round_mode_16_64 0
		.amdhsa_float_denorm_mode_32 3
		.amdhsa_float_denorm_mode_16_64 3
		.amdhsa_dx10_clamp 1
		.amdhsa_ieee_mode 1
		.amdhsa_fp16_overflow 0
		.amdhsa_workgroup_processor_mode 1
		.amdhsa_memory_ordered 1
		.amdhsa_forward_progress 0
		.amdhsa_shared_vgpr_count 0
		.amdhsa_exception_fp_ieee_invalid_op 0
		.amdhsa_exception_fp_denorm_src 0
		.amdhsa_exception_fp_ieee_div_zero 0
		.amdhsa_exception_fp_ieee_overflow 0
		.amdhsa_exception_fp_ieee_underflow 0
		.amdhsa_exception_fp_ieee_inexact 0
		.amdhsa_exception_int_div_zero 0
	.end_amdhsa_kernel
	.section	.text._ZN9rocsparseL41csrgemm_numeric_fill_block_per_row_kernelILj1024ELj64ELj16384ELj137ELj64Eli21rocsparse_complex_numIdEEEvT5_PKS3_S5_NS_24const_host_device_scalarIT6_EEPKT4_S5_PKS7_SB_S5_SD_S8_SB_S5_SD_SB_S5_PS7_21rocsparse_index_base_SF_SF_SF_bbb,"axG",@progbits,_ZN9rocsparseL41csrgemm_numeric_fill_block_per_row_kernelILj1024ELj64ELj16384ELj137ELj64Eli21rocsparse_complex_numIdEEEvT5_PKS3_S5_NS_24const_host_device_scalarIT6_EEPKT4_S5_PKS7_SB_S5_SD_S8_SB_S5_SD_SB_S5_PS7_21rocsparse_index_base_SF_SF_SF_bbb,comdat
.Lfunc_end235:
	.size	_ZN9rocsparseL41csrgemm_numeric_fill_block_per_row_kernelILj1024ELj64ELj16384ELj137ELj64Eli21rocsparse_complex_numIdEEEvT5_PKS3_S5_NS_24const_host_device_scalarIT6_EEPKT4_S5_PKS7_SB_S5_SD_S8_SB_S5_SD_SB_S5_PS7_21rocsparse_index_base_SF_SF_SF_bbb, .Lfunc_end235-_ZN9rocsparseL41csrgemm_numeric_fill_block_per_row_kernelILj1024ELj64ELj16384ELj137ELj64Eli21rocsparse_complex_numIdEEEvT5_PKS3_S5_NS_24const_host_device_scalarIT6_EEPKT4_S5_PKS7_SB_S5_SD_S8_SB_S5_SD_SB_S5_PS7_21rocsparse_index_base_SF_SF_SF_bbb
                                        ; -- End function
	.section	.AMDGPU.csdata,"",@progbits
; Kernel info:
; codeLenInByte = 4536
; NumSgprs: 48
; NumVgprs: 36
; ScratchSize: 40
; MemoryBound: 0
; FloatMode: 240
; IeeeMode: 1
; LDSByteSize: 0 bytes/workgroup (compile time only)
; SGPRBlocks: 5
; VGPRBlocks: 4
; NumSGPRsForWavesPerEU: 48
; NumVGPRsForWavesPerEU: 36
; Occupancy: 16
; WaveLimiterHint : 1
; COMPUTE_PGM_RSRC2:SCRATCH_EN: 1
; COMPUTE_PGM_RSRC2:USER_SGPR: 15
; COMPUTE_PGM_RSRC2:TRAP_HANDLER: 0
; COMPUTE_PGM_RSRC2:TGID_X_EN: 1
; COMPUTE_PGM_RSRC2:TGID_Y_EN: 0
; COMPUTE_PGM_RSRC2:TGID_Z_EN: 0
; COMPUTE_PGM_RSRC2:TIDIG_COMP_CNT: 0
	.section	.text._ZN9rocsparseL41csrgemm_numeric_fill_block_per_row_kernelILj1024ELj64ELj32768ELj137ELj32Eli21rocsparse_complex_numIdEEEvT5_PKS3_S5_NS_24const_host_device_scalarIT6_EEPKT4_S5_PKS7_SB_S5_SD_S8_SB_S5_SD_SB_S5_PS7_21rocsparse_index_base_SF_SF_SF_bbb,"axG",@progbits,_ZN9rocsparseL41csrgemm_numeric_fill_block_per_row_kernelILj1024ELj64ELj32768ELj137ELj32Eli21rocsparse_complex_numIdEEEvT5_PKS3_S5_NS_24const_host_device_scalarIT6_EEPKT4_S5_PKS7_SB_S5_SD_S8_SB_S5_SD_SB_S5_PS7_21rocsparse_index_base_SF_SF_SF_bbb,comdat
	.globl	_ZN9rocsparseL41csrgemm_numeric_fill_block_per_row_kernelILj1024ELj64ELj32768ELj137ELj32Eli21rocsparse_complex_numIdEEEvT5_PKS3_S5_NS_24const_host_device_scalarIT6_EEPKT4_S5_PKS7_SB_S5_SD_S8_SB_S5_SD_SB_S5_PS7_21rocsparse_index_base_SF_SF_SF_bbb ; -- Begin function _ZN9rocsparseL41csrgemm_numeric_fill_block_per_row_kernelILj1024ELj64ELj32768ELj137ELj32Eli21rocsparse_complex_numIdEEEvT5_PKS3_S5_NS_24const_host_device_scalarIT6_EEPKT4_S5_PKS7_SB_S5_SD_S8_SB_S5_SD_SB_S5_PS7_21rocsparse_index_base_SF_SF_SF_bbb
	.p2align	8
	.type	_ZN9rocsparseL41csrgemm_numeric_fill_block_per_row_kernelILj1024ELj64ELj32768ELj137ELj32Eli21rocsparse_complex_numIdEEEvT5_PKS3_S5_NS_24const_host_device_scalarIT6_EEPKT4_S5_PKS7_SB_S5_SD_S8_SB_S5_SD_SB_S5_PS7_21rocsparse_index_base_SF_SF_SF_bbb,@function
_ZN9rocsparseL41csrgemm_numeric_fill_block_per_row_kernelILj1024ELj64ELj32768ELj137ELj32Eli21rocsparse_complex_numIdEEEvT5_PKS3_S5_NS_24const_host_device_scalarIT6_EEPKT4_S5_PKS7_SB_S5_SD_S8_SB_S5_SD_SB_S5_PS7_21rocsparse_index_base_SF_SF_SF_bbb: ; @_ZN9rocsparseL41csrgemm_numeric_fill_block_per_row_kernelILj1024ELj64ELj32768ELj137ELj32Eli21rocsparse_complex_numIdEEEvT5_PKS3_S5_NS_24const_host_device_scalarIT6_EEPKT4_S5_PKS7_SB_S5_SD_S8_SB_S5_SD_SB_S5_PS7_21rocsparse_index_base_SF_SF_SF_bbb
; %bb.0:
	s_clause 0x3
	s_load_b32 s14, s[0:1], 0xa8
	s_load_b128 s[4:7], s[0:1], 0x18
	s_load_b128 s[20:23], s[0:1], 0x58
	;; [unrolled: 1-line block ×3, first 2 shown]
	v_mov_b32_e32 v1, 0
	v_mov_b32_e32 v2, 0
	s_waitcnt lgkmcnt(0)
	s_bitcmp1_b32 s14, 0
	v_mov_b32_e32 v3, s4
	s_cselect_b32 s12, -1, 0
	s_bitcmp1_b32 s14, 16
	v_dual_mov_b32 v6, v2 :: v_dual_mov_b32 v5, v1
	s_cselect_b32 s2, -1, 0
	v_mov_b32_e32 v4, s5
	s_xor_b32 s13, s2, -1
	v_dual_mov_b32 v9, s20 :: v_dual_mov_b32 v10, s21
	v_cndmask_b32_e64 v7, 0, 1, s13
	s_bitcmp0_b32 s14, 0
	s_clause 0x1
	scratch_store_b64 off, v[3:4], off offset:16
	scratch_store_b64 off, v[9:10], off offset:24
	v_cmp_ne_u32_e32 vcc_lo, 1, v7
	v_dual_mov_b32 v8, v2 :: v_dual_mov_b32 v7, v1
	s_cbranch_scc1 .LBB236_3
; %bb.1:
	s_mov_b64 s[8:9], src_private_base
	s_and_b32 s3, s2, exec_lo
	s_cselect_b32 s3, s9, s5
	s_delay_alu instid0(SALU_CYCLE_1) | instskip(SKIP_2) | instid1(VALU_DEP_2)
	v_dual_mov_b32 v3, 16 :: v_dual_mov_b32 v4, s3
	v_dual_mov_b32 v8, s7 :: v_dual_mov_b32 v7, s6
	s_and_b32 vcc_lo, exec_lo, vcc_lo
	v_cndmask_b32_e64 v3, s4, v3, s2
	flat_load_b64 v[5:6], v[3:4]
	s_cbranch_vccnz .LBB236_3
; %bb.2:
	v_dual_mov_b32 v3, s4 :: v_dual_mov_b32 v4, s5
	flat_load_b64 v[7:8], v[3:4] offset:8
.LBB236_3:
	s_clause 0x4
	s_load_b64 s[34:35], s[0:1], 0x90
	s_load_b256 s[36:43], s[0:1], 0x68
	s_load_b128 s[16:19], s[0:1], 0x48
	s_load_b128 s[24:27], s[0:1], 0x8
	s_load_b256 s[4:11], s[0:1], 0x28
	s_bitcmp1_b32 s14, 8
	v_dual_mov_b32 v4, v2 :: v_dual_mov_b32 v3, v1
	s_cselect_b32 s3, -1, 0
	s_bfe_u32 s14, s14, 0x10008
	s_delay_alu instid0(SALU_CYCLE_1)
	s_cmp_eq_u32 s14, 0
	s_cbranch_scc1 .LBB236_6
; %bb.4:
	s_mov_b64 s[28:29], src_private_base
	s_and_b32 s14, s2, exec_lo
	s_cselect_b32 s14, s29, s21
	s_delay_alu instid0(SALU_CYCLE_1) | instskip(SKIP_1) | instid1(VALU_DEP_1)
	v_dual_mov_b32 v1, 24 :: v_dual_mov_b32 v2, s14
	s_and_not1_b32 vcc_lo, exec_lo, s13
	v_cndmask_b32_e64 v1, s20, v1, s2
	flat_load_b64 v[3:4], v[1:2]
	v_dual_mov_b32 v1, s22 :: v_dual_mov_b32 v2, s23
	s_cbranch_vccnz .LBB236_6
; %bb.5:
	v_dual_mov_b32 v1, s20 :: v_dual_mov_b32 v2, s21
	flat_load_b64 v[1:2], v[1:2] offset:8
.LBB236_6:
	s_load_b32 s33, s[0:1], 0x0
	s_mov_b32 s0, 0
	v_or_b32_e32 v25, 0xfffffc00, v0
	v_lshl_add_u32 v26, v0, 2, 0
	s_mov_b32 s1, s0
	s_delay_alu instid0(SALU_CYCLE_1)
	v_dual_mov_b32 v10, s1 :: v_dual_lshlrev_b32 v27, 4, v0
	s_mov_b32 s20, s0
	s_mov_b32 s21, s0
	v_dual_mov_b32 v11, s20 :: v_dual_mov_b32 v14, v26
	v_dual_mov_b32 v9, s0 :: v_dual_mov_b32 v12, s21
	v_add3_u32 v13, v27, 0, 0x20008
	s_waitcnt lgkmcnt(0)
	v_dual_mov_b32 v16, v25 :: v_dual_mov_b32 v15, s33
.LBB236_7:                              ; =>This Inner Loop Header: Depth=1
	s_delay_alu instid0(VALU_DEP_1)
	v_add_nc_u32_e32 v16, 0x400, v16
	ds_store_b32 v14, v15
	v_add_nc_u32_e32 v17, -8, v13
	v_add_nc_u32_e32 v13, 0x4000, v13
	v_add_nc_u32_e32 v14, 0x1000, v14
	v_cmp_lt_u32_e32 vcc_lo, 0x7bff, v16
	ds_store_2addr_b64 v17, v[9:10], v[11:12] offset1:1
	s_or_b32 s0, vcc_lo, s0
	s_delay_alu instid0(SALU_CYCLE_1)
	s_and_not1_b32 exec_lo, exec_lo, s0
	s_cbranch_execnz .LBB236_7
; %bb.8:
	s_or_b32 exec_lo, exec_lo, s0
	s_waitcnt vmcnt(0) lgkmcnt(0)
	s_waitcnt_vscnt null, 0x0
	s_barrier
	buffer_gl0_inv
	s_load_b32 s0, s[24:25], 0x0
	s_mov_b32 s1, 0
	s_waitcnt lgkmcnt(0)
	s_add_i32 s0, s0, s15
	s_delay_alu instid0(SALU_CYCLE_1) | instskip(NEXT) | instid1(SALU_CYCLE_1)
	s_lshl_b64 s[0:1], s[0:1], 2
	s_add_u32 s0, s26, s0
	s_addc_u32 s1, s27, s1
	s_and_b32 vcc_lo, exec_lo, s12
	s_load_b32 s48, s[0:1], 0x0
	s_cbranch_vccz .LBB236_36
; %bb.9:
	s_waitcnt lgkmcnt(0)
	s_ashr_i32 s49, s48, 31
	v_lshrrev_b32_e32 v9, 6, v0
	s_lshl_b64 s[0:1], s[48:49], 3
	s_mov_b32 s2, exec_lo
	s_add_u32 s0, s4, s0
	s_addc_u32 s1, s5, s1
	s_load_b128 s[12:15], s[0:1], 0x0
	v_sub_co_u32 v9, s0, v9, s44
	s_delay_alu instid0(VALU_DEP_1) | instskip(SKIP_1) | instid1(VALU_DEP_2)
	v_sub_co_ci_u32_e64 v10, null, 0, 0, s0
	s_waitcnt lgkmcnt(0)
	v_add_co_u32 v9, vcc_lo, s12, v9
	s_delay_alu instid0(VALU_DEP_2)
	v_add_co_ci_u32_e32 v10, vcc_lo, s13, v10, vcc_lo
	s_sub_u32 s0, s14, s44
	s_subb_u32 s1, s15, 0
	s_delay_alu instid0(VALU_DEP_1) | instid1(SALU_CYCLE_1)
	v_cmpx_gt_i64_e64 s[0:1], v[9:10]
	s_cbranch_execz .LBB236_35
; %bb.10:
	v_and_b32_e32 v11, 63, v0
	s_mov_b32 s5, s45
	s_delay_alu instid0(VALU_DEP_1) | instskip(NEXT) | instid1(VALU_DEP_1)
	v_sub_co_u32 v28, s4, v11, s45
	v_sub_co_ci_u32_e64 v29, null, 0, 0, s4
	s_mov_b32 s4, 0
	s_branch .LBB236_12
.LBB236_11:                             ;   in Loop: Header=BB236_12 Depth=1
	s_or_b32 exec_lo, exec_lo, s12
	v_add_co_u32 v9, vcc_lo, v9, 16
	v_add_co_ci_u32_e32 v10, vcc_lo, 0, v10, vcc_lo
	s_delay_alu instid0(VALU_DEP_1) | instskip(SKIP_1) | instid1(SALU_CYCLE_1)
	v_cmp_le_i64_e32 vcc_lo, s[0:1], v[9:10]
	s_or_b32 s4, vcc_lo, s4
	s_and_not1_b32 exec_lo, exec_lo, s4
	s_cbranch_execz .LBB236_35
.LBB236_12:                             ; =>This Loop Header: Depth=1
                                        ;     Child Loop BB236_15 Depth 2
                                        ;       Child Loop BB236_17 Depth 3
                                        ;         Child Loop BB236_23 Depth 4
                                        ;         Child Loop BB236_25 Depth 4
	;; [unrolled: 1-line block ×4, first 2 shown]
	v_lshlrev_b64 v[11:12], 2, v[9:10]
	s_mov_b32 s12, exec_lo
	s_delay_alu instid0(VALU_DEP_1) | instskip(NEXT) | instid1(VALU_DEP_2)
	v_add_co_u32 v11, vcc_lo, s6, v11
	v_add_co_ci_u32_e32 v12, vcc_lo, s7, v12, vcc_lo
	global_load_b32 v11, v[11:12], off
	s_waitcnt vmcnt(0)
	v_subrev_nc_u32_e32 v11, s44, v11
	s_delay_alu instid0(VALU_DEP_1) | instskip(NEXT) | instid1(VALU_DEP_1)
	v_ashrrev_i32_e32 v12, 31, v11
	v_lshlrev_b64 v[11:12], 3, v[11:12]
	s_delay_alu instid0(VALU_DEP_1) | instskip(NEXT) | instid1(VALU_DEP_2)
	v_add_co_u32 v11, vcc_lo, s10, v11
	v_add_co_ci_u32_e32 v12, vcc_lo, s11, v12, vcc_lo
	global_load_b128 v[13:16], v[11:12], off
	s_waitcnt vmcnt(0)
	v_sub_co_u32 v11, vcc_lo, v15, s5
	v_subrev_co_ci_u32_e32 v12, vcc_lo, 0, v16, vcc_lo
	v_add_co_u32 v13, vcc_lo, v13, v28
	v_add_co_ci_u32_e32 v14, vcc_lo, v14, v29, vcc_lo
	s_delay_alu instid0(VALU_DEP_1)
	v_cmpx_lt_i64_e64 v[13:14], v[11:12]
	s_cbranch_execz .LBB236_11
; %bb.13:                               ;   in Loop: Header=BB236_12 Depth=1
	v_lshlrev_b64 v[15:16], 4, v[9:10]
	s_mov_b32 s13, 0
	s_delay_alu instid0(VALU_DEP_1) | instskip(NEXT) | instid1(VALU_DEP_2)
	v_add_co_u32 v15, vcc_lo, s8, v15
	v_add_co_ci_u32_e32 v16, vcc_lo, s9, v16, vcc_lo
	global_load_b128 v[17:20], v[15:16], off
	s_waitcnt vmcnt(0)
	v_mul_f64 v[15:16], v[19:20], -v[7:8]
	v_mul_f64 v[19:20], v[5:6], v[19:20]
	s_delay_alu instid0(VALU_DEP_2) | instskip(NEXT) | instid1(VALU_DEP_2)
	v_fma_f64 v[15:16], v[5:6], v[17:18], v[15:16]
	v_fma_f64 v[17:18], v[7:8], v[17:18], v[19:20]
	s_branch .LBB236_15
.LBB236_14:                             ;   in Loop: Header=BB236_15 Depth=2
	s_or_b32 exec_lo, exec_lo, s14
	v_add_co_u32 v13, vcc_lo, v13, 64
	v_add_co_ci_u32_e32 v14, vcc_lo, 0, v14, vcc_lo
	s_delay_alu instid0(VALU_DEP_1) | instskip(SKIP_1) | instid1(SALU_CYCLE_1)
	v_cmp_ge_i64_e32 vcc_lo, v[13:14], v[11:12]
	s_or_b32 s13, vcc_lo, s13
	s_and_not1_b32 exec_lo, exec_lo, s13
	s_cbranch_execz .LBB236_11
.LBB236_15:                             ;   Parent Loop BB236_12 Depth=1
                                        ; =>  This Loop Header: Depth=2
                                        ;       Child Loop BB236_17 Depth 3
                                        ;         Child Loop BB236_23 Depth 4
                                        ;         Child Loop BB236_25 Depth 4
	;; [unrolled: 1-line block ×4, first 2 shown]
	v_lshlrev_b64 v[19:20], 4, v[13:14]
	s_mov_b32 s14, 0
	s_delay_alu instid0(VALU_DEP_1) | instskip(NEXT) | instid1(VALU_DEP_2)
	v_add_co_u32 v19, vcc_lo, s18, v19
	v_add_co_ci_u32_e32 v20, vcc_lo, s19, v20, vcc_lo
	global_load_b128 v[21:24], v[19:20], off
	v_lshlrev_b64 v[19:20], 2, v[13:14]
	s_delay_alu instid0(VALU_DEP_1) | instskip(NEXT) | instid1(VALU_DEP_2)
	v_add_co_u32 v19, vcc_lo, s16, v19
	v_add_co_ci_u32_e32 v20, vcc_lo, s17, v20, vcc_lo
	global_load_b32 v30, v[19:20], off
	s_waitcnt vmcnt(1)
	v_mul_f64 v[19:20], v[23:24], -v[17:18]
	v_mul_f64 v[23:24], v[15:16], v[23:24]
	s_waitcnt vmcnt(0)
	v_subrev_nc_u32_e32 v30, s45, v30
	s_delay_alu instid0(VALU_DEP_3) | instskip(NEXT) | instid1(VALU_DEP_3)
	v_fma_f64 v[19:20], v[15:16], v[21:22], v[19:20]
	v_fma_f64 v[21:22], v[17:18], v[21:22], v[23:24]
	s_delay_alu instid0(VALU_DEP_3) | instskip(NEXT) | instid1(VALU_DEP_1)
	v_mul_lo_u32 v23, 0x89, v30
	v_and_b32_e32 v31, 0x7fff, v23
	s_branch .LBB236_17
.LBB236_16:                             ;   in Loop: Header=BB236_17 Depth=3
	s_or_b32 exec_lo, exec_lo, s15
	s_xor_b32 s15, s20, -1
	s_delay_alu instid0(SALU_CYCLE_1) | instskip(NEXT) | instid1(SALU_CYCLE_1)
	s_and_b32 s15, exec_lo, s15
	s_or_b32 s14, s15, s14
	s_delay_alu instid0(SALU_CYCLE_1)
	s_and_not1_b32 exec_lo, exec_lo, s14
	s_cbranch_execz .LBB236_14
.LBB236_17:                             ;   Parent Loop BB236_12 Depth=1
                                        ;     Parent Loop BB236_15 Depth=2
                                        ; =>    This Loop Header: Depth=3
                                        ;         Child Loop BB236_23 Depth 4
                                        ;         Child Loop BB236_25 Depth 4
	;; [unrolled: 1-line block ×4, first 2 shown]
	s_delay_alu instid0(VALU_DEP_1)
	v_lshl_add_u32 v23, v31, 2, 0
	s_mov_b32 s15, exec_lo
                                        ; implicit-def: $sgpr20
	ds_load_b32 v24, v23
	s_waitcnt lgkmcnt(0)
	v_cmpx_ne_u32_e64 v24, v30
	s_xor_b32 s15, exec_lo, s15
	s_cbranch_execz .LBB236_29
; %bb.18:                               ;   in Loop: Header=BB236_17 Depth=3
	s_mov_b32 s21, exec_lo
                                        ; implicit-def: $sgpr20
	v_cmpx_ne_u32_e64 s33, v24
	s_xor_b32 s21, exec_lo, s21
; %bb.19:                               ;   in Loop: Header=BB236_17 Depth=3
	v_add_nc_u32_e32 v23, 1, v31
	s_mov_b32 s20, -1
	s_delay_alu instid0(VALU_DEP_1)
	v_and_b32_e32 v31, 0x7fff, v23
                                        ; implicit-def: $vgpr23
; %bb.20:                               ;   in Loop: Header=BB236_17 Depth=3
	s_and_not1_saveexec_b32 s21, s21
	s_cbranch_execz .LBB236_28
; %bb.21:                               ;   in Loop: Header=BB236_17 Depth=3
	v_mov_b32_e32 v24, s33
	s_mov_b32 s23, -1
	s_mov_b32 s22, exec_lo
	ds_cmpstore_rtn_b32 v23, v23, v30, v24
	s_waitcnt lgkmcnt(0)
	v_cmpx_eq_u32_e64 s33, v23
	s_cbranch_execz .LBB236_27
; %bb.22:                               ;   in Loop: Header=BB236_17 Depth=3
	v_lshlrev_b32_e32 v23, 4, v31
	s_mov_b32 s23, 0
	s_delay_alu instid0(VALU_DEP_1)
	v_add3_u32 v32, 0, v23, 0x20000
	ds_load_b64 v[23:24], v32
.LBB236_23:                             ;   Parent Loop BB236_12 Depth=1
                                        ;     Parent Loop BB236_15 Depth=2
                                        ;       Parent Loop BB236_17 Depth=3
                                        ; =>      This Inner Loop Header: Depth=4
	s_waitcnt lgkmcnt(0)
	v_add_f64 v[33:34], v[23:24], v[19:20]
	ds_cmpstore_rtn_b64 v[33:34], v32, v[33:34], v[23:24]
	s_waitcnt lgkmcnt(0)
	v_cmp_eq_u64_e32 vcc_lo, v[33:34], v[23:24]
	v_dual_mov_b32 v23, v33 :: v_dual_mov_b32 v24, v34
	s_or_b32 s23, vcc_lo, s23
	s_delay_alu instid0(SALU_CYCLE_1)
	s_and_not1_b32 exec_lo, exec_lo, s23
	s_cbranch_execnz .LBB236_23
; %bb.24:                               ;   in Loop: Header=BB236_17 Depth=3
	s_or_b32 exec_lo, exec_lo, s23
	ds_load_b64 v[23:24], v32 offset:8
	s_mov_b32 s23, 0
.LBB236_25:                             ;   Parent Loop BB236_12 Depth=1
                                        ;     Parent Loop BB236_15 Depth=2
                                        ;       Parent Loop BB236_17 Depth=3
                                        ; =>      This Inner Loop Header: Depth=4
	s_waitcnt lgkmcnt(0)
	v_add_f64 v[33:34], v[23:24], v[21:22]
	ds_cmpstore_rtn_b64 v[33:34], v32, v[33:34], v[23:24] offset:8
	s_waitcnt lgkmcnt(0)
	v_cmp_eq_u64_e32 vcc_lo, v[33:34], v[23:24]
	v_dual_mov_b32 v23, v33 :: v_dual_mov_b32 v24, v34
	s_or_b32 s23, vcc_lo, s23
	s_delay_alu instid0(SALU_CYCLE_1)
	s_and_not1_b32 exec_lo, exec_lo, s23
	s_cbranch_execnz .LBB236_25
; %bb.26:                               ;   in Loop: Header=BB236_17 Depth=3
	s_or_b32 exec_lo, exec_lo, s23
	s_delay_alu instid0(SALU_CYCLE_1)
	s_xor_b32 s23, exec_lo, -1
.LBB236_27:                             ;   in Loop: Header=BB236_17 Depth=3
	s_or_b32 exec_lo, exec_lo, s22
	s_delay_alu instid0(SALU_CYCLE_1) | instskip(SKIP_1) | instid1(SALU_CYCLE_1)
	s_and_not1_b32 s20, s20, exec_lo
	s_and_b32 s22, s23, exec_lo
	s_or_b32 s20, s20, s22
.LBB236_28:                             ;   in Loop: Header=BB236_17 Depth=3
	s_or_b32 exec_lo, exec_lo, s21
	s_delay_alu instid0(SALU_CYCLE_1)
	s_and_b32 s20, s20, exec_lo
.LBB236_29:                             ;   in Loop: Header=BB236_17 Depth=3
	s_and_not1_saveexec_b32 s15, s15
	s_cbranch_execz .LBB236_16
; %bb.30:                               ;   in Loop: Header=BB236_17 Depth=3
	v_lshlrev_b32_e32 v23, 4, v31
	s_mov_b32 s21, 0
	s_delay_alu instid0(VALU_DEP_1)
	v_add3_u32 v32, 0, v23, 0x20000
	ds_load_b64 v[23:24], v32
.LBB236_31:                             ;   Parent Loop BB236_12 Depth=1
                                        ;     Parent Loop BB236_15 Depth=2
                                        ;       Parent Loop BB236_17 Depth=3
                                        ; =>      This Inner Loop Header: Depth=4
	s_waitcnt lgkmcnt(0)
	v_add_f64 v[33:34], v[23:24], v[19:20]
	ds_cmpstore_rtn_b64 v[33:34], v32, v[33:34], v[23:24]
	s_waitcnt lgkmcnt(0)
	v_cmp_eq_u64_e32 vcc_lo, v[33:34], v[23:24]
	v_dual_mov_b32 v23, v33 :: v_dual_mov_b32 v24, v34
	s_or_b32 s21, vcc_lo, s21
	s_delay_alu instid0(SALU_CYCLE_1)
	s_and_not1_b32 exec_lo, exec_lo, s21
	s_cbranch_execnz .LBB236_31
; %bb.32:                               ;   in Loop: Header=BB236_17 Depth=3
	s_or_b32 exec_lo, exec_lo, s21
	ds_load_b64 v[23:24], v32 offset:8
	s_mov_b32 s21, 0
.LBB236_33:                             ;   Parent Loop BB236_12 Depth=1
                                        ;     Parent Loop BB236_15 Depth=2
                                        ;       Parent Loop BB236_17 Depth=3
                                        ; =>      This Inner Loop Header: Depth=4
	s_waitcnt lgkmcnt(0)
	v_add_f64 v[33:34], v[23:24], v[21:22]
	ds_cmpstore_rtn_b64 v[33:34], v32, v[33:34], v[23:24] offset:8
	s_waitcnt lgkmcnt(0)
	v_cmp_eq_u64_e32 vcc_lo, v[33:34], v[23:24]
	v_dual_mov_b32 v23, v33 :: v_dual_mov_b32 v24, v34
	s_or_b32 s21, vcc_lo, s21
	s_delay_alu instid0(SALU_CYCLE_1)
	s_and_not1_b32 exec_lo, exec_lo, s21
	s_cbranch_execnz .LBB236_33
; %bb.34:                               ;   in Loop: Header=BB236_17 Depth=3
	s_or_b32 exec_lo, exec_lo, s21
	s_delay_alu instid0(SALU_CYCLE_1)
	s_and_not1_b32 s20, s20, exec_lo
	s_branch .LBB236_16
.LBB236_35:
	s_or_b32 exec_lo, exec_lo, s2
.LBB236_36:
	s_delay_alu instid0(SALU_CYCLE_1)
	s_and_not1_b32 vcc_lo, exec_lo, s3
	s_cbranch_vccnz .LBB236_39
; %bb.37:
	s_waitcnt lgkmcnt(0)
	s_ashr_i32 s49, s48, 31
	v_sub_co_u32 v5, s4, v0, s47
	s_lshl_b64 s[0:1], s[48:49], 3
	v_sub_co_ci_u32_e64 v6, null, 0, 0, s4
	s_add_u32 s0, s36, s0
	s_addc_u32 s1, s37, s1
	s_load_b128 s[0:3], s[0:1], 0x0
	s_waitcnt lgkmcnt(0)
	v_add_co_u32 v5, vcc_lo, s0, v5
	v_add_co_ci_u32_e32 v6, vcc_lo, s1, v6, vcc_lo
	s_sub_u32 s0, s2, s47
	s_subb_u32 s1, s3, 0
	s_mov_b32 s3, 0
	s_mov_b32 s2, exec_lo
	v_cmpx_gt_i64_e64 s[0:1], v[5:6]
	s_cbranch_execnz .LBB236_108
.LBB236_38:
	s_or_b32 exec_lo, exec_lo, s2
.LBB236_39:
	v_mbcnt_lo_u32_b32 v1, -1, 0
	v_lshrrev_b32_e32 v2, 3, v0
	s_add_i32 s68, 0, 0xa007c
	v_cmp_eq_u32_e32 vcc_lo, 0x3ff, v0
	v_cmp_lt_u32_e64 s0, 31, v0
	v_xor_b32_e32 v1, 63, v1
	v_dual_mov_b32 v4, 0 :: v_dual_and_b32 v3, 0x7c, v2
	v_cmp_lt_u32_e64 s1, 63, v0
	v_cmp_lt_u32_e64 s2, 0x5f, v0
	s_delay_alu instid0(VALU_DEP_4) | instskip(NEXT) | instid1(VALU_DEP_4)
	v_lshrrev_b64 v[1:2], v1, -1
	v_add3_u32 v2, 0, 0xa0000, v3
	v_cmp_lt_u32_e64 s3, 0x7f, v0
	v_cmp_lt_u32_e64 s4, 0x9f, v0
	;; [unrolled: 1-line block ×28, first 2 shown]
	v_add3_u32 v3, v27, 0, 0x20000
	v_mov_b32_e32 v5, s68
	s_mov_b32 s36, 0
	s_add_i32 s37, 0, 0xa0000
	s_add_i32 s38, 0, 0xa0004
	s_add_i32 s39, 0, 0xa0008
	s_add_i32 s40, 0, 0xa000c
	s_add_i32 s41, 0, 0xa0010
	s_add_i32 s44, 0, 0xa0014
	s_add_i32 s45, 0, 0xa0018
	s_add_i32 s47, 0, 0xa001c
	s_add_i32 s49, 0, 0xa0020
	s_add_i32 s50, 0, 0xa0024
	s_add_i32 s51, 0, 0xa0028
	s_add_i32 s52, 0, 0xa002c
	s_add_i32 s53, 0, 0xa0030
	s_add_i32 s54, 0, 0xa0034
	s_add_i32 s55, 0, 0xa0038
	s_add_i32 s56, 0, 0xa003c
	s_add_i32 s57, 0, 0xa0040
	s_add_i32 s58, 0, 0xa0044
	s_add_i32 s59, 0, 0xa0048
	s_add_i32 s60, 0, 0xa004c
	s_add_i32 s61, 0, 0xa0050
	s_add_i32 s62, 0, 0xa0054
	s_add_i32 s63, 0, 0xa0058
	s_add_i32 s64, 0, 0xa005c
	s_add_i32 s65, 0, 0xa0060
	s_add_i32 s66, 0, 0xa0064
	s_add_i32 s67, 0, 0xa0068
	s_add_i32 s69, 0, 0xa006c
	s_add_i32 s70, 0, 0xa0070
	s_add_i32 s71, 0, 0xa0074
	s_add_i32 s72, 0, 0xa0078
	s_waitcnt lgkmcnt(0)
	s_barrier
	buffer_gl0_inv
	s_branch .LBB236_41
.LBB236_40:                             ;   in Loop: Header=BB236_41 Depth=1
	s_or_b32 exec_lo, exec_lo, s31
	s_waitcnt lgkmcnt(0)
	s_barrier
	buffer_gl0_inv
	ds_load_b32 v6, v5
	v_add_nc_u32_e32 v25, 0x400, v25
	v_add_nc_u32_e32 v3, 0x4000, v3
	v_add_nc_u32_e32 v26, 0x1000, v26
	s_delay_alu instid0(VALU_DEP_3) | instskip(NEXT) | instid1(VALU_DEP_1)
	v_cmp_lt_u32_e64 s31, 0x7bff, v25
	s_or_b32 s36, s31, s36
	s_waitcnt lgkmcnt(0)
	v_add_nc_u32_e32 v4, v6, v4
	s_and_not1_b32 exec_lo, exec_lo, s36
	s_cbranch_execz .LBB236_128
.LBB236_41:                             ; =>This Inner Loop Header: Depth=1
	ds_load_b32 v6, v26
	ds_load_2addr_b64 v[7:10], v3 offset1:1
	s_waitcnt lgkmcnt(1)
	v_cmp_gt_i32_e64 s31, s33, v6
	s_waitcnt lgkmcnt(0)
	scratch_store_b128 off, v[7:10], off
	s_waitcnt_vscnt null, 0x0
	s_barrier
	buffer_gl0_inv
	s_bcnt1_i32_b32 s73, s31
	s_delay_alu instid0(SALU_CYCLE_1) | instskip(NEXT) | instid1(VALU_DEP_1)
	v_dual_mov_b32 v8, s73 :: v_dual_and_b32 v7, s31, v1
	v_bcnt_u32_b32 v7, v7, 0
	ds_store_b32 v2, v8
	s_waitcnt lgkmcnt(0)
	s_barrier
	buffer_gl0_inv
	s_and_saveexec_b32 s73, s0
	s_cbranch_execnz .LBB236_74
; %bb.42:                               ;   in Loop: Header=BB236_41 Depth=1
	s_or_b32 exec_lo, exec_lo, s73
	s_and_saveexec_b32 s73, s1
	s_cbranch_execnz .LBB236_75
.LBB236_43:                             ;   in Loop: Header=BB236_41 Depth=1
	s_or_b32 exec_lo, exec_lo, s73
	s_and_saveexec_b32 s73, s2
	s_cbranch_execnz .LBB236_76
.LBB236_44:                             ;   in Loop: Header=BB236_41 Depth=1
	s_or_b32 exec_lo, exec_lo, s73
	s_and_saveexec_b32 s73, s3
	s_cbranch_execnz .LBB236_77
.LBB236_45:                             ;   in Loop: Header=BB236_41 Depth=1
	s_or_b32 exec_lo, exec_lo, s73
	s_and_saveexec_b32 s73, s4
	s_cbranch_execnz .LBB236_78
.LBB236_46:                             ;   in Loop: Header=BB236_41 Depth=1
	s_or_b32 exec_lo, exec_lo, s73
	s_and_saveexec_b32 s73, s5
	s_cbranch_execnz .LBB236_79
.LBB236_47:                             ;   in Loop: Header=BB236_41 Depth=1
	s_or_b32 exec_lo, exec_lo, s73
	s_and_saveexec_b32 s73, s6
	s_cbranch_execnz .LBB236_80
.LBB236_48:                             ;   in Loop: Header=BB236_41 Depth=1
	s_or_b32 exec_lo, exec_lo, s73
	s_and_saveexec_b32 s73, s7
	s_cbranch_execnz .LBB236_81
.LBB236_49:                             ;   in Loop: Header=BB236_41 Depth=1
	s_or_b32 exec_lo, exec_lo, s73
	s_and_saveexec_b32 s73, s8
	s_cbranch_execnz .LBB236_82
.LBB236_50:                             ;   in Loop: Header=BB236_41 Depth=1
	s_or_b32 exec_lo, exec_lo, s73
	s_and_saveexec_b32 s73, s9
	s_cbranch_execnz .LBB236_83
.LBB236_51:                             ;   in Loop: Header=BB236_41 Depth=1
	s_or_b32 exec_lo, exec_lo, s73
	s_and_saveexec_b32 s73, s10
	s_cbranch_execnz .LBB236_84
.LBB236_52:                             ;   in Loop: Header=BB236_41 Depth=1
	s_or_b32 exec_lo, exec_lo, s73
	s_and_saveexec_b32 s73, s11
	s_cbranch_execnz .LBB236_85
.LBB236_53:                             ;   in Loop: Header=BB236_41 Depth=1
	s_or_b32 exec_lo, exec_lo, s73
	s_and_saveexec_b32 s73, s12
	s_cbranch_execnz .LBB236_86
.LBB236_54:                             ;   in Loop: Header=BB236_41 Depth=1
	s_or_b32 exec_lo, exec_lo, s73
	s_and_saveexec_b32 s73, s13
	s_cbranch_execnz .LBB236_87
.LBB236_55:                             ;   in Loop: Header=BB236_41 Depth=1
	s_or_b32 exec_lo, exec_lo, s73
	s_and_saveexec_b32 s73, s14
	s_cbranch_execnz .LBB236_88
.LBB236_56:                             ;   in Loop: Header=BB236_41 Depth=1
	s_or_b32 exec_lo, exec_lo, s73
	s_and_saveexec_b32 s73, s15
	s_cbranch_execnz .LBB236_89
.LBB236_57:                             ;   in Loop: Header=BB236_41 Depth=1
	s_or_b32 exec_lo, exec_lo, s73
	s_and_saveexec_b32 s73, s16
	s_cbranch_execnz .LBB236_90
.LBB236_58:                             ;   in Loop: Header=BB236_41 Depth=1
	s_or_b32 exec_lo, exec_lo, s73
	s_and_saveexec_b32 s73, s17
	s_cbranch_execnz .LBB236_91
.LBB236_59:                             ;   in Loop: Header=BB236_41 Depth=1
	s_or_b32 exec_lo, exec_lo, s73
	s_and_saveexec_b32 s73, s18
	s_cbranch_execnz .LBB236_92
.LBB236_60:                             ;   in Loop: Header=BB236_41 Depth=1
	s_or_b32 exec_lo, exec_lo, s73
	s_and_saveexec_b32 s73, s19
	s_cbranch_execnz .LBB236_93
.LBB236_61:                             ;   in Loop: Header=BB236_41 Depth=1
	s_or_b32 exec_lo, exec_lo, s73
	s_and_saveexec_b32 s73, s20
	s_cbranch_execnz .LBB236_94
.LBB236_62:                             ;   in Loop: Header=BB236_41 Depth=1
	s_or_b32 exec_lo, exec_lo, s73
	s_and_saveexec_b32 s73, s21
	s_cbranch_execnz .LBB236_95
.LBB236_63:                             ;   in Loop: Header=BB236_41 Depth=1
	s_or_b32 exec_lo, exec_lo, s73
	s_and_saveexec_b32 s73, s22
	s_cbranch_execnz .LBB236_96
.LBB236_64:                             ;   in Loop: Header=BB236_41 Depth=1
	s_or_b32 exec_lo, exec_lo, s73
	s_and_saveexec_b32 s73, s23
	s_cbranch_execnz .LBB236_97
.LBB236_65:                             ;   in Loop: Header=BB236_41 Depth=1
	s_or_b32 exec_lo, exec_lo, s73
	s_and_saveexec_b32 s73, s24
	s_cbranch_execnz .LBB236_98
.LBB236_66:                             ;   in Loop: Header=BB236_41 Depth=1
	s_or_b32 exec_lo, exec_lo, s73
	s_and_saveexec_b32 s73, s25
	s_cbranch_execnz .LBB236_99
.LBB236_67:                             ;   in Loop: Header=BB236_41 Depth=1
	s_or_b32 exec_lo, exec_lo, s73
	s_and_saveexec_b32 s73, s26
	s_cbranch_execnz .LBB236_100
.LBB236_68:                             ;   in Loop: Header=BB236_41 Depth=1
	s_or_b32 exec_lo, exec_lo, s73
	s_and_saveexec_b32 s73, s27
	s_cbranch_execnz .LBB236_101
.LBB236_69:                             ;   in Loop: Header=BB236_41 Depth=1
	s_or_b32 exec_lo, exec_lo, s73
	s_and_saveexec_b32 s73, s28
	s_cbranch_execnz .LBB236_102
.LBB236_70:                             ;   in Loop: Header=BB236_41 Depth=1
	s_or_b32 exec_lo, exec_lo, s73
	s_and_saveexec_b32 s73, s29
	s_cbranch_execnz .LBB236_103
.LBB236_71:                             ;   in Loop: Header=BB236_41 Depth=1
	s_or_b32 exec_lo, exec_lo, s73
	s_and_saveexec_b32 s73, s30
	s_cbranch_execnz .LBB236_104
.LBB236_72:                             ;   in Loop: Header=BB236_41 Depth=1
	s_or_b32 exec_lo, exec_lo, s73
	s_and_saveexec_b32 s73, s31
	s_cbranch_execnz .LBB236_105
.LBB236_73:                             ;   in Loop: Header=BB236_41 Depth=1
	s_or_b32 exec_lo, exec_lo, s73
	s_and_saveexec_b32 s31, vcc_lo
	s_cbranch_execz .LBB236_40
	s_branch .LBB236_106
.LBB236_74:                             ;   in Loop: Header=BB236_41 Depth=1
	v_mov_b32_e32 v8, s37
	ds_load_b32 v8, v8
	s_waitcnt lgkmcnt(0)
	v_add_nc_u32_e32 v7, v8, v7
	s_or_b32 exec_lo, exec_lo, s73
	s_and_saveexec_b32 s73, s1
	s_cbranch_execz .LBB236_43
.LBB236_75:                             ;   in Loop: Header=BB236_41 Depth=1
	v_mov_b32_e32 v8, s38
	ds_load_b32 v8, v8
	s_waitcnt lgkmcnt(0)
	v_add_nc_u32_e32 v7, v8, v7
	s_or_b32 exec_lo, exec_lo, s73
	s_and_saveexec_b32 s73, s2
	s_cbranch_execz .LBB236_44
.LBB236_76:                             ;   in Loop: Header=BB236_41 Depth=1
	v_mov_b32_e32 v8, s39
	ds_load_b32 v8, v8
	s_waitcnt lgkmcnt(0)
	v_add_nc_u32_e32 v7, v8, v7
	s_or_b32 exec_lo, exec_lo, s73
	s_and_saveexec_b32 s73, s3
	s_cbranch_execz .LBB236_45
.LBB236_77:                             ;   in Loop: Header=BB236_41 Depth=1
	v_mov_b32_e32 v8, s40
	ds_load_b32 v8, v8
	s_waitcnt lgkmcnt(0)
	v_add_nc_u32_e32 v7, v8, v7
	s_or_b32 exec_lo, exec_lo, s73
	s_and_saveexec_b32 s73, s4
	s_cbranch_execz .LBB236_46
.LBB236_78:                             ;   in Loop: Header=BB236_41 Depth=1
	v_mov_b32_e32 v8, s41
	ds_load_b32 v8, v8
	s_waitcnt lgkmcnt(0)
	v_add_nc_u32_e32 v7, v8, v7
	s_or_b32 exec_lo, exec_lo, s73
	s_and_saveexec_b32 s73, s5
	s_cbranch_execz .LBB236_47
.LBB236_79:                             ;   in Loop: Header=BB236_41 Depth=1
	v_mov_b32_e32 v8, s44
	ds_load_b32 v8, v8
	s_waitcnt lgkmcnt(0)
	v_add_nc_u32_e32 v7, v8, v7
	s_or_b32 exec_lo, exec_lo, s73
	s_and_saveexec_b32 s73, s6
	s_cbranch_execz .LBB236_48
.LBB236_80:                             ;   in Loop: Header=BB236_41 Depth=1
	v_mov_b32_e32 v8, s45
	ds_load_b32 v8, v8
	s_waitcnt lgkmcnt(0)
	v_add_nc_u32_e32 v7, v8, v7
	s_or_b32 exec_lo, exec_lo, s73
	s_and_saveexec_b32 s73, s7
	s_cbranch_execz .LBB236_49
.LBB236_81:                             ;   in Loop: Header=BB236_41 Depth=1
	v_mov_b32_e32 v8, s47
	ds_load_b32 v8, v8
	s_waitcnt lgkmcnt(0)
	v_add_nc_u32_e32 v7, v8, v7
	s_or_b32 exec_lo, exec_lo, s73
	s_and_saveexec_b32 s73, s8
	s_cbranch_execz .LBB236_50
.LBB236_82:                             ;   in Loop: Header=BB236_41 Depth=1
	v_mov_b32_e32 v8, s49
	ds_load_b32 v8, v8
	s_waitcnt lgkmcnt(0)
	v_add_nc_u32_e32 v7, v8, v7
	s_or_b32 exec_lo, exec_lo, s73
	s_and_saveexec_b32 s73, s9
	s_cbranch_execz .LBB236_51
.LBB236_83:                             ;   in Loop: Header=BB236_41 Depth=1
	v_mov_b32_e32 v8, s50
	ds_load_b32 v8, v8
	s_waitcnt lgkmcnt(0)
	v_add_nc_u32_e32 v7, v8, v7
	s_or_b32 exec_lo, exec_lo, s73
	s_and_saveexec_b32 s73, s10
	s_cbranch_execz .LBB236_52
.LBB236_84:                             ;   in Loop: Header=BB236_41 Depth=1
	v_mov_b32_e32 v8, s51
	ds_load_b32 v8, v8
	s_waitcnt lgkmcnt(0)
	v_add_nc_u32_e32 v7, v8, v7
	s_or_b32 exec_lo, exec_lo, s73
	s_and_saveexec_b32 s73, s11
	s_cbranch_execz .LBB236_53
.LBB236_85:                             ;   in Loop: Header=BB236_41 Depth=1
	v_mov_b32_e32 v8, s52
	ds_load_b32 v8, v8
	s_waitcnt lgkmcnt(0)
	v_add_nc_u32_e32 v7, v8, v7
	s_or_b32 exec_lo, exec_lo, s73
	s_and_saveexec_b32 s73, s12
	s_cbranch_execz .LBB236_54
.LBB236_86:                             ;   in Loop: Header=BB236_41 Depth=1
	v_mov_b32_e32 v8, s53
	ds_load_b32 v8, v8
	s_waitcnt lgkmcnt(0)
	v_add_nc_u32_e32 v7, v8, v7
	s_or_b32 exec_lo, exec_lo, s73
	s_and_saveexec_b32 s73, s13
	s_cbranch_execz .LBB236_55
.LBB236_87:                             ;   in Loop: Header=BB236_41 Depth=1
	v_mov_b32_e32 v8, s54
	ds_load_b32 v8, v8
	s_waitcnt lgkmcnt(0)
	v_add_nc_u32_e32 v7, v8, v7
	s_or_b32 exec_lo, exec_lo, s73
	s_and_saveexec_b32 s73, s14
	s_cbranch_execz .LBB236_56
.LBB236_88:                             ;   in Loop: Header=BB236_41 Depth=1
	v_mov_b32_e32 v8, s55
	ds_load_b32 v8, v8
	s_waitcnt lgkmcnt(0)
	v_add_nc_u32_e32 v7, v8, v7
	s_or_b32 exec_lo, exec_lo, s73
	s_and_saveexec_b32 s73, s15
	s_cbranch_execz .LBB236_57
.LBB236_89:                             ;   in Loop: Header=BB236_41 Depth=1
	v_mov_b32_e32 v8, s56
	ds_load_b32 v8, v8
	s_waitcnt lgkmcnt(0)
	v_add_nc_u32_e32 v7, v8, v7
	s_or_b32 exec_lo, exec_lo, s73
	s_and_saveexec_b32 s73, s16
	s_cbranch_execz .LBB236_58
.LBB236_90:                             ;   in Loop: Header=BB236_41 Depth=1
	v_mov_b32_e32 v8, s57
	ds_load_b32 v8, v8
	s_waitcnt lgkmcnt(0)
	v_add_nc_u32_e32 v7, v8, v7
	s_or_b32 exec_lo, exec_lo, s73
	s_and_saveexec_b32 s73, s17
	s_cbranch_execz .LBB236_59
.LBB236_91:                             ;   in Loop: Header=BB236_41 Depth=1
	v_mov_b32_e32 v8, s58
	ds_load_b32 v8, v8
	s_waitcnt lgkmcnt(0)
	v_add_nc_u32_e32 v7, v8, v7
	s_or_b32 exec_lo, exec_lo, s73
	s_and_saveexec_b32 s73, s18
	s_cbranch_execz .LBB236_60
.LBB236_92:                             ;   in Loop: Header=BB236_41 Depth=1
	v_mov_b32_e32 v8, s59
	ds_load_b32 v8, v8
	s_waitcnt lgkmcnt(0)
	v_add_nc_u32_e32 v7, v8, v7
	s_or_b32 exec_lo, exec_lo, s73
	s_and_saveexec_b32 s73, s19
	s_cbranch_execz .LBB236_61
.LBB236_93:                             ;   in Loop: Header=BB236_41 Depth=1
	v_mov_b32_e32 v8, s60
	ds_load_b32 v8, v8
	s_waitcnt lgkmcnt(0)
	v_add_nc_u32_e32 v7, v8, v7
	s_or_b32 exec_lo, exec_lo, s73
	s_and_saveexec_b32 s73, s20
	s_cbranch_execz .LBB236_62
.LBB236_94:                             ;   in Loop: Header=BB236_41 Depth=1
	v_mov_b32_e32 v8, s61
	ds_load_b32 v8, v8
	s_waitcnt lgkmcnt(0)
	v_add_nc_u32_e32 v7, v8, v7
	s_or_b32 exec_lo, exec_lo, s73
	s_and_saveexec_b32 s73, s21
	s_cbranch_execz .LBB236_63
.LBB236_95:                             ;   in Loop: Header=BB236_41 Depth=1
	v_mov_b32_e32 v8, s62
	ds_load_b32 v8, v8
	s_waitcnt lgkmcnt(0)
	v_add_nc_u32_e32 v7, v8, v7
	s_or_b32 exec_lo, exec_lo, s73
	s_and_saveexec_b32 s73, s22
	s_cbranch_execz .LBB236_64
.LBB236_96:                             ;   in Loop: Header=BB236_41 Depth=1
	v_mov_b32_e32 v8, s63
	ds_load_b32 v8, v8
	s_waitcnt lgkmcnt(0)
	v_add_nc_u32_e32 v7, v8, v7
	s_or_b32 exec_lo, exec_lo, s73
	s_and_saveexec_b32 s73, s23
	s_cbranch_execz .LBB236_65
.LBB236_97:                             ;   in Loop: Header=BB236_41 Depth=1
	v_mov_b32_e32 v8, s64
	ds_load_b32 v8, v8
	s_waitcnt lgkmcnt(0)
	v_add_nc_u32_e32 v7, v8, v7
	s_or_b32 exec_lo, exec_lo, s73
	s_and_saveexec_b32 s73, s24
	s_cbranch_execz .LBB236_66
.LBB236_98:                             ;   in Loop: Header=BB236_41 Depth=1
	v_mov_b32_e32 v8, s65
	ds_load_b32 v8, v8
	s_waitcnt lgkmcnt(0)
	v_add_nc_u32_e32 v7, v8, v7
	s_or_b32 exec_lo, exec_lo, s73
	s_and_saveexec_b32 s73, s25
	s_cbranch_execz .LBB236_67
.LBB236_99:                             ;   in Loop: Header=BB236_41 Depth=1
	v_mov_b32_e32 v8, s66
	ds_load_b32 v8, v8
	s_waitcnt lgkmcnt(0)
	v_add_nc_u32_e32 v7, v8, v7
	s_or_b32 exec_lo, exec_lo, s73
	s_and_saveexec_b32 s73, s26
	s_cbranch_execz .LBB236_68
.LBB236_100:                            ;   in Loop: Header=BB236_41 Depth=1
	v_mov_b32_e32 v8, s67
	ds_load_b32 v8, v8
	s_waitcnt lgkmcnt(0)
	v_add_nc_u32_e32 v7, v8, v7
	s_or_b32 exec_lo, exec_lo, s73
	s_and_saveexec_b32 s73, s27
	s_cbranch_execz .LBB236_69
.LBB236_101:                            ;   in Loop: Header=BB236_41 Depth=1
	v_mov_b32_e32 v8, s69
	ds_load_b32 v8, v8
	s_waitcnt lgkmcnt(0)
	v_add_nc_u32_e32 v7, v8, v7
	s_or_b32 exec_lo, exec_lo, s73
	s_and_saveexec_b32 s73, s28
	s_cbranch_execz .LBB236_70
.LBB236_102:                            ;   in Loop: Header=BB236_41 Depth=1
	v_mov_b32_e32 v8, s70
	ds_load_b32 v8, v8
	s_waitcnt lgkmcnt(0)
	v_add_nc_u32_e32 v7, v8, v7
	s_or_b32 exec_lo, exec_lo, s73
	s_and_saveexec_b32 s73, s29
	s_cbranch_execz .LBB236_71
.LBB236_103:                            ;   in Loop: Header=BB236_41 Depth=1
	v_mov_b32_e32 v8, s71
	ds_load_b32 v8, v8
	s_waitcnt lgkmcnt(0)
	v_add_nc_u32_e32 v7, v8, v7
	s_or_b32 exec_lo, exec_lo, s73
	s_and_saveexec_b32 s73, s30
	s_cbranch_execz .LBB236_72
.LBB236_104:                            ;   in Loop: Header=BB236_41 Depth=1
	v_mov_b32_e32 v8, s72
	ds_load_b32 v8, v8
	s_waitcnt lgkmcnt(0)
	v_add_nc_u32_e32 v7, v8, v7
	s_or_b32 exec_lo, exec_lo, s73
	s_and_saveexec_b32 s73, s31
	s_cbranch_execz .LBB236_73
.LBB236_105:                            ;   in Loop: Header=BB236_41 Depth=1
	scratch_load_b128 v[8:11], off, off
	v_add3_u32 v12, v4, -1, v7
	s_delay_alu instid0(VALU_DEP_1) | instskip(SKIP_1) | instid1(VALU_DEP_2)
	v_lshlrev_b32_e32 v13, 4, v12
	v_lshl_add_u32 v12, v12, 2, 0
	v_add3_u32 v13, 0, v13, 0x20000
	ds_store_b32 v12, v6
	s_waitcnt vmcnt(0)
	ds_store_2addr_b64 v13, v[8:9], v[10:11] offset1:1
	s_or_b32 exec_lo, exec_lo, s73
	s_and_saveexec_b32 s31, vcc_lo
	s_cbranch_execz .LBB236_40
.LBB236_106:                            ;   in Loop: Header=BB236_41 Depth=1
	v_mov_b32_e32 v6, s68
	ds_store_b32 v6, v7
	s_branch .LBB236_40
.LBB236_107:                            ;   in Loop: Header=BB236_108 Depth=1
	s_or_b32 exec_lo, exec_lo, s4
	v_add_co_u32 v5, vcc_lo, 0x400, v5
	v_add_co_ci_u32_e32 v6, vcc_lo, 0, v6, vcc_lo
	s_delay_alu instid0(VALU_DEP_1) | instskip(SKIP_1) | instid1(SALU_CYCLE_1)
	v_cmp_le_i64_e32 vcc_lo, s[0:1], v[5:6]
	s_or_b32 s3, vcc_lo, s3
	s_and_not1_b32 exec_lo, exec_lo, s3
	s_cbranch_execz .LBB236_38
.LBB236_108:                            ; =>This Loop Header: Depth=1
                                        ;     Child Loop BB236_110 Depth 2
                                        ;       Child Loop BB236_116 Depth 3
                                        ;       Child Loop BB236_118 Depth 3
	;; [unrolled: 1-line block ×4, first 2 shown]
	v_lshlrev_b64 v[7:8], 4, v[5:6]
	s_mov_b32 s4, 0
	s_delay_alu instid0(VALU_DEP_1) | instskip(NEXT) | instid1(VALU_DEP_2)
	v_add_co_u32 v7, vcc_lo, s40, v7
	v_add_co_ci_u32_e32 v8, vcc_lo, s41, v8, vcc_lo
	global_load_b128 v[9:12], v[7:8], off
	v_lshlrev_b64 v[7:8], 2, v[5:6]
	s_delay_alu instid0(VALU_DEP_1) | instskip(NEXT) | instid1(VALU_DEP_2)
	v_add_co_u32 v7, vcc_lo, s38, v7
	v_add_co_ci_u32_e32 v8, vcc_lo, s39, v8, vcc_lo
	global_load_b32 v13, v[7:8], off
	s_waitcnt vmcnt(1)
	v_mul_f64 v[7:8], v[11:12], -v[1:2]
	v_mul_f64 v[11:12], v[3:4], v[11:12]
	s_waitcnt vmcnt(0)
	v_subrev_nc_u32_e32 v13, s47, v13
	s_delay_alu instid0(VALU_DEP_3) | instskip(NEXT) | instid1(VALU_DEP_3)
	v_fma_f64 v[7:8], v[3:4], v[9:10], v[7:8]
	v_fma_f64 v[9:10], v[1:2], v[9:10], v[11:12]
	s_delay_alu instid0(VALU_DEP_3) | instskip(NEXT) | instid1(VALU_DEP_1)
	v_mul_lo_u32 v11, 0x89, v13
	v_and_b32_e32 v14, 0x7fff, v11
	s_branch .LBB236_110
.LBB236_109:                            ;   in Loop: Header=BB236_110 Depth=2
	s_or_b32 exec_lo, exec_lo, s5
	s_xor_b32 s5, s6, -1
	s_delay_alu instid0(SALU_CYCLE_1) | instskip(NEXT) | instid1(SALU_CYCLE_1)
	s_and_b32 s5, exec_lo, s5
	s_or_b32 s4, s5, s4
	s_delay_alu instid0(SALU_CYCLE_1)
	s_and_not1_b32 exec_lo, exec_lo, s4
	s_cbranch_execz .LBB236_107
.LBB236_110:                            ;   Parent Loop BB236_108 Depth=1
                                        ; =>  This Loop Header: Depth=2
                                        ;       Child Loop BB236_116 Depth 3
                                        ;       Child Loop BB236_118 Depth 3
	;; [unrolled: 1-line block ×4, first 2 shown]
	s_delay_alu instid0(VALU_DEP_1)
	v_lshl_add_u32 v11, v14, 2, 0
	s_mov_b32 s5, exec_lo
                                        ; implicit-def: $sgpr6
	ds_load_b32 v12, v11
	s_waitcnt lgkmcnt(0)
	v_cmpx_ne_u32_e64 v12, v13
	s_xor_b32 s5, exec_lo, s5
	s_cbranch_execz .LBB236_122
; %bb.111:                              ;   in Loop: Header=BB236_110 Depth=2
	s_mov_b32 s7, exec_lo
                                        ; implicit-def: $sgpr6
	v_cmpx_ne_u32_e64 s33, v12
	s_xor_b32 s7, exec_lo, s7
; %bb.112:                              ;   in Loop: Header=BB236_110 Depth=2
	v_add_nc_u32_e32 v11, 1, v14
	s_mov_b32 s6, -1
	s_delay_alu instid0(VALU_DEP_1)
	v_and_b32_e32 v14, 0x7fff, v11
                                        ; implicit-def: $vgpr11
; %bb.113:                              ;   in Loop: Header=BB236_110 Depth=2
	s_and_not1_saveexec_b32 s7, s7
	s_cbranch_execz .LBB236_121
; %bb.114:                              ;   in Loop: Header=BB236_110 Depth=2
	v_mov_b32_e32 v12, s33
	s_mov_b32 s9, -1
	s_mov_b32 s8, exec_lo
	ds_cmpstore_rtn_b32 v11, v11, v13, v12
	s_waitcnt lgkmcnt(0)
	v_cmpx_eq_u32_e64 s33, v11
	s_cbranch_execz .LBB236_120
; %bb.115:                              ;   in Loop: Header=BB236_110 Depth=2
	v_lshlrev_b32_e32 v11, 4, v14
	s_mov_b32 s9, 0
	s_delay_alu instid0(VALU_DEP_1)
	v_add3_u32 v15, 0, v11, 0x20000
	ds_load_b64 v[11:12], v15
.LBB236_116:                            ;   Parent Loop BB236_108 Depth=1
                                        ;     Parent Loop BB236_110 Depth=2
                                        ; =>    This Inner Loop Header: Depth=3
	s_waitcnt lgkmcnt(0)
	v_add_f64 v[16:17], v[11:12], v[7:8]
	ds_cmpstore_rtn_b64 v[16:17], v15, v[16:17], v[11:12]
	s_waitcnt lgkmcnt(0)
	v_cmp_eq_u64_e32 vcc_lo, v[16:17], v[11:12]
	v_dual_mov_b32 v11, v16 :: v_dual_mov_b32 v12, v17
	s_or_b32 s9, vcc_lo, s9
	s_delay_alu instid0(SALU_CYCLE_1)
	s_and_not1_b32 exec_lo, exec_lo, s9
	s_cbranch_execnz .LBB236_116
; %bb.117:                              ;   in Loop: Header=BB236_110 Depth=2
	s_or_b32 exec_lo, exec_lo, s9
	ds_load_b64 v[11:12], v15 offset:8
	s_mov_b32 s9, 0
.LBB236_118:                            ;   Parent Loop BB236_108 Depth=1
                                        ;     Parent Loop BB236_110 Depth=2
                                        ; =>    This Inner Loop Header: Depth=3
	s_waitcnt lgkmcnt(0)
	v_add_f64 v[16:17], v[11:12], v[9:10]
	ds_cmpstore_rtn_b64 v[16:17], v15, v[16:17], v[11:12] offset:8
	s_waitcnt lgkmcnt(0)
	v_cmp_eq_u64_e32 vcc_lo, v[16:17], v[11:12]
	v_dual_mov_b32 v11, v16 :: v_dual_mov_b32 v12, v17
	s_or_b32 s9, vcc_lo, s9
	s_delay_alu instid0(SALU_CYCLE_1)
	s_and_not1_b32 exec_lo, exec_lo, s9
	s_cbranch_execnz .LBB236_118
; %bb.119:                              ;   in Loop: Header=BB236_110 Depth=2
	s_or_b32 exec_lo, exec_lo, s9
	s_delay_alu instid0(SALU_CYCLE_1)
	s_xor_b32 s9, exec_lo, -1
.LBB236_120:                            ;   in Loop: Header=BB236_110 Depth=2
	s_or_b32 exec_lo, exec_lo, s8
	s_delay_alu instid0(SALU_CYCLE_1) | instskip(SKIP_1) | instid1(SALU_CYCLE_1)
	s_and_not1_b32 s6, s6, exec_lo
	s_and_b32 s8, s9, exec_lo
	s_or_b32 s6, s6, s8
.LBB236_121:                            ;   in Loop: Header=BB236_110 Depth=2
	s_or_b32 exec_lo, exec_lo, s7
	s_delay_alu instid0(SALU_CYCLE_1)
	s_and_b32 s6, s6, exec_lo
.LBB236_122:                            ;   in Loop: Header=BB236_110 Depth=2
	s_and_not1_saveexec_b32 s5, s5
	s_cbranch_execz .LBB236_109
; %bb.123:                              ;   in Loop: Header=BB236_110 Depth=2
	v_lshlrev_b32_e32 v11, 4, v14
	s_mov_b32 s7, 0
	s_delay_alu instid0(VALU_DEP_1)
	v_add3_u32 v15, 0, v11, 0x20000
	ds_load_b64 v[11:12], v15
.LBB236_124:                            ;   Parent Loop BB236_108 Depth=1
                                        ;     Parent Loop BB236_110 Depth=2
                                        ; =>    This Inner Loop Header: Depth=3
	s_waitcnt lgkmcnt(0)
	v_add_f64 v[16:17], v[11:12], v[7:8]
	ds_cmpstore_rtn_b64 v[16:17], v15, v[16:17], v[11:12]
	s_waitcnt lgkmcnt(0)
	v_cmp_eq_u64_e32 vcc_lo, v[16:17], v[11:12]
	v_dual_mov_b32 v11, v16 :: v_dual_mov_b32 v12, v17
	s_or_b32 s7, vcc_lo, s7
	s_delay_alu instid0(SALU_CYCLE_1)
	s_and_not1_b32 exec_lo, exec_lo, s7
	s_cbranch_execnz .LBB236_124
; %bb.125:                              ;   in Loop: Header=BB236_110 Depth=2
	s_or_b32 exec_lo, exec_lo, s7
	ds_load_b64 v[11:12], v15 offset:8
	s_mov_b32 s7, 0
.LBB236_126:                            ;   Parent Loop BB236_108 Depth=1
                                        ;     Parent Loop BB236_110 Depth=2
                                        ; =>    This Inner Loop Header: Depth=3
	s_waitcnt lgkmcnt(0)
	v_add_f64 v[16:17], v[11:12], v[9:10]
	ds_cmpstore_rtn_b64 v[16:17], v15, v[16:17], v[11:12] offset:8
	s_waitcnt lgkmcnt(0)
	v_cmp_eq_u64_e32 vcc_lo, v[16:17], v[11:12]
	v_dual_mov_b32 v11, v16 :: v_dual_mov_b32 v12, v17
	s_or_b32 s7, vcc_lo, s7
	s_delay_alu instid0(SALU_CYCLE_1)
	s_and_not1_b32 exec_lo, exec_lo, s7
	s_cbranch_execnz .LBB236_126
; %bb.127:                              ;   in Loop: Header=BB236_110 Depth=2
	s_or_b32 exec_lo, exec_lo, s7
	s_delay_alu instid0(SALU_CYCLE_1)
	s_and_not1_b32 s6, s6, exec_lo
	s_branch .LBB236_109
.LBB236_128:
	s_or_b32 exec_lo, exec_lo, s36
	s_ashr_i32 s49, s48, 31
	s_mov_b32 s4, exec_lo
	s_lshl_b64 s[0:1], s[48:49], 3
	s_delay_alu instid0(SALU_CYCLE_1) | instskip(SKIP_4) | instid1(SALU_CYCLE_1)
	s_add_u32 s0, s42, s0
	s_addc_u32 s1, s43, s1
	s_load_b128 s[0:3], s[0:1], 0x0
	s_waitcnt lgkmcnt(0)
	s_sub_i32 s3, s2, s0
	v_cmpx_gt_i32_e64 s3, v0
	s_cbranch_execz .LBB236_138
; %bb.129:
	s_sub_u32 s4, s0, s46
	s_subb_u32 s5, s1, 0
	s_sub_i32 s0, s0, s2
	s_and_b32 s1, s3, 7
	s_cmp_lt_u32 s0, -7
	s_mov_b32 s8, 0
	s_cselect_b32 s2, -1, 0
	s_and_b32 s6, s3, -8
	s_cmp_lg_u32 s1, 0
	s_cselect_b32 s7, -1, 0
	s_branch .LBB236_131
.LBB236_130:                            ;   in Loop: Header=BB236_131 Depth=1
	s_waitcnt lgkmcnt(0)
	v_lshlrev_b32_e32 v3, 4, v0
	v_lshlrev_b64 v[1:2], 4, v[1:2]
	v_add_nc_u32_e32 v0, 0x400, v0
	s_delay_alu instid0(VALU_DEP_3) | instskip(NEXT) | instid1(VALU_DEP_2)
	v_add3_u32 v3, 0, v3, 0x20000
	v_cmp_le_i32_e32 vcc_lo, s3, v0
	s_delay_alu instid0(VALU_DEP_4)
	v_add_co_u32 v1, s0, s34, v1
	ds_load_2addr_b64 v[3:6], v3 offset1:1
	v_add_co_ci_u32_e64 v2, s0, s35, v2, s0
	s_or_b32 s8, vcc_lo, s8
	s_waitcnt lgkmcnt(0)
	global_store_b128 v[1:2], v[3:6], off
	s_and_not1_b32 exec_lo, exec_lo, s8
	s_cbranch_execz .LBB236_138
.LBB236_131:                            ; =>This Loop Header: Depth=1
                                        ;     Child Loop BB236_133 Depth 2
                                        ;     Child Loop BB236_137 Depth 2
	v_lshl_add_u32 v1, v0, 2, 0
	s_and_not1_b32 vcc_lo, exec_lo, s2
	s_mov_b32 s0, 0
	ds_load_b32 v3, v1
	v_dual_mov_b32 v1, s4 :: v_dual_mov_b32 v2, s5
	s_cbranch_vccnz .LBB236_135
; %bb.132:                              ;   in Loop: Header=BB236_131 Depth=1
	v_dual_mov_b32 v1, s4 :: v_dual_mov_b32 v2, s5
	s_mov_b32 s9, 0
	s_mov_b32 s10, 0
.LBB236_133:                            ;   Parent Loop BB236_131 Depth=1
                                        ; =>  This Inner Loop Header: Depth=2
	s_delay_alu instid0(SALU_CYCLE_1)
	v_mov_b32_e32 v10, s10
	s_add_i32 s9, s9, 8
	s_add_i32 s10, s10, 32
	s_cmp_eq_u32 s6, s9
	ds_load_2addr_b32 v[4:5], v10 offset1:1
	ds_load_2addr_b32 v[6:7], v10 offset0:2 offset1:3
	ds_load_2addr_b32 v[8:9], v10 offset0:4 offset1:5
	;; [unrolled: 1-line block ×3, first 2 shown]
	s_waitcnt lgkmcnt(3)
	v_cmp_gt_i32_e32 vcc_lo, v3, v4
	v_cndmask_b32_e64 v4, 0, 1, vcc_lo
	v_cmp_gt_i32_e32 vcc_lo, v3, v5
	v_cndmask_b32_e64 v5, 0, 1, vcc_lo
	s_waitcnt lgkmcnt(2)
	v_cmp_gt_i32_e32 vcc_lo, v3, v6
	v_cndmask_b32_e64 v6, 0, 1, vcc_lo
	v_cmp_gt_i32_e32 vcc_lo, v3, v7
	v_cndmask_b32_e64 v7, 0, 1, vcc_lo
	s_waitcnt lgkmcnt(1)
	v_cmp_gt_i32_e32 vcc_lo, v3, v8
	v_cndmask_b32_e64 v8, 0, 1, vcc_lo
	v_add_co_u32 v1, vcc_lo, v1, v4
	v_add_co_ci_u32_e32 v2, vcc_lo, 0, v2, vcc_lo
	v_cmp_gt_i32_e32 vcc_lo, v3, v9
	s_delay_alu instid0(VALU_DEP_3) | instskip(NEXT) | instid1(VALU_DEP_1)
	v_add_co_u32 v1, s0, v1, v5
	v_add_co_ci_u32_e64 v2, s0, 0, v2, s0
	v_cndmask_b32_e64 v4, 0, 1, vcc_lo
	s_delay_alu instid0(VALU_DEP_3) | instskip(NEXT) | instid1(VALU_DEP_3)
	v_add_co_u32 v1, vcc_lo, v1, v6
	v_add_co_ci_u32_e32 v2, vcc_lo, 0, v2, vcc_lo
	s_waitcnt lgkmcnt(0)
	v_cmp_gt_i32_e32 vcc_lo, v3, v10
	s_delay_alu instid0(VALU_DEP_3) | instskip(NEXT) | instid1(VALU_DEP_1)
	v_add_co_u32 v1, s0, v1, v7
	v_add_co_ci_u32_e64 v2, s0, 0, v2, s0
	v_cndmask_b32_e64 v5, 0, 1, vcc_lo
	s_delay_alu instid0(VALU_DEP_3) | instskip(NEXT) | instid1(VALU_DEP_3)
	v_add_co_u32 v1, vcc_lo, v1, v8
	v_add_co_ci_u32_e32 v2, vcc_lo, 0, v2, vcc_lo
	v_cmp_gt_i32_e32 vcc_lo, v3, v11
	s_delay_alu instid0(VALU_DEP_3) | instskip(NEXT) | instid1(VALU_DEP_1)
	v_add_co_u32 v1, s0, v1, v4
	v_add_co_ci_u32_e64 v2, s0, 0, v2, s0
	v_cndmask_b32_e64 v4, 0, 1, vcc_lo
	s_delay_alu instid0(VALU_DEP_3) | instskip(NEXT) | instid1(VALU_DEP_3)
	v_add_co_u32 v1, vcc_lo, v1, v5
	v_add_co_ci_u32_e32 v2, vcc_lo, 0, v2, vcc_lo
	s_delay_alu instid0(VALU_DEP_2) | instskip(NEXT) | instid1(VALU_DEP_2)
	v_add_co_u32 v1, vcc_lo, v1, v4
	v_add_co_ci_u32_e32 v2, vcc_lo, 0, v2, vcc_lo
	s_cbranch_scc0 .LBB236_133
; %bb.134:                              ;   in Loop: Header=BB236_131 Depth=1
	s_mov_b32 s0, s6
.LBB236_135:                            ;   in Loop: Header=BB236_131 Depth=1
	s_and_not1_b32 vcc_lo, exec_lo, s7
	s_cbranch_vccnz .LBB236_130
; %bb.136:                              ;   in Loop: Header=BB236_131 Depth=1
	s_lshl_b32 s0, s0, 2
	s_mov_b32 s9, s1
	s_add_i32 s0, s0, 0
.LBB236_137:                            ;   Parent Loop BB236_131 Depth=1
                                        ; =>  This Inner Loop Header: Depth=2
	s_delay_alu instid0(SALU_CYCLE_1)
	v_mov_b32_e32 v4, s0
	s_add_i32 s9, s9, -1
	s_add_i32 s0, s0, 4
	s_cmp_lg_u32 s9, 0
	ds_load_b32 v4, v4
	s_waitcnt lgkmcnt(0)
	v_cmp_gt_i32_e32 vcc_lo, v3, v4
	v_cndmask_b32_e64 v4, 0, 1, vcc_lo
	s_delay_alu instid0(VALU_DEP_1)
	v_add_co_u32 v1, vcc_lo, v1, v4
	v_add_co_ci_u32_e32 v2, vcc_lo, 0, v2, vcc_lo
	s_cbranch_scc1 .LBB236_137
	s_branch .LBB236_130
.LBB236_138:
	s_nop 0
	s_sendmsg sendmsg(MSG_DEALLOC_VGPRS)
	s_endpgm
	.section	.rodata,"a",@progbits
	.p2align	6, 0x0
	.amdhsa_kernel _ZN9rocsparseL41csrgemm_numeric_fill_block_per_row_kernelILj1024ELj64ELj32768ELj137ELj32Eli21rocsparse_complex_numIdEEEvT5_PKS3_S5_NS_24const_host_device_scalarIT6_EEPKT4_S5_PKS7_SB_S5_SD_S8_SB_S5_SD_SB_S5_PS7_21rocsparse_index_base_SF_SF_SF_bbb
		.amdhsa_group_segment_fixed_size 0
		.amdhsa_private_segment_fixed_size 40
		.amdhsa_kernarg_size 172
		.amdhsa_user_sgpr_count 15
		.amdhsa_user_sgpr_dispatch_ptr 0
		.amdhsa_user_sgpr_queue_ptr 0
		.amdhsa_user_sgpr_kernarg_segment_ptr 1
		.amdhsa_user_sgpr_dispatch_id 0
		.amdhsa_user_sgpr_private_segment_size 0
		.amdhsa_wavefront_size32 1
		.amdhsa_uses_dynamic_stack 0
		.amdhsa_enable_private_segment 1
		.amdhsa_system_sgpr_workgroup_id_x 1
		.amdhsa_system_sgpr_workgroup_id_y 0
		.amdhsa_system_sgpr_workgroup_id_z 0
		.amdhsa_system_sgpr_workgroup_info 0
		.amdhsa_system_vgpr_workitem_id 0
		.amdhsa_next_free_vgpr 35
		.amdhsa_next_free_sgpr 74
		.amdhsa_reserve_vcc 1
		.amdhsa_float_round_mode_32 0
		.amdhsa_float_round_mode_16_64 0
		.amdhsa_float_denorm_mode_32 3
		.amdhsa_float_denorm_mode_16_64 3
		.amdhsa_dx10_clamp 1
		.amdhsa_ieee_mode 1
		.amdhsa_fp16_overflow 0
		.amdhsa_workgroup_processor_mode 1
		.amdhsa_memory_ordered 1
		.amdhsa_forward_progress 0
		.amdhsa_shared_vgpr_count 0
		.amdhsa_exception_fp_ieee_invalid_op 0
		.amdhsa_exception_fp_denorm_src 0
		.amdhsa_exception_fp_ieee_div_zero 0
		.amdhsa_exception_fp_ieee_overflow 0
		.amdhsa_exception_fp_ieee_underflow 0
		.amdhsa_exception_fp_ieee_inexact 0
		.amdhsa_exception_int_div_zero 0
	.end_amdhsa_kernel
	.section	.text._ZN9rocsparseL41csrgemm_numeric_fill_block_per_row_kernelILj1024ELj64ELj32768ELj137ELj32Eli21rocsparse_complex_numIdEEEvT5_PKS3_S5_NS_24const_host_device_scalarIT6_EEPKT4_S5_PKS7_SB_S5_SD_S8_SB_S5_SD_SB_S5_PS7_21rocsparse_index_base_SF_SF_SF_bbb,"axG",@progbits,_ZN9rocsparseL41csrgemm_numeric_fill_block_per_row_kernelILj1024ELj64ELj32768ELj137ELj32Eli21rocsparse_complex_numIdEEEvT5_PKS3_S5_NS_24const_host_device_scalarIT6_EEPKT4_S5_PKS7_SB_S5_SD_S8_SB_S5_SD_SB_S5_PS7_21rocsparse_index_base_SF_SF_SF_bbb,comdat
.Lfunc_end236:
	.size	_ZN9rocsparseL41csrgemm_numeric_fill_block_per_row_kernelILj1024ELj64ELj32768ELj137ELj32Eli21rocsparse_complex_numIdEEEvT5_PKS3_S5_NS_24const_host_device_scalarIT6_EEPKT4_S5_PKS7_SB_S5_SD_S8_SB_S5_SD_SB_S5_PS7_21rocsparse_index_base_SF_SF_SF_bbb, .Lfunc_end236-_ZN9rocsparseL41csrgemm_numeric_fill_block_per_row_kernelILj1024ELj64ELj32768ELj137ELj32Eli21rocsparse_complex_numIdEEEvT5_PKS3_S5_NS_24const_host_device_scalarIT6_EEPKT4_S5_PKS7_SB_S5_SD_S8_SB_S5_SD_SB_S5_PS7_21rocsparse_index_base_SF_SF_SF_bbb
                                        ; -- End function
	.section	.AMDGPU.csdata,"",@progbits
; Kernel info:
; codeLenInByte = 5560
; NumSgprs: 76
; NumVgprs: 35
; ScratchSize: 40
; MemoryBound: 0
; FloatMode: 240
; IeeeMode: 1
; LDSByteSize: 0 bytes/workgroup (compile time only)
; SGPRBlocks: 9
; VGPRBlocks: 4
; NumSGPRsForWavesPerEU: 76
; NumVGPRsForWavesPerEU: 35
; Occupancy: 16
; WaveLimiterHint : 1
; COMPUTE_PGM_RSRC2:SCRATCH_EN: 1
; COMPUTE_PGM_RSRC2:USER_SGPR: 15
; COMPUTE_PGM_RSRC2:TRAP_HANDLER: 0
; COMPUTE_PGM_RSRC2:TGID_X_EN: 1
; COMPUTE_PGM_RSRC2:TGID_Y_EN: 0
; COMPUTE_PGM_RSRC2:TGID_Z_EN: 0
; COMPUTE_PGM_RSRC2:TIDIG_COMP_CNT: 0
	.section	.text._ZN9rocsparseL41csrgemm_numeric_fill_block_per_row_kernelILj1024ELj64ELj32768ELj137ELj64Eli21rocsparse_complex_numIdEEEvT5_PKS3_S5_NS_24const_host_device_scalarIT6_EEPKT4_S5_PKS7_SB_S5_SD_S8_SB_S5_SD_SB_S5_PS7_21rocsparse_index_base_SF_SF_SF_bbb,"axG",@progbits,_ZN9rocsparseL41csrgemm_numeric_fill_block_per_row_kernelILj1024ELj64ELj32768ELj137ELj64Eli21rocsparse_complex_numIdEEEvT5_PKS3_S5_NS_24const_host_device_scalarIT6_EEPKT4_S5_PKS7_SB_S5_SD_S8_SB_S5_SD_SB_S5_PS7_21rocsparse_index_base_SF_SF_SF_bbb,comdat
	.globl	_ZN9rocsparseL41csrgemm_numeric_fill_block_per_row_kernelILj1024ELj64ELj32768ELj137ELj64Eli21rocsparse_complex_numIdEEEvT5_PKS3_S5_NS_24const_host_device_scalarIT6_EEPKT4_S5_PKS7_SB_S5_SD_S8_SB_S5_SD_SB_S5_PS7_21rocsparse_index_base_SF_SF_SF_bbb ; -- Begin function _ZN9rocsparseL41csrgemm_numeric_fill_block_per_row_kernelILj1024ELj64ELj32768ELj137ELj64Eli21rocsparse_complex_numIdEEEvT5_PKS3_S5_NS_24const_host_device_scalarIT6_EEPKT4_S5_PKS7_SB_S5_SD_S8_SB_S5_SD_SB_S5_PS7_21rocsparse_index_base_SF_SF_SF_bbb
	.p2align	8
	.type	_ZN9rocsparseL41csrgemm_numeric_fill_block_per_row_kernelILj1024ELj64ELj32768ELj137ELj64Eli21rocsparse_complex_numIdEEEvT5_PKS3_S5_NS_24const_host_device_scalarIT6_EEPKT4_S5_PKS7_SB_S5_SD_S8_SB_S5_SD_SB_S5_PS7_21rocsparse_index_base_SF_SF_SF_bbb,@function
_ZN9rocsparseL41csrgemm_numeric_fill_block_per_row_kernelILj1024ELj64ELj32768ELj137ELj64Eli21rocsparse_complex_numIdEEEvT5_PKS3_S5_NS_24const_host_device_scalarIT6_EEPKT4_S5_PKS7_SB_S5_SD_S8_SB_S5_SD_SB_S5_PS7_21rocsparse_index_base_SF_SF_SF_bbb: ; @_ZN9rocsparseL41csrgemm_numeric_fill_block_per_row_kernelILj1024ELj64ELj32768ELj137ELj64Eli21rocsparse_complex_numIdEEEvT5_PKS3_S5_NS_24const_host_device_scalarIT6_EEPKT4_S5_PKS7_SB_S5_SD_S8_SB_S5_SD_SB_S5_PS7_21rocsparse_index_base_SF_SF_SF_bbb
; %bb.0:
	s_clause 0x3
	s_load_b32 s14, s[0:1], 0xa8
	s_load_b128 s[4:7], s[0:1], 0x18
	s_load_b128 s[36:39], s[0:1], 0x58
	;; [unrolled: 1-line block ×3, first 2 shown]
	v_mov_b32_e32 v1, 0
	v_mov_b32_e32 v2, 0
	s_waitcnt lgkmcnt(0)
	s_bitcmp1_b32 s14, 0
	v_mov_b32_e32 v3, s4
	s_cselect_b32 s12, -1, 0
	s_bitcmp1_b32 s14, 16
	v_dual_mov_b32 v6, v2 :: v_dual_mov_b32 v5, v1
	s_cselect_b32 s2, -1, 0
	v_mov_b32_e32 v4, s5
	s_xor_b32 s13, s2, -1
	v_dual_mov_b32 v9, s36 :: v_dual_mov_b32 v10, s37
	v_cndmask_b32_e64 v7, 0, 1, s13
	s_bitcmp0_b32 s14, 0
	s_clause 0x1
	scratch_store_b64 off, v[3:4], off offset:16
	scratch_store_b64 off, v[9:10], off offset:24
	v_cmp_ne_u32_e32 vcc_lo, 1, v7
	v_dual_mov_b32 v8, v2 :: v_dual_mov_b32 v7, v1
	s_cbranch_scc1 .LBB237_3
; %bb.1:
	s_mov_b64 s[8:9], src_private_base
	s_and_b32 s3, s2, exec_lo
	s_cselect_b32 s3, s9, s5
	s_delay_alu instid0(SALU_CYCLE_1) | instskip(SKIP_2) | instid1(VALU_DEP_2)
	v_dual_mov_b32 v3, 16 :: v_dual_mov_b32 v4, s3
	v_dual_mov_b32 v8, s7 :: v_dual_mov_b32 v7, s6
	s_and_b32 vcc_lo, exec_lo, vcc_lo
	v_cndmask_b32_e64 v3, s4, v3, s2
	flat_load_b64 v[5:6], v[3:4]
	s_cbranch_vccnz .LBB237_3
; %bb.2:
	v_dual_mov_b32 v3, s4 :: v_dual_mov_b32 v4, s5
	flat_load_b64 v[7:8], v[3:4] offset:8
.LBB237_3:
	s_clause 0x4
	s_load_b64 s[34:35], s[0:1], 0x90
	s_load_b256 s[16:23], s[0:1], 0x68
	s_load_b128 s[28:31], s[0:1], 0x48
	s_load_b128 s[40:43], s[0:1], 0x8
	s_load_b256 s[4:11], s[0:1], 0x28
	s_bitcmp1_b32 s14, 8
	v_dual_mov_b32 v4, v2 :: v_dual_mov_b32 v3, v1
	s_cselect_b32 s3, -1, 0
	s_bfe_u32 s14, s14, 0x10008
	s_delay_alu instid0(SALU_CYCLE_1)
	s_cmp_eq_u32 s14, 0
	s_cbranch_scc1 .LBB237_6
; %bb.4:
	s_mov_b64 s[44:45], src_private_base
	s_and_b32 s14, s2, exec_lo
	s_cselect_b32 s14, s45, s37
	s_delay_alu instid0(SALU_CYCLE_1) | instskip(SKIP_1) | instid1(VALU_DEP_1)
	v_dual_mov_b32 v1, 24 :: v_dual_mov_b32 v2, s14
	s_and_not1_b32 vcc_lo, exec_lo, s13
	v_cndmask_b32_e64 v1, s36, v1, s2
	flat_load_b64 v[3:4], v[1:2]
	v_dual_mov_b32 v1, s38 :: v_dual_mov_b32 v2, s39
	s_cbranch_vccnz .LBB237_6
; %bb.5:
	v_dual_mov_b32 v1, s36 :: v_dual_mov_b32 v2, s37
	flat_load_b64 v[1:2], v[1:2] offset:8
.LBB237_6:
	s_load_b32 s33, s[0:1], 0x0
	s_mov_b32 s0, 0
	v_or_b32_e32 v25, 0xfffffc00, v0
	v_lshl_add_u32 v26, v0, 2, 0
	s_mov_b32 s1, s0
	s_delay_alu instid0(SALU_CYCLE_1)
	v_dual_mov_b32 v10, s1 :: v_dual_lshlrev_b32 v27, 4, v0
	s_mov_b32 s36, s0
	s_mov_b32 s37, s0
	v_dual_mov_b32 v11, s36 :: v_dual_mov_b32 v14, v26
	v_dual_mov_b32 v9, s0 :: v_dual_mov_b32 v12, s37
	v_add3_u32 v13, v27, 0, 0x20008
	s_waitcnt lgkmcnt(0)
	v_dual_mov_b32 v16, v25 :: v_dual_mov_b32 v15, s33
.LBB237_7:                              ; =>This Inner Loop Header: Depth=1
	s_delay_alu instid0(VALU_DEP_1)
	v_add_nc_u32_e32 v16, 0x400, v16
	ds_store_b32 v14, v15
	v_add_nc_u32_e32 v17, -8, v13
	v_add_nc_u32_e32 v13, 0x4000, v13
	v_add_nc_u32_e32 v14, 0x1000, v14
	v_cmp_lt_u32_e32 vcc_lo, 0x7bff, v16
	ds_store_2addr_b64 v17, v[9:10], v[11:12] offset1:1
	s_or_b32 s0, vcc_lo, s0
	s_delay_alu instid0(SALU_CYCLE_1)
	s_and_not1_b32 exec_lo, exec_lo, s0
	s_cbranch_execnz .LBB237_7
; %bb.8:
	s_or_b32 exec_lo, exec_lo, s0
	s_waitcnt vmcnt(0) lgkmcnt(0)
	s_waitcnt_vscnt null, 0x0
	s_barrier
	buffer_gl0_inv
	s_load_b32 s0, s[40:41], 0x0
	s_mov_b32 s1, 0
	v_lshrrev_b32_e32 v28, 6, v0
	s_waitcnt lgkmcnt(0)
	s_add_i32 s0, s0, s15
	s_delay_alu instid0(SALU_CYCLE_1) | instskip(NEXT) | instid1(SALU_CYCLE_1)
	s_lshl_b64 s[0:1], s[0:1], 2
	s_add_u32 s0, s42, s0
	s_addc_u32 s1, s43, s1
	s_and_b32 vcc_lo, exec_lo, s12
	s_load_b32 s36, s[0:1], 0x0
	s_cbranch_vccz .LBB237_36
; %bb.9:
	s_waitcnt lgkmcnt(0)
	s_ashr_i32 s37, s36, 31
	s_mov_b32 s2, exec_lo
	s_lshl_b64 s[0:1], s[36:37], 3
	s_delay_alu instid0(SALU_CYCLE_1) | instskip(SKIP_3) | instid1(VALU_DEP_1)
	s_add_u32 s0, s4, s0
	s_addc_u32 s1, s5, s1
	s_load_b128 s[12:15], s[0:1], 0x0
	v_sub_co_u32 v9, s0, v28, s24
	v_sub_co_ci_u32_e64 v10, null, 0, 0, s0
	s_waitcnt lgkmcnt(0)
	s_delay_alu instid0(VALU_DEP_2) | instskip(NEXT) | instid1(VALU_DEP_2)
	v_add_co_u32 v9, vcc_lo, s12, v9
	v_add_co_ci_u32_e32 v10, vcc_lo, s13, v10, vcc_lo
	s_sub_u32 s0, s14, s24
	s_subb_u32 s1, s15, 0
	s_delay_alu instid0(VALU_DEP_1) | instid1(SALU_CYCLE_1)
	v_cmpx_gt_i64_e64 s[0:1], v[9:10]
	s_cbranch_execz .LBB237_35
; %bb.10:
	v_and_b32_e32 v11, 63, v0
	s_mov_b32 s5, s25
	s_delay_alu instid0(VALU_DEP_1) | instskip(NEXT) | instid1(VALU_DEP_1)
	v_sub_co_u32 v29, s4, v11, s25
	v_sub_co_ci_u32_e64 v30, null, 0, 0, s4
	s_mov_b32 s4, 0
	s_branch .LBB237_12
.LBB237_11:                             ;   in Loop: Header=BB237_12 Depth=1
	s_or_b32 exec_lo, exec_lo, s12
	v_add_co_u32 v9, vcc_lo, v9, 16
	v_add_co_ci_u32_e32 v10, vcc_lo, 0, v10, vcc_lo
	s_delay_alu instid0(VALU_DEP_1) | instskip(SKIP_1) | instid1(SALU_CYCLE_1)
	v_cmp_le_i64_e32 vcc_lo, s[0:1], v[9:10]
	s_or_b32 s4, vcc_lo, s4
	s_and_not1_b32 exec_lo, exec_lo, s4
	s_cbranch_execz .LBB237_35
.LBB237_12:                             ; =>This Loop Header: Depth=1
                                        ;     Child Loop BB237_15 Depth 2
                                        ;       Child Loop BB237_17 Depth 3
                                        ;         Child Loop BB237_23 Depth 4
                                        ;         Child Loop BB237_25 Depth 4
	;; [unrolled: 1-line block ×4, first 2 shown]
	v_lshlrev_b64 v[11:12], 2, v[9:10]
	s_mov_b32 s12, exec_lo
	s_delay_alu instid0(VALU_DEP_1) | instskip(NEXT) | instid1(VALU_DEP_2)
	v_add_co_u32 v11, vcc_lo, s6, v11
	v_add_co_ci_u32_e32 v12, vcc_lo, s7, v12, vcc_lo
	global_load_b32 v11, v[11:12], off
	s_waitcnt vmcnt(0)
	v_subrev_nc_u32_e32 v11, s24, v11
	s_delay_alu instid0(VALU_DEP_1) | instskip(NEXT) | instid1(VALU_DEP_1)
	v_ashrrev_i32_e32 v12, 31, v11
	v_lshlrev_b64 v[11:12], 3, v[11:12]
	s_delay_alu instid0(VALU_DEP_1) | instskip(NEXT) | instid1(VALU_DEP_2)
	v_add_co_u32 v11, vcc_lo, s10, v11
	v_add_co_ci_u32_e32 v12, vcc_lo, s11, v12, vcc_lo
	global_load_b128 v[13:16], v[11:12], off
	s_waitcnt vmcnt(0)
	v_sub_co_u32 v11, vcc_lo, v15, s5
	v_subrev_co_ci_u32_e32 v12, vcc_lo, 0, v16, vcc_lo
	v_add_co_u32 v13, vcc_lo, v13, v29
	v_add_co_ci_u32_e32 v14, vcc_lo, v14, v30, vcc_lo
	s_delay_alu instid0(VALU_DEP_1)
	v_cmpx_lt_i64_e64 v[13:14], v[11:12]
	s_cbranch_execz .LBB237_11
; %bb.13:                               ;   in Loop: Header=BB237_12 Depth=1
	v_lshlrev_b64 v[15:16], 4, v[9:10]
	s_mov_b32 s13, 0
	s_delay_alu instid0(VALU_DEP_1) | instskip(NEXT) | instid1(VALU_DEP_2)
	v_add_co_u32 v15, vcc_lo, s8, v15
	v_add_co_ci_u32_e32 v16, vcc_lo, s9, v16, vcc_lo
	global_load_b128 v[17:20], v[15:16], off
	s_waitcnt vmcnt(0)
	v_mul_f64 v[15:16], v[19:20], -v[7:8]
	v_mul_f64 v[19:20], v[5:6], v[19:20]
	s_delay_alu instid0(VALU_DEP_2) | instskip(NEXT) | instid1(VALU_DEP_2)
	v_fma_f64 v[15:16], v[5:6], v[17:18], v[15:16]
	v_fma_f64 v[17:18], v[7:8], v[17:18], v[19:20]
	s_branch .LBB237_15
.LBB237_14:                             ;   in Loop: Header=BB237_15 Depth=2
	s_or_b32 exec_lo, exec_lo, s14
	v_add_co_u32 v13, vcc_lo, v13, 64
	v_add_co_ci_u32_e32 v14, vcc_lo, 0, v14, vcc_lo
	s_delay_alu instid0(VALU_DEP_1) | instskip(SKIP_1) | instid1(SALU_CYCLE_1)
	v_cmp_ge_i64_e32 vcc_lo, v[13:14], v[11:12]
	s_or_b32 s13, vcc_lo, s13
	s_and_not1_b32 exec_lo, exec_lo, s13
	s_cbranch_execz .LBB237_11
.LBB237_15:                             ;   Parent Loop BB237_12 Depth=1
                                        ; =>  This Loop Header: Depth=2
                                        ;       Child Loop BB237_17 Depth 3
                                        ;         Child Loop BB237_23 Depth 4
                                        ;         Child Loop BB237_25 Depth 4
	;; [unrolled: 1-line block ×4, first 2 shown]
	v_lshlrev_b64 v[19:20], 4, v[13:14]
	s_mov_b32 s14, 0
	s_delay_alu instid0(VALU_DEP_1) | instskip(NEXT) | instid1(VALU_DEP_2)
	v_add_co_u32 v19, vcc_lo, s30, v19
	v_add_co_ci_u32_e32 v20, vcc_lo, s31, v20, vcc_lo
	global_load_b128 v[21:24], v[19:20], off
	v_lshlrev_b64 v[19:20], 2, v[13:14]
	s_delay_alu instid0(VALU_DEP_1) | instskip(NEXT) | instid1(VALU_DEP_2)
	v_add_co_u32 v19, vcc_lo, s28, v19
	v_add_co_ci_u32_e32 v20, vcc_lo, s29, v20, vcc_lo
	global_load_b32 v31, v[19:20], off
	s_waitcnt vmcnt(1)
	v_mul_f64 v[19:20], v[23:24], -v[17:18]
	v_mul_f64 v[23:24], v[15:16], v[23:24]
	s_waitcnt vmcnt(0)
	v_subrev_nc_u32_e32 v31, s25, v31
	s_delay_alu instid0(VALU_DEP_3) | instskip(NEXT) | instid1(VALU_DEP_3)
	v_fma_f64 v[19:20], v[15:16], v[21:22], v[19:20]
	v_fma_f64 v[21:22], v[17:18], v[21:22], v[23:24]
	s_delay_alu instid0(VALU_DEP_3) | instskip(NEXT) | instid1(VALU_DEP_1)
	v_mul_lo_u32 v23, 0x89, v31
	v_and_b32_e32 v32, 0x7fff, v23
	s_branch .LBB237_17
.LBB237_16:                             ;   in Loop: Header=BB237_17 Depth=3
	s_or_b32 exec_lo, exec_lo, s15
	s_xor_b32 s15, s37, -1
	s_delay_alu instid0(SALU_CYCLE_1) | instskip(NEXT) | instid1(SALU_CYCLE_1)
	s_and_b32 s15, exec_lo, s15
	s_or_b32 s14, s15, s14
	s_delay_alu instid0(SALU_CYCLE_1)
	s_and_not1_b32 exec_lo, exec_lo, s14
	s_cbranch_execz .LBB237_14
.LBB237_17:                             ;   Parent Loop BB237_12 Depth=1
                                        ;     Parent Loop BB237_15 Depth=2
                                        ; =>    This Loop Header: Depth=3
                                        ;         Child Loop BB237_23 Depth 4
                                        ;         Child Loop BB237_25 Depth 4
	;; [unrolled: 1-line block ×4, first 2 shown]
	s_delay_alu instid0(VALU_DEP_1)
	v_lshl_add_u32 v23, v32, 2, 0
	s_mov_b32 s15, exec_lo
                                        ; implicit-def: $sgpr37
	ds_load_b32 v24, v23
	s_waitcnt lgkmcnt(0)
	v_cmpx_ne_u32_e64 v24, v31
	s_xor_b32 s15, exec_lo, s15
	s_cbranch_execz .LBB237_29
; %bb.18:                               ;   in Loop: Header=BB237_17 Depth=3
	s_mov_b32 s38, exec_lo
                                        ; implicit-def: $sgpr37
	v_cmpx_ne_u32_e64 s33, v24
	s_xor_b32 s38, exec_lo, s38
; %bb.19:                               ;   in Loop: Header=BB237_17 Depth=3
	v_add_nc_u32_e32 v23, 1, v32
	s_mov_b32 s37, -1
	s_delay_alu instid0(VALU_DEP_1)
	v_and_b32_e32 v32, 0x7fff, v23
                                        ; implicit-def: $vgpr23
; %bb.20:                               ;   in Loop: Header=BB237_17 Depth=3
	s_and_not1_saveexec_b32 s38, s38
	s_cbranch_execz .LBB237_28
; %bb.21:                               ;   in Loop: Header=BB237_17 Depth=3
	v_mov_b32_e32 v24, s33
	s_mov_b32 s40, -1
	s_mov_b32 s39, exec_lo
	ds_cmpstore_rtn_b32 v23, v23, v31, v24
	s_waitcnt lgkmcnt(0)
	v_cmpx_eq_u32_e64 s33, v23
	s_cbranch_execz .LBB237_27
; %bb.22:                               ;   in Loop: Header=BB237_17 Depth=3
	v_lshlrev_b32_e32 v23, 4, v32
	s_mov_b32 s40, 0
	s_delay_alu instid0(VALU_DEP_1)
	v_add3_u32 v33, 0, v23, 0x20000
	ds_load_b64 v[23:24], v33
.LBB237_23:                             ;   Parent Loop BB237_12 Depth=1
                                        ;     Parent Loop BB237_15 Depth=2
                                        ;       Parent Loop BB237_17 Depth=3
                                        ; =>      This Inner Loop Header: Depth=4
	s_waitcnt lgkmcnt(0)
	v_add_f64 v[34:35], v[23:24], v[19:20]
	ds_cmpstore_rtn_b64 v[34:35], v33, v[34:35], v[23:24]
	s_waitcnt lgkmcnt(0)
	v_cmp_eq_u64_e32 vcc_lo, v[34:35], v[23:24]
	v_dual_mov_b32 v23, v34 :: v_dual_mov_b32 v24, v35
	s_or_b32 s40, vcc_lo, s40
	s_delay_alu instid0(SALU_CYCLE_1)
	s_and_not1_b32 exec_lo, exec_lo, s40
	s_cbranch_execnz .LBB237_23
; %bb.24:                               ;   in Loop: Header=BB237_17 Depth=3
	s_or_b32 exec_lo, exec_lo, s40
	ds_load_b64 v[23:24], v33 offset:8
	s_mov_b32 s40, 0
.LBB237_25:                             ;   Parent Loop BB237_12 Depth=1
                                        ;     Parent Loop BB237_15 Depth=2
                                        ;       Parent Loop BB237_17 Depth=3
                                        ; =>      This Inner Loop Header: Depth=4
	s_waitcnt lgkmcnt(0)
	v_add_f64 v[34:35], v[23:24], v[21:22]
	ds_cmpstore_rtn_b64 v[34:35], v33, v[34:35], v[23:24] offset:8
	s_waitcnt lgkmcnt(0)
	v_cmp_eq_u64_e32 vcc_lo, v[34:35], v[23:24]
	v_dual_mov_b32 v23, v34 :: v_dual_mov_b32 v24, v35
	s_or_b32 s40, vcc_lo, s40
	s_delay_alu instid0(SALU_CYCLE_1)
	s_and_not1_b32 exec_lo, exec_lo, s40
	s_cbranch_execnz .LBB237_25
; %bb.26:                               ;   in Loop: Header=BB237_17 Depth=3
	s_or_b32 exec_lo, exec_lo, s40
	s_delay_alu instid0(SALU_CYCLE_1)
	s_xor_b32 s40, exec_lo, -1
.LBB237_27:                             ;   in Loop: Header=BB237_17 Depth=3
	s_or_b32 exec_lo, exec_lo, s39
	s_delay_alu instid0(SALU_CYCLE_1) | instskip(SKIP_1) | instid1(SALU_CYCLE_1)
	s_and_not1_b32 s37, s37, exec_lo
	s_and_b32 s39, s40, exec_lo
	s_or_b32 s37, s37, s39
.LBB237_28:                             ;   in Loop: Header=BB237_17 Depth=3
	s_or_b32 exec_lo, exec_lo, s38
	s_delay_alu instid0(SALU_CYCLE_1)
	s_and_b32 s37, s37, exec_lo
.LBB237_29:                             ;   in Loop: Header=BB237_17 Depth=3
	s_and_not1_saveexec_b32 s15, s15
	s_cbranch_execz .LBB237_16
; %bb.30:                               ;   in Loop: Header=BB237_17 Depth=3
	v_lshlrev_b32_e32 v23, 4, v32
	s_mov_b32 s38, 0
	s_delay_alu instid0(VALU_DEP_1)
	v_add3_u32 v33, 0, v23, 0x20000
	ds_load_b64 v[23:24], v33
.LBB237_31:                             ;   Parent Loop BB237_12 Depth=1
                                        ;     Parent Loop BB237_15 Depth=2
                                        ;       Parent Loop BB237_17 Depth=3
                                        ; =>      This Inner Loop Header: Depth=4
	s_waitcnt lgkmcnt(0)
	v_add_f64 v[34:35], v[23:24], v[19:20]
	ds_cmpstore_rtn_b64 v[34:35], v33, v[34:35], v[23:24]
	s_waitcnt lgkmcnt(0)
	v_cmp_eq_u64_e32 vcc_lo, v[34:35], v[23:24]
	v_dual_mov_b32 v23, v34 :: v_dual_mov_b32 v24, v35
	s_or_b32 s38, vcc_lo, s38
	s_delay_alu instid0(SALU_CYCLE_1)
	s_and_not1_b32 exec_lo, exec_lo, s38
	s_cbranch_execnz .LBB237_31
; %bb.32:                               ;   in Loop: Header=BB237_17 Depth=3
	s_or_b32 exec_lo, exec_lo, s38
	ds_load_b64 v[23:24], v33 offset:8
	s_mov_b32 s38, 0
.LBB237_33:                             ;   Parent Loop BB237_12 Depth=1
                                        ;     Parent Loop BB237_15 Depth=2
                                        ;       Parent Loop BB237_17 Depth=3
                                        ; =>      This Inner Loop Header: Depth=4
	s_waitcnt lgkmcnt(0)
	v_add_f64 v[34:35], v[23:24], v[21:22]
	ds_cmpstore_rtn_b64 v[34:35], v33, v[34:35], v[23:24] offset:8
	s_waitcnt lgkmcnt(0)
	v_cmp_eq_u64_e32 vcc_lo, v[34:35], v[23:24]
	v_dual_mov_b32 v23, v34 :: v_dual_mov_b32 v24, v35
	s_or_b32 s38, vcc_lo, s38
	s_delay_alu instid0(SALU_CYCLE_1)
	s_and_not1_b32 exec_lo, exec_lo, s38
	s_cbranch_execnz .LBB237_33
; %bb.34:                               ;   in Loop: Header=BB237_17 Depth=3
	s_or_b32 exec_lo, exec_lo, s38
	s_delay_alu instid0(SALU_CYCLE_1)
	s_and_not1_b32 s37, s37, exec_lo
	s_branch .LBB237_16
.LBB237_35:
	s_or_b32 exec_lo, exec_lo, s2
.LBB237_36:
	s_delay_alu instid0(SALU_CYCLE_1)
	s_and_not1_b32 vcc_lo, exec_lo, s3
	s_cbranch_vccnz .LBB237_39
; %bb.37:
	s_waitcnt lgkmcnt(0)
	s_ashr_i32 s37, s36, 31
	v_sub_co_u32 v5, s4, v0, s27
	s_lshl_b64 s[0:1], s[36:37], 3
	v_sub_co_ci_u32_e64 v6, null, 0, 0, s4
	s_add_u32 s0, s16, s0
	s_addc_u32 s1, s17, s1
	s_load_b128 s[0:3], s[0:1], 0x0
	s_waitcnt lgkmcnt(0)
	v_add_co_u32 v5, vcc_lo, s0, v5
	v_add_co_ci_u32_e32 v6, vcc_lo, s1, v6, vcc_lo
	s_sub_u32 s0, s2, s27
	s_subb_u32 s1, s3, 0
	s_mov_b32 s3, 0
	s_mov_b32 s2, exec_lo
	v_cmpx_gt_i64_e64 s[0:1], v[5:6]
	s_cbranch_execnz .LBB237_76
.LBB237_38:
	s_or_b32 exec_lo, exec_lo, s2
.LBB237_39:
	v_mbcnt_lo_u32_b32 v1, -1, 0
	s_add_i32 s31, 0, 0xa003c
	s_delay_alu instid0(SALU_CYCLE_1) | instskip(SKIP_1) | instid1(VALU_DEP_3)
	v_dual_mov_b32 v5, s31 :: v_dual_lshlrev_b32 v2, 2, v28
	v_cmp_eq_u32_e32 vcc_lo, 0x3ff, v0
	v_xor_b32_e32 v1, 63, v1
	v_cmp_lt_u32_e64 s0, 63, v0
	s_delay_alu instid0(VALU_DEP_4)
	v_add3_u32 v3, 0, 0xa0000, v2
	v_cmp_lt_u32_e64 s1, 0x7f, v0
	v_cmp_lt_u32_e64 s2, 0xbf, v0
	v_lshrrev_b64 v[1:2], v1, -1
	v_cmp_lt_u32_e64 s3, 0xff, v0
	v_cmp_lt_u32_e64 s4, 0x13f, v0
	;; [unrolled: 1-line block ×12, first 2 shown]
	v_add3_u32 v2, v27, 0, 0x20000
	v_mov_b32_e32 v4, 0
	s_mov_b32 s16, 0
	s_add_i32 s17, 0, 0xa0000
	s_add_i32 s18, 0, 0xa0004
	;; [unrolled: 1-line block ×15, first 2 shown]
	s_waitcnt lgkmcnt(0)
	s_barrier
	buffer_gl0_inv
	s_branch .LBB237_41
.LBB237_40:                             ;   in Loop: Header=BB237_41 Depth=1
	s_or_b32 exec_lo, exec_lo, s15
	s_waitcnt lgkmcnt(0)
	s_barrier
	buffer_gl0_inv
	ds_load_b32 v6, v5
	v_add_nc_u32_e32 v25, 0x400, v25
	v_add_nc_u32_e32 v2, 0x4000, v2
	;; [unrolled: 1-line block ×3, first 2 shown]
	s_delay_alu instid0(VALU_DEP_3) | instskip(NEXT) | instid1(VALU_DEP_1)
	v_cmp_lt_u32_e64 s15, 0x7bff, v25
	s_or_b32 s16, s15, s16
	s_waitcnt lgkmcnt(0)
	v_add_nc_u32_e32 v4, v6, v4
	s_and_not1_b32 exec_lo, exec_lo, s16
	s_cbranch_execz .LBB237_96
.LBB237_41:                             ; =>This Inner Loop Header: Depth=1
	ds_load_b32 v6, v26
	ds_load_2addr_b64 v[7:10], v2 offset1:1
	s_waitcnt lgkmcnt(1)
	v_cmp_gt_i32_e64 s15, s33, v6
	s_waitcnt lgkmcnt(0)
	scratch_store_b128 off, v[7:10], off
	s_waitcnt_vscnt null, 0x0
	s_barrier
	buffer_gl0_inv
	s_bcnt1_i32_b32 s41, s15
	s_delay_alu instid0(SALU_CYCLE_1) | instskip(NEXT) | instid1(VALU_DEP_1)
	v_dual_mov_b32 v8, s41 :: v_dual_and_b32 v7, s15, v1
	v_bcnt_u32_b32 v7, v7, 0
	ds_store_b32 v3, v8
	s_waitcnt lgkmcnt(0)
	s_barrier
	buffer_gl0_inv
	s_and_saveexec_b32 s41, s0
	s_cbranch_execnz .LBB237_58
; %bb.42:                               ;   in Loop: Header=BB237_41 Depth=1
	s_or_b32 exec_lo, exec_lo, s41
	s_and_saveexec_b32 s41, s1
	s_cbranch_execnz .LBB237_59
.LBB237_43:                             ;   in Loop: Header=BB237_41 Depth=1
	s_or_b32 exec_lo, exec_lo, s41
	s_and_saveexec_b32 s41, s2
	s_cbranch_execnz .LBB237_60
.LBB237_44:                             ;   in Loop: Header=BB237_41 Depth=1
	s_or_b32 exec_lo, exec_lo, s41
	s_and_saveexec_b32 s41, s3
	s_cbranch_execnz .LBB237_61
.LBB237_45:                             ;   in Loop: Header=BB237_41 Depth=1
	s_or_b32 exec_lo, exec_lo, s41
	s_and_saveexec_b32 s41, s4
	s_cbranch_execnz .LBB237_62
.LBB237_46:                             ;   in Loop: Header=BB237_41 Depth=1
	s_or_b32 exec_lo, exec_lo, s41
	s_and_saveexec_b32 s41, s5
	s_cbranch_execnz .LBB237_63
.LBB237_47:                             ;   in Loop: Header=BB237_41 Depth=1
	s_or_b32 exec_lo, exec_lo, s41
	s_and_saveexec_b32 s41, s6
	s_cbranch_execnz .LBB237_64
.LBB237_48:                             ;   in Loop: Header=BB237_41 Depth=1
	s_or_b32 exec_lo, exec_lo, s41
	s_and_saveexec_b32 s41, s7
	s_cbranch_execnz .LBB237_65
.LBB237_49:                             ;   in Loop: Header=BB237_41 Depth=1
	s_or_b32 exec_lo, exec_lo, s41
	s_and_saveexec_b32 s41, s8
	s_cbranch_execnz .LBB237_66
.LBB237_50:                             ;   in Loop: Header=BB237_41 Depth=1
	s_or_b32 exec_lo, exec_lo, s41
	s_and_saveexec_b32 s41, s9
	s_cbranch_execnz .LBB237_67
.LBB237_51:                             ;   in Loop: Header=BB237_41 Depth=1
	s_or_b32 exec_lo, exec_lo, s41
	s_and_saveexec_b32 s41, s10
	s_cbranch_execnz .LBB237_68
.LBB237_52:                             ;   in Loop: Header=BB237_41 Depth=1
	s_or_b32 exec_lo, exec_lo, s41
	s_and_saveexec_b32 s41, s11
	s_cbranch_execnz .LBB237_69
.LBB237_53:                             ;   in Loop: Header=BB237_41 Depth=1
	s_or_b32 exec_lo, exec_lo, s41
	s_and_saveexec_b32 s41, s12
	s_cbranch_execnz .LBB237_70
.LBB237_54:                             ;   in Loop: Header=BB237_41 Depth=1
	s_or_b32 exec_lo, exec_lo, s41
	s_and_saveexec_b32 s41, s13
	s_cbranch_execnz .LBB237_71
.LBB237_55:                             ;   in Loop: Header=BB237_41 Depth=1
	s_or_b32 exec_lo, exec_lo, s41
	s_and_saveexec_b32 s41, s14
	s_cbranch_execnz .LBB237_72
.LBB237_56:                             ;   in Loop: Header=BB237_41 Depth=1
	s_or_b32 exec_lo, exec_lo, s41
	s_and_saveexec_b32 s41, s15
	s_cbranch_execnz .LBB237_73
.LBB237_57:                             ;   in Loop: Header=BB237_41 Depth=1
	s_or_b32 exec_lo, exec_lo, s41
	s_and_saveexec_b32 s15, vcc_lo
	s_cbranch_execz .LBB237_40
	s_branch .LBB237_74
.LBB237_58:                             ;   in Loop: Header=BB237_41 Depth=1
	v_mov_b32_e32 v8, s17
	ds_load_b32 v8, v8
	s_waitcnt lgkmcnt(0)
	v_add_nc_u32_e32 v7, v8, v7
	s_or_b32 exec_lo, exec_lo, s41
	s_and_saveexec_b32 s41, s1
	s_cbranch_execz .LBB237_43
.LBB237_59:                             ;   in Loop: Header=BB237_41 Depth=1
	v_mov_b32_e32 v8, s18
	ds_load_b32 v8, v8
	s_waitcnt lgkmcnt(0)
	v_add_nc_u32_e32 v7, v8, v7
	s_or_b32 exec_lo, exec_lo, s41
	s_and_saveexec_b32 s41, s2
	s_cbranch_execz .LBB237_44
.LBB237_60:                             ;   in Loop: Header=BB237_41 Depth=1
	v_mov_b32_e32 v8, s19
	ds_load_b32 v8, v8
	s_waitcnt lgkmcnt(0)
	v_add_nc_u32_e32 v7, v8, v7
	s_or_b32 exec_lo, exec_lo, s41
	s_and_saveexec_b32 s41, s3
	s_cbranch_execz .LBB237_45
.LBB237_61:                             ;   in Loop: Header=BB237_41 Depth=1
	v_mov_b32_e32 v8, s20
	ds_load_b32 v8, v8
	s_waitcnt lgkmcnt(0)
	v_add_nc_u32_e32 v7, v8, v7
	s_or_b32 exec_lo, exec_lo, s41
	s_and_saveexec_b32 s41, s4
	s_cbranch_execz .LBB237_46
.LBB237_62:                             ;   in Loop: Header=BB237_41 Depth=1
	v_mov_b32_e32 v8, s21
	ds_load_b32 v8, v8
	s_waitcnt lgkmcnt(0)
	v_add_nc_u32_e32 v7, v8, v7
	s_or_b32 exec_lo, exec_lo, s41
	s_and_saveexec_b32 s41, s5
	s_cbranch_execz .LBB237_47
.LBB237_63:                             ;   in Loop: Header=BB237_41 Depth=1
	v_mov_b32_e32 v8, s24
	ds_load_b32 v8, v8
	s_waitcnt lgkmcnt(0)
	v_add_nc_u32_e32 v7, v8, v7
	s_or_b32 exec_lo, exec_lo, s41
	s_and_saveexec_b32 s41, s6
	s_cbranch_execz .LBB237_48
.LBB237_64:                             ;   in Loop: Header=BB237_41 Depth=1
	v_mov_b32_e32 v8, s25
	ds_load_b32 v8, v8
	s_waitcnt lgkmcnt(0)
	v_add_nc_u32_e32 v7, v8, v7
	s_or_b32 exec_lo, exec_lo, s41
	s_and_saveexec_b32 s41, s7
	s_cbranch_execz .LBB237_49
.LBB237_65:                             ;   in Loop: Header=BB237_41 Depth=1
	v_mov_b32_e32 v8, s27
	ds_load_b32 v8, v8
	s_waitcnt lgkmcnt(0)
	v_add_nc_u32_e32 v7, v8, v7
	s_or_b32 exec_lo, exec_lo, s41
	s_and_saveexec_b32 s41, s8
	s_cbranch_execz .LBB237_50
.LBB237_66:                             ;   in Loop: Header=BB237_41 Depth=1
	v_mov_b32_e32 v8, s28
	ds_load_b32 v8, v8
	s_waitcnt lgkmcnt(0)
	v_add_nc_u32_e32 v7, v8, v7
	s_or_b32 exec_lo, exec_lo, s41
	s_and_saveexec_b32 s41, s9
	s_cbranch_execz .LBB237_51
.LBB237_67:                             ;   in Loop: Header=BB237_41 Depth=1
	v_mov_b32_e32 v8, s29
	ds_load_b32 v8, v8
	s_waitcnt lgkmcnt(0)
	v_add_nc_u32_e32 v7, v8, v7
	s_or_b32 exec_lo, exec_lo, s41
	s_and_saveexec_b32 s41, s10
	s_cbranch_execz .LBB237_52
.LBB237_68:                             ;   in Loop: Header=BB237_41 Depth=1
	v_mov_b32_e32 v8, s30
	ds_load_b32 v8, v8
	s_waitcnt lgkmcnt(0)
	v_add_nc_u32_e32 v7, v8, v7
	s_or_b32 exec_lo, exec_lo, s41
	s_and_saveexec_b32 s41, s11
	s_cbranch_execz .LBB237_53
.LBB237_69:                             ;   in Loop: Header=BB237_41 Depth=1
	v_mov_b32_e32 v8, s37
	ds_load_b32 v8, v8
	s_waitcnt lgkmcnt(0)
	v_add_nc_u32_e32 v7, v8, v7
	s_or_b32 exec_lo, exec_lo, s41
	s_and_saveexec_b32 s41, s12
	s_cbranch_execz .LBB237_54
.LBB237_70:                             ;   in Loop: Header=BB237_41 Depth=1
	v_mov_b32_e32 v8, s38
	ds_load_b32 v8, v8
	s_waitcnt lgkmcnt(0)
	v_add_nc_u32_e32 v7, v8, v7
	s_or_b32 exec_lo, exec_lo, s41
	s_and_saveexec_b32 s41, s13
	s_cbranch_execz .LBB237_55
.LBB237_71:                             ;   in Loop: Header=BB237_41 Depth=1
	v_mov_b32_e32 v8, s39
	ds_load_b32 v8, v8
	s_waitcnt lgkmcnt(0)
	v_add_nc_u32_e32 v7, v8, v7
	s_or_b32 exec_lo, exec_lo, s41
	s_and_saveexec_b32 s41, s14
	s_cbranch_execz .LBB237_56
.LBB237_72:                             ;   in Loop: Header=BB237_41 Depth=1
	v_mov_b32_e32 v8, s40
	ds_load_b32 v8, v8
	s_waitcnt lgkmcnt(0)
	v_add_nc_u32_e32 v7, v8, v7
	s_or_b32 exec_lo, exec_lo, s41
	s_and_saveexec_b32 s41, s15
	s_cbranch_execz .LBB237_57
.LBB237_73:                             ;   in Loop: Header=BB237_41 Depth=1
	scratch_load_b128 v[8:11], off, off
	v_add3_u32 v12, v4, -1, v7
	s_delay_alu instid0(VALU_DEP_1) | instskip(SKIP_1) | instid1(VALU_DEP_2)
	v_lshlrev_b32_e32 v13, 4, v12
	v_lshl_add_u32 v12, v12, 2, 0
	v_add3_u32 v13, 0, v13, 0x20000
	ds_store_b32 v12, v6
	s_waitcnt vmcnt(0)
	ds_store_2addr_b64 v13, v[8:9], v[10:11] offset1:1
	s_or_b32 exec_lo, exec_lo, s41
	s_and_saveexec_b32 s15, vcc_lo
	s_cbranch_execz .LBB237_40
.LBB237_74:                             ;   in Loop: Header=BB237_41 Depth=1
	v_mov_b32_e32 v6, s31
	ds_store_b32 v6, v7
	s_branch .LBB237_40
.LBB237_75:                             ;   in Loop: Header=BB237_76 Depth=1
	s_or_b32 exec_lo, exec_lo, s4
	v_add_co_u32 v5, vcc_lo, 0x400, v5
	v_add_co_ci_u32_e32 v6, vcc_lo, 0, v6, vcc_lo
	s_delay_alu instid0(VALU_DEP_1) | instskip(SKIP_1) | instid1(SALU_CYCLE_1)
	v_cmp_le_i64_e32 vcc_lo, s[0:1], v[5:6]
	s_or_b32 s3, vcc_lo, s3
	s_and_not1_b32 exec_lo, exec_lo, s3
	s_cbranch_execz .LBB237_38
.LBB237_76:                             ; =>This Loop Header: Depth=1
                                        ;     Child Loop BB237_78 Depth 2
                                        ;       Child Loop BB237_84 Depth 3
                                        ;       Child Loop BB237_86 Depth 3
	;; [unrolled: 1-line block ×4, first 2 shown]
	v_lshlrev_b64 v[7:8], 4, v[5:6]
	s_mov_b32 s4, 0
	s_delay_alu instid0(VALU_DEP_1) | instskip(NEXT) | instid1(VALU_DEP_2)
	v_add_co_u32 v7, vcc_lo, s20, v7
	v_add_co_ci_u32_e32 v8, vcc_lo, s21, v8, vcc_lo
	global_load_b128 v[9:12], v[7:8], off
	v_lshlrev_b64 v[7:8], 2, v[5:6]
	s_delay_alu instid0(VALU_DEP_1) | instskip(NEXT) | instid1(VALU_DEP_2)
	v_add_co_u32 v7, vcc_lo, s18, v7
	v_add_co_ci_u32_e32 v8, vcc_lo, s19, v8, vcc_lo
	global_load_b32 v13, v[7:8], off
	s_waitcnt vmcnt(1)
	v_mul_f64 v[7:8], v[11:12], -v[1:2]
	v_mul_f64 v[11:12], v[3:4], v[11:12]
	s_waitcnt vmcnt(0)
	v_subrev_nc_u32_e32 v13, s27, v13
	s_delay_alu instid0(VALU_DEP_3) | instskip(NEXT) | instid1(VALU_DEP_3)
	v_fma_f64 v[7:8], v[3:4], v[9:10], v[7:8]
	v_fma_f64 v[9:10], v[1:2], v[9:10], v[11:12]
	s_delay_alu instid0(VALU_DEP_3) | instskip(NEXT) | instid1(VALU_DEP_1)
	v_mul_lo_u32 v11, 0x89, v13
	v_and_b32_e32 v14, 0x7fff, v11
	s_branch .LBB237_78
.LBB237_77:                             ;   in Loop: Header=BB237_78 Depth=2
	s_or_b32 exec_lo, exec_lo, s5
	s_xor_b32 s5, s6, -1
	s_delay_alu instid0(SALU_CYCLE_1) | instskip(NEXT) | instid1(SALU_CYCLE_1)
	s_and_b32 s5, exec_lo, s5
	s_or_b32 s4, s5, s4
	s_delay_alu instid0(SALU_CYCLE_1)
	s_and_not1_b32 exec_lo, exec_lo, s4
	s_cbranch_execz .LBB237_75
.LBB237_78:                             ;   Parent Loop BB237_76 Depth=1
                                        ; =>  This Loop Header: Depth=2
                                        ;       Child Loop BB237_84 Depth 3
                                        ;       Child Loop BB237_86 Depth 3
	;; [unrolled: 1-line block ×4, first 2 shown]
	s_delay_alu instid0(VALU_DEP_1)
	v_lshl_add_u32 v11, v14, 2, 0
	s_mov_b32 s5, exec_lo
                                        ; implicit-def: $sgpr6
	ds_load_b32 v12, v11
	s_waitcnt lgkmcnt(0)
	v_cmpx_ne_u32_e64 v12, v13
	s_xor_b32 s5, exec_lo, s5
	s_cbranch_execz .LBB237_90
; %bb.79:                               ;   in Loop: Header=BB237_78 Depth=2
	s_mov_b32 s7, exec_lo
                                        ; implicit-def: $sgpr6
	v_cmpx_ne_u32_e64 s33, v12
	s_xor_b32 s7, exec_lo, s7
; %bb.80:                               ;   in Loop: Header=BB237_78 Depth=2
	v_add_nc_u32_e32 v11, 1, v14
	s_mov_b32 s6, -1
	s_delay_alu instid0(VALU_DEP_1)
	v_and_b32_e32 v14, 0x7fff, v11
                                        ; implicit-def: $vgpr11
; %bb.81:                               ;   in Loop: Header=BB237_78 Depth=2
	s_and_not1_saveexec_b32 s7, s7
	s_cbranch_execz .LBB237_89
; %bb.82:                               ;   in Loop: Header=BB237_78 Depth=2
	v_mov_b32_e32 v12, s33
	s_mov_b32 s9, -1
	s_mov_b32 s8, exec_lo
	ds_cmpstore_rtn_b32 v11, v11, v13, v12
	s_waitcnt lgkmcnt(0)
	v_cmpx_eq_u32_e64 s33, v11
	s_cbranch_execz .LBB237_88
; %bb.83:                               ;   in Loop: Header=BB237_78 Depth=2
	v_lshlrev_b32_e32 v11, 4, v14
	s_mov_b32 s9, 0
	s_delay_alu instid0(VALU_DEP_1)
	v_add3_u32 v15, 0, v11, 0x20000
	ds_load_b64 v[11:12], v15
.LBB237_84:                             ;   Parent Loop BB237_76 Depth=1
                                        ;     Parent Loop BB237_78 Depth=2
                                        ; =>    This Inner Loop Header: Depth=3
	s_waitcnt lgkmcnt(0)
	v_add_f64 v[16:17], v[11:12], v[7:8]
	ds_cmpstore_rtn_b64 v[16:17], v15, v[16:17], v[11:12]
	s_waitcnt lgkmcnt(0)
	v_cmp_eq_u64_e32 vcc_lo, v[16:17], v[11:12]
	v_dual_mov_b32 v11, v16 :: v_dual_mov_b32 v12, v17
	s_or_b32 s9, vcc_lo, s9
	s_delay_alu instid0(SALU_CYCLE_1)
	s_and_not1_b32 exec_lo, exec_lo, s9
	s_cbranch_execnz .LBB237_84
; %bb.85:                               ;   in Loop: Header=BB237_78 Depth=2
	s_or_b32 exec_lo, exec_lo, s9
	ds_load_b64 v[11:12], v15 offset:8
	s_mov_b32 s9, 0
.LBB237_86:                             ;   Parent Loop BB237_76 Depth=1
                                        ;     Parent Loop BB237_78 Depth=2
                                        ; =>    This Inner Loop Header: Depth=3
	s_waitcnt lgkmcnt(0)
	v_add_f64 v[16:17], v[11:12], v[9:10]
	ds_cmpstore_rtn_b64 v[16:17], v15, v[16:17], v[11:12] offset:8
	s_waitcnt lgkmcnt(0)
	v_cmp_eq_u64_e32 vcc_lo, v[16:17], v[11:12]
	v_dual_mov_b32 v11, v16 :: v_dual_mov_b32 v12, v17
	s_or_b32 s9, vcc_lo, s9
	s_delay_alu instid0(SALU_CYCLE_1)
	s_and_not1_b32 exec_lo, exec_lo, s9
	s_cbranch_execnz .LBB237_86
; %bb.87:                               ;   in Loop: Header=BB237_78 Depth=2
	s_or_b32 exec_lo, exec_lo, s9
	s_delay_alu instid0(SALU_CYCLE_1)
	s_xor_b32 s9, exec_lo, -1
.LBB237_88:                             ;   in Loop: Header=BB237_78 Depth=2
	s_or_b32 exec_lo, exec_lo, s8
	s_delay_alu instid0(SALU_CYCLE_1) | instskip(SKIP_1) | instid1(SALU_CYCLE_1)
	s_and_not1_b32 s6, s6, exec_lo
	s_and_b32 s8, s9, exec_lo
	s_or_b32 s6, s6, s8
.LBB237_89:                             ;   in Loop: Header=BB237_78 Depth=2
	s_or_b32 exec_lo, exec_lo, s7
	s_delay_alu instid0(SALU_CYCLE_1)
	s_and_b32 s6, s6, exec_lo
.LBB237_90:                             ;   in Loop: Header=BB237_78 Depth=2
	s_and_not1_saveexec_b32 s5, s5
	s_cbranch_execz .LBB237_77
; %bb.91:                               ;   in Loop: Header=BB237_78 Depth=2
	v_lshlrev_b32_e32 v11, 4, v14
	s_mov_b32 s7, 0
	s_delay_alu instid0(VALU_DEP_1)
	v_add3_u32 v15, 0, v11, 0x20000
	ds_load_b64 v[11:12], v15
.LBB237_92:                             ;   Parent Loop BB237_76 Depth=1
                                        ;     Parent Loop BB237_78 Depth=2
                                        ; =>    This Inner Loop Header: Depth=3
	s_waitcnt lgkmcnt(0)
	v_add_f64 v[16:17], v[11:12], v[7:8]
	ds_cmpstore_rtn_b64 v[16:17], v15, v[16:17], v[11:12]
	s_waitcnt lgkmcnt(0)
	v_cmp_eq_u64_e32 vcc_lo, v[16:17], v[11:12]
	v_dual_mov_b32 v11, v16 :: v_dual_mov_b32 v12, v17
	s_or_b32 s7, vcc_lo, s7
	s_delay_alu instid0(SALU_CYCLE_1)
	s_and_not1_b32 exec_lo, exec_lo, s7
	s_cbranch_execnz .LBB237_92
; %bb.93:                               ;   in Loop: Header=BB237_78 Depth=2
	s_or_b32 exec_lo, exec_lo, s7
	ds_load_b64 v[11:12], v15 offset:8
	s_mov_b32 s7, 0
.LBB237_94:                             ;   Parent Loop BB237_76 Depth=1
                                        ;     Parent Loop BB237_78 Depth=2
                                        ; =>    This Inner Loop Header: Depth=3
	s_waitcnt lgkmcnt(0)
	v_add_f64 v[16:17], v[11:12], v[9:10]
	ds_cmpstore_rtn_b64 v[16:17], v15, v[16:17], v[11:12] offset:8
	s_waitcnt lgkmcnt(0)
	v_cmp_eq_u64_e32 vcc_lo, v[16:17], v[11:12]
	v_dual_mov_b32 v11, v16 :: v_dual_mov_b32 v12, v17
	s_or_b32 s7, vcc_lo, s7
	s_delay_alu instid0(SALU_CYCLE_1)
	s_and_not1_b32 exec_lo, exec_lo, s7
	s_cbranch_execnz .LBB237_94
; %bb.95:                               ;   in Loop: Header=BB237_78 Depth=2
	s_or_b32 exec_lo, exec_lo, s7
	s_delay_alu instid0(SALU_CYCLE_1)
	s_and_not1_b32 s6, s6, exec_lo
	s_branch .LBB237_77
.LBB237_96:
	s_or_b32 exec_lo, exec_lo, s16
	s_ashr_i32 s37, s36, 31
	s_mov_b32 s4, exec_lo
	s_lshl_b64 s[0:1], s[36:37], 3
	s_delay_alu instid0(SALU_CYCLE_1) | instskip(SKIP_4) | instid1(SALU_CYCLE_1)
	s_add_u32 s0, s22, s0
	s_addc_u32 s1, s23, s1
	s_load_b128 s[0:3], s[0:1], 0x0
	s_waitcnt lgkmcnt(0)
	s_sub_i32 s3, s2, s0
	v_cmpx_gt_i32_e64 s3, v0
	s_cbranch_execz .LBB237_106
; %bb.97:
	s_sub_u32 s4, s0, s26
	s_subb_u32 s5, s1, 0
	s_sub_i32 s0, s0, s2
	s_and_b32 s1, s3, 7
	s_cmp_lt_u32 s0, -7
	s_mov_b32 s8, 0
	s_cselect_b32 s2, -1, 0
	s_and_b32 s6, s3, -8
	s_cmp_lg_u32 s1, 0
	s_cselect_b32 s7, -1, 0
	s_branch .LBB237_99
.LBB237_98:                             ;   in Loop: Header=BB237_99 Depth=1
	s_waitcnt lgkmcnt(0)
	v_lshlrev_b32_e32 v3, 4, v0
	v_lshlrev_b64 v[1:2], 4, v[1:2]
	v_add_nc_u32_e32 v0, 0x400, v0
	s_delay_alu instid0(VALU_DEP_3) | instskip(NEXT) | instid1(VALU_DEP_2)
	v_add3_u32 v3, 0, v3, 0x20000
	v_cmp_le_i32_e32 vcc_lo, s3, v0
	s_delay_alu instid0(VALU_DEP_4)
	v_add_co_u32 v1, s0, s34, v1
	ds_load_2addr_b64 v[3:6], v3 offset1:1
	v_add_co_ci_u32_e64 v2, s0, s35, v2, s0
	s_or_b32 s8, vcc_lo, s8
	s_waitcnt lgkmcnt(0)
	global_store_b128 v[1:2], v[3:6], off
	s_and_not1_b32 exec_lo, exec_lo, s8
	s_cbranch_execz .LBB237_106
.LBB237_99:                             ; =>This Loop Header: Depth=1
                                        ;     Child Loop BB237_101 Depth 2
                                        ;     Child Loop BB237_105 Depth 2
	v_lshl_add_u32 v1, v0, 2, 0
	s_and_not1_b32 vcc_lo, exec_lo, s2
	s_mov_b32 s0, 0
	ds_load_b32 v3, v1
	v_dual_mov_b32 v1, s4 :: v_dual_mov_b32 v2, s5
	s_cbranch_vccnz .LBB237_103
; %bb.100:                              ;   in Loop: Header=BB237_99 Depth=1
	v_dual_mov_b32 v1, s4 :: v_dual_mov_b32 v2, s5
	s_mov_b32 s9, 0
	s_mov_b32 s10, 0
.LBB237_101:                            ;   Parent Loop BB237_99 Depth=1
                                        ; =>  This Inner Loop Header: Depth=2
	s_delay_alu instid0(SALU_CYCLE_1)
	v_mov_b32_e32 v10, s10
	s_add_i32 s9, s9, 8
	s_add_i32 s10, s10, 32
	s_cmp_eq_u32 s6, s9
	ds_load_2addr_b32 v[4:5], v10 offset1:1
	ds_load_2addr_b32 v[6:7], v10 offset0:2 offset1:3
	ds_load_2addr_b32 v[8:9], v10 offset0:4 offset1:5
	;; [unrolled: 1-line block ×3, first 2 shown]
	s_waitcnt lgkmcnt(3)
	v_cmp_gt_i32_e32 vcc_lo, v3, v4
	v_cndmask_b32_e64 v4, 0, 1, vcc_lo
	v_cmp_gt_i32_e32 vcc_lo, v3, v5
	v_cndmask_b32_e64 v5, 0, 1, vcc_lo
	s_waitcnt lgkmcnt(2)
	v_cmp_gt_i32_e32 vcc_lo, v3, v6
	v_cndmask_b32_e64 v6, 0, 1, vcc_lo
	v_cmp_gt_i32_e32 vcc_lo, v3, v7
	v_cndmask_b32_e64 v7, 0, 1, vcc_lo
	s_waitcnt lgkmcnt(1)
	v_cmp_gt_i32_e32 vcc_lo, v3, v8
	v_cndmask_b32_e64 v8, 0, 1, vcc_lo
	v_add_co_u32 v1, vcc_lo, v1, v4
	v_add_co_ci_u32_e32 v2, vcc_lo, 0, v2, vcc_lo
	v_cmp_gt_i32_e32 vcc_lo, v3, v9
	s_delay_alu instid0(VALU_DEP_3) | instskip(NEXT) | instid1(VALU_DEP_1)
	v_add_co_u32 v1, s0, v1, v5
	v_add_co_ci_u32_e64 v2, s0, 0, v2, s0
	v_cndmask_b32_e64 v4, 0, 1, vcc_lo
	s_delay_alu instid0(VALU_DEP_3) | instskip(NEXT) | instid1(VALU_DEP_3)
	v_add_co_u32 v1, vcc_lo, v1, v6
	v_add_co_ci_u32_e32 v2, vcc_lo, 0, v2, vcc_lo
	s_waitcnt lgkmcnt(0)
	v_cmp_gt_i32_e32 vcc_lo, v3, v10
	s_delay_alu instid0(VALU_DEP_3) | instskip(NEXT) | instid1(VALU_DEP_1)
	v_add_co_u32 v1, s0, v1, v7
	v_add_co_ci_u32_e64 v2, s0, 0, v2, s0
	v_cndmask_b32_e64 v5, 0, 1, vcc_lo
	s_delay_alu instid0(VALU_DEP_3) | instskip(NEXT) | instid1(VALU_DEP_3)
	v_add_co_u32 v1, vcc_lo, v1, v8
	v_add_co_ci_u32_e32 v2, vcc_lo, 0, v2, vcc_lo
	v_cmp_gt_i32_e32 vcc_lo, v3, v11
	s_delay_alu instid0(VALU_DEP_3) | instskip(NEXT) | instid1(VALU_DEP_1)
	v_add_co_u32 v1, s0, v1, v4
	v_add_co_ci_u32_e64 v2, s0, 0, v2, s0
	v_cndmask_b32_e64 v4, 0, 1, vcc_lo
	s_delay_alu instid0(VALU_DEP_3) | instskip(NEXT) | instid1(VALU_DEP_3)
	v_add_co_u32 v1, vcc_lo, v1, v5
	v_add_co_ci_u32_e32 v2, vcc_lo, 0, v2, vcc_lo
	s_delay_alu instid0(VALU_DEP_2) | instskip(NEXT) | instid1(VALU_DEP_2)
	v_add_co_u32 v1, vcc_lo, v1, v4
	v_add_co_ci_u32_e32 v2, vcc_lo, 0, v2, vcc_lo
	s_cbranch_scc0 .LBB237_101
; %bb.102:                              ;   in Loop: Header=BB237_99 Depth=1
	s_mov_b32 s0, s6
.LBB237_103:                            ;   in Loop: Header=BB237_99 Depth=1
	s_and_not1_b32 vcc_lo, exec_lo, s7
	s_cbranch_vccnz .LBB237_98
; %bb.104:                              ;   in Loop: Header=BB237_99 Depth=1
	s_lshl_b32 s0, s0, 2
	s_mov_b32 s9, s1
	s_add_i32 s0, s0, 0
.LBB237_105:                            ;   Parent Loop BB237_99 Depth=1
                                        ; =>  This Inner Loop Header: Depth=2
	s_delay_alu instid0(SALU_CYCLE_1)
	v_mov_b32_e32 v4, s0
	s_add_i32 s9, s9, -1
	s_add_i32 s0, s0, 4
	s_cmp_lg_u32 s9, 0
	ds_load_b32 v4, v4
	s_waitcnt lgkmcnt(0)
	v_cmp_gt_i32_e32 vcc_lo, v3, v4
	v_cndmask_b32_e64 v4, 0, 1, vcc_lo
	s_delay_alu instid0(VALU_DEP_1)
	v_add_co_u32 v1, vcc_lo, v1, v4
	v_add_co_ci_u32_e32 v2, vcc_lo, 0, v2, vcc_lo
	s_cbranch_scc1 .LBB237_105
	s_branch .LBB237_98
.LBB237_106:
	s_nop 0
	s_sendmsg sendmsg(MSG_DEALLOC_VGPRS)
	s_endpgm
	.section	.rodata,"a",@progbits
	.p2align	6, 0x0
	.amdhsa_kernel _ZN9rocsparseL41csrgemm_numeric_fill_block_per_row_kernelILj1024ELj64ELj32768ELj137ELj64Eli21rocsparse_complex_numIdEEEvT5_PKS3_S5_NS_24const_host_device_scalarIT6_EEPKT4_S5_PKS7_SB_S5_SD_S8_SB_S5_SD_SB_S5_PS7_21rocsparse_index_base_SF_SF_SF_bbb
		.amdhsa_group_segment_fixed_size 0
		.amdhsa_private_segment_fixed_size 40
		.amdhsa_kernarg_size 172
		.amdhsa_user_sgpr_count 15
		.amdhsa_user_sgpr_dispatch_ptr 0
		.amdhsa_user_sgpr_queue_ptr 0
		.amdhsa_user_sgpr_kernarg_segment_ptr 1
		.amdhsa_user_sgpr_dispatch_id 0
		.amdhsa_user_sgpr_private_segment_size 0
		.amdhsa_wavefront_size32 1
		.amdhsa_uses_dynamic_stack 0
		.amdhsa_enable_private_segment 1
		.amdhsa_system_sgpr_workgroup_id_x 1
		.amdhsa_system_sgpr_workgroup_id_y 0
		.amdhsa_system_sgpr_workgroup_id_z 0
		.amdhsa_system_sgpr_workgroup_info 0
		.amdhsa_system_vgpr_workitem_id 0
		.amdhsa_next_free_vgpr 36
		.amdhsa_next_free_sgpr 46
		.amdhsa_reserve_vcc 1
		.amdhsa_float_round_mode_32 0
		.amdhsa_float_round_mode_16_64 0
		.amdhsa_float_denorm_mode_32 3
		.amdhsa_float_denorm_mode_16_64 3
		.amdhsa_dx10_clamp 1
		.amdhsa_ieee_mode 1
		.amdhsa_fp16_overflow 0
		.amdhsa_workgroup_processor_mode 1
		.amdhsa_memory_ordered 1
		.amdhsa_forward_progress 0
		.amdhsa_shared_vgpr_count 0
		.amdhsa_exception_fp_ieee_invalid_op 0
		.amdhsa_exception_fp_denorm_src 0
		.amdhsa_exception_fp_ieee_div_zero 0
		.amdhsa_exception_fp_ieee_overflow 0
		.amdhsa_exception_fp_ieee_underflow 0
		.amdhsa_exception_fp_ieee_inexact 0
		.amdhsa_exception_int_div_zero 0
	.end_amdhsa_kernel
	.section	.text._ZN9rocsparseL41csrgemm_numeric_fill_block_per_row_kernelILj1024ELj64ELj32768ELj137ELj64Eli21rocsparse_complex_numIdEEEvT5_PKS3_S5_NS_24const_host_device_scalarIT6_EEPKT4_S5_PKS7_SB_S5_SD_S8_SB_S5_SD_SB_S5_PS7_21rocsparse_index_base_SF_SF_SF_bbb,"axG",@progbits,_ZN9rocsparseL41csrgemm_numeric_fill_block_per_row_kernelILj1024ELj64ELj32768ELj137ELj64Eli21rocsparse_complex_numIdEEEvT5_PKS3_S5_NS_24const_host_device_scalarIT6_EEPKT4_S5_PKS7_SB_S5_SD_S8_SB_S5_SD_SB_S5_PS7_21rocsparse_index_base_SF_SF_SF_bbb,comdat
.Lfunc_end237:
	.size	_ZN9rocsparseL41csrgemm_numeric_fill_block_per_row_kernelILj1024ELj64ELj32768ELj137ELj64Eli21rocsparse_complex_numIdEEEvT5_PKS3_S5_NS_24const_host_device_scalarIT6_EEPKT4_S5_PKS7_SB_S5_SD_S8_SB_S5_SD_SB_S5_PS7_21rocsparse_index_base_SF_SF_SF_bbb, .Lfunc_end237-_ZN9rocsparseL41csrgemm_numeric_fill_block_per_row_kernelILj1024ELj64ELj32768ELj137ELj64Eli21rocsparse_complex_numIdEEEvT5_PKS3_S5_NS_24const_host_device_scalarIT6_EEPKT4_S5_PKS7_SB_S5_SD_S8_SB_S5_SD_SB_S5_PS7_21rocsparse_index_base_SF_SF_SF_bbb
                                        ; -- End function
	.section	.AMDGPU.csdata,"",@progbits
; Kernel info:
; codeLenInByte = 4536
; NumSgprs: 48
; NumVgprs: 36
; ScratchSize: 40
; MemoryBound: 0
; FloatMode: 240
; IeeeMode: 1
; LDSByteSize: 0 bytes/workgroup (compile time only)
; SGPRBlocks: 5
; VGPRBlocks: 4
; NumSGPRsForWavesPerEU: 48
; NumVGPRsForWavesPerEU: 36
; Occupancy: 16
; WaveLimiterHint : 1
; COMPUTE_PGM_RSRC2:SCRATCH_EN: 1
; COMPUTE_PGM_RSRC2:USER_SGPR: 15
; COMPUTE_PGM_RSRC2:TRAP_HANDLER: 0
; COMPUTE_PGM_RSRC2:TGID_X_EN: 1
; COMPUTE_PGM_RSRC2:TGID_Y_EN: 0
; COMPUTE_PGM_RSRC2:TGID_Z_EN: 0
; COMPUTE_PGM_RSRC2:TIDIG_COMP_CNT: 0
	.section	.text._ZN9rocsparseL51csrgemm_numeric_fill_block_per_row_multipass_kernelILj512ELj16ELj2048ELj32Eli21rocsparse_complex_numIdEEEvT4_PKS3_S5_NS_24const_host_device_scalarIT5_EEPKT3_S5_PKS7_SB_S5_SD_S8_SB_S5_SD_SB_S5_PS7_PS9_21rocsparse_index_base_SG_SG_SG_bbb,"axG",@progbits,_ZN9rocsparseL51csrgemm_numeric_fill_block_per_row_multipass_kernelILj512ELj16ELj2048ELj32Eli21rocsparse_complex_numIdEEEvT4_PKS3_S5_NS_24const_host_device_scalarIT5_EEPKT3_S5_PKS7_SB_S5_SD_S8_SB_S5_SD_SB_S5_PS7_PS9_21rocsparse_index_base_SG_SG_SG_bbb,comdat
	.globl	_ZN9rocsparseL51csrgemm_numeric_fill_block_per_row_multipass_kernelILj512ELj16ELj2048ELj32Eli21rocsparse_complex_numIdEEEvT4_PKS3_S5_NS_24const_host_device_scalarIT5_EEPKT3_S5_PKS7_SB_S5_SD_S8_SB_S5_SD_SB_S5_PS7_PS9_21rocsparse_index_base_SG_SG_SG_bbb ; -- Begin function _ZN9rocsparseL51csrgemm_numeric_fill_block_per_row_multipass_kernelILj512ELj16ELj2048ELj32Eli21rocsparse_complex_numIdEEEvT4_PKS3_S5_NS_24const_host_device_scalarIT5_EEPKT3_S5_PKS7_SB_S5_SD_S8_SB_S5_SD_SB_S5_PS7_PS9_21rocsparse_index_base_SG_SG_SG_bbb
	.p2align	8
	.type	_ZN9rocsparseL51csrgemm_numeric_fill_block_per_row_multipass_kernelILj512ELj16ELj2048ELj32Eli21rocsparse_complex_numIdEEEvT4_PKS3_S5_NS_24const_host_device_scalarIT5_EEPKT3_S5_PKS7_SB_S5_SD_S8_SB_S5_SD_SB_S5_PS7_PS9_21rocsparse_index_base_SG_SG_SG_bbb,@function
_ZN9rocsparseL51csrgemm_numeric_fill_block_per_row_multipass_kernelILj512ELj16ELj2048ELj32Eli21rocsparse_complex_numIdEEEvT4_PKS3_S5_NS_24const_host_device_scalarIT5_EEPKT3_S5_PKS7_SB_S5_SD_S8_SB_S5_SD_SB_S5_PS7_PS9_21rocsparse_index_base_SG_SG_SG_bbb: ; @_ZN9rocsparseL51csrgemm_numeric_fill_block_per_row_multipass_kernelILj512ELj16ELj2048ELj32Eli21rocsparse_complex_numIdEEEvT4_PKS3_S5_NS_24const_host_device_scalarIT5_EEPKT3_S5_PKS7_SB_S5_SD_S8_SB_S5_SD_SB_S5_PS7_PS9_21rocsparse_index_base_SG_SG_SG_bbb
; %bb.0:
	s_clause 0x3
	s_load_b32 s5, s[2:3], 0xb0
	s_load_b256 s[16:23], s[2:3], 0x8
	s_load_b128 s[8:11], s[2:3], 0x58
	s_load_b128 s[28:31], s[2:3], 0xa0
	v_mov_b32_e32 v8, 0
	v_mov_b32_e32 v9, 0
	s_waitcnt lgkmcnt(0)
	s_bitcmp1_b32 s5, 0
	v_dual_mov_b32 v1, s20 :: v_dual_mov_b32 v2, s21
	s_cselect_b32 s53, -1, 0
	s_bitcmp1_b32 s5, 16
	v_dual_mov_b32 v11, v9 :: v_dual_mov_b32 v10, v8
	s_cselect_b32 s4, -1, 0
	v_dual_mov_b32 v13, v9 :: v_dual_mov_b32 v12, v8
	v_dual_mov_b32 v3, s8 :: v_dual_mov_b32 v4, s9
	s_xor_b32 s14, s4, -1
	s_bitcmp0_b32 s5, 0
	s_clause 0x1
	scratch_store_b64 off, v[1:2], off
	scratch_store_b64 off, v[3:4], off offset:8
	s_cbranch_scc1 .LBB238_3
; %bb.1:
	s_mov_b64 s[6:7], src_private_base
	s_and_b32 s6, s4, exec_lo
	s_cselect_b32 s6, s7, s21
	s_delay_alu instid0(SALU_CYCLE_1) | instskip(SKIP_2) | instid1(VALU_DEP_2)
	v_dual_mov_b32 v1, 0 :: v_dual_mov_b32 v2, s6
	v_dual_mov_b32 v12, s22 :: v_dual_mov_b32 v13, s23
	s_and_not1_b32 vcc_lo, exec_lo, s14
	v_cndmask_b32_e64 v1, s20, v1, s4
	flat_load_b64 v[10:11], v[1:2]
	s_cbranch_vccnz .LBB238_3
; %bb.2:
	v_dual_mov_b32 v1, s20 :: v_dual_mov_b32 v2, s21
	flat_load_b64 v[12:13], v[1:2] offset:8
.LBB238_3:
	s_load_b64 s[12:13], s[2:3], 0x28
	s_bitcmp1_b32 s5, 8
	v_dual_mov_b32 v15, v9 :: v_dual_mov_b32 v14, v8
	s_cselect_b32 s33, -1, 0
	s_bfe_u32 s5, s5, 0x10008
	s_mov_b64 s[6:7], 0
	s_cmp_eq_u32 s5, 0
	s_cbranch_scc1 .LBB238_6
; %bb.4:
	s_mov_b64 s[20:21], src_private_base
	s_and_b32 s5, s4, exec_lo
	s_cselect_b32 s5, s21, s9
	s_delay_alu instid0(SALU_CYCLE_1) | instskip(SKIP_2) | instid1(VALU_DEP_2)
	v_dual_mov_b32 v1, 8 :: v_dual_mov_b32 v2, s5
	v_dual_mov_b32 v8, s10 :: v_dual_mov_b32 v9, s11
	s_and_not1_b32 vcc_lo, exec_lo, s14
	v_cndmask_b32_e64 v1, s8, v1, s4
	flat_load_b64 v[14:15], v[1:2]
	s_cbranch_vccnz .LBB238_6
; %bb.5:
	v_dual_mov_b32 v1, s8 :: v_dual_mov_b32 v2, s9
	flat_load_b64 v[8:9], v[1:2] offset:8
.LBB238_6:
	s_load_b32 s4, s[16:17], 0x0
	s_mov_b32 s5, 0
	s_waitcnt lgkmcnt(0)
	s_add_i32 s4, s4, s15
	s_delay_alu instid0(SALU_CYCLE_1) | instskip(NEXT) | instid1(SALU_CYCLE_1)
	s_lshl_b64 s[4:5], s[4:5], 2
	s_add_u32 s4, s18, s4
	s_addc_u32 s5, s19, s5
	s_and_not1_b32 vcc_lo, exec_lo, s53
	s_load_b32 s4, s[4:5], 0x0
	s_cbranch_vccz .LBB238_9
; %bb.7:
	s_and_not1_b32 vcc_lo, exec_lo, s53
	s_mov_b64 s[34:35], 0
	s_cbranch_vccz .LBB238_10
.LBB238_8:
	s_load_b32 s50, s[2:3], 0x0
	s_waitcnt lgkmcnt(0)
	s_cmp_lt_i32 s50, 1
	s_cbranch_scc0 .LBB238_11
	s_branch .LBB238_72
.LBB238_9:
	s_waitcnt lgkmcnt(0)
	s_ashr_i32 s5, s4, 31
	s_delay_alu instid0(SALU_CYCLE_1) | instskip(NEXT) | instid1(SALU_CYCLE_1)
	s_lshl_b64 s[6:7], s[4:5], 3
	s_add_u32 s6, s12, s6
	s_addc_u32 s7, s13, s7
	s_load_b64 s[6:7], s[6:7], 0x0
	s_waitcnt lgkmcnt(0)
	s_sub_u32 s6, s6, s28
	s_subb_u32 s7, s7, 0
	s_and_not1_b32 vcc_lo, exec_lo, s53
	s_mov_b64 s[34:35], 0
	s_cbranch_vccnz .LBB238_8
.LBB238_10:
	s_waitcnt lgkmcnt(0)
	s_ashr_i32 s5, s4, 31
	s_delay_alu instid0(SALU_CYCLE_1) | instskip(NEXT) | instid1(SALU_CYCLE_1)
	s_lshl_b64 s[8:9], s[4:5], 3
	s_add_u32 s8, s12, s8
	s_addc_u32 s9, s13, s9
	s_load_b64 s[8:9], s[8:9], 0x8
	s_waitcnt lgkmcnt(0)
	s_sub_u32 s34, s8, s28
	s_subb_u32 s35, s9, 0
	s_load_b32 s50, s[2:3], 0x0
	s_waitcnt lgkmcnt(0)
	s_cmp_lt_i32 s50, 1
	s_cbranch_scc1 .LBB238_72
.LBB238_11:
	s_load_b64 s[0:1], s[0:1], 0x4
	s_clause 0x3
	s_load_b256 s[20:27], s[2:3], 0x68
	s_load_b128 s[44:47], s[2:3], 0x90
	s_load_b64 s[48:49], s[2:3], 0x50
	s_load_b256 s[36:43], s[2:3], 0x30
	s_ashr_i32 s5, s4, 31
	v_and_b32_e32 v1, 0x3ff, v0
	s_lshl_b64 s[2:3], s[4:5], 3
	v_bfe_u32 v2, v0, 10, 10
	v_mbcnt_lo_u32_b32 v4, -1, 0
	v_bfe_u32 v3, v0, 20, 10
	v_mov_b32_e32 v0, 0
	v_lshrrev_b32_e32 v5, 4, v1
	v_sub_co_u32 v40, s9, v1, s31
	v_xor_b32_e32 v6, 8, v4
	v_xor_b32_e32 v7, 4, v4
	;; [unrolled: 1-line block ×3, first 2 shown]
	v_sub_co_ci_u32_e64 v41, null, 0, 0, s9
	s_waitcnt lgkmcnt(0)
	s_lshr_b32 s8, s0, 16
	s_add_u32 s4, s26, s2
	s_addc_u32 s5, s27, s3
	s_mul_i32 s8, s8, s1
	s_load_b64 s[4:5], s[4:5], 0x0
	v_mul_lo_u32 v19, s8, v1
	v_mul_u32_u24_e32 v2, s1, v2
	v_cmp_gt_i32_e32 vcc_lo, 32, v6
	v_add_co_u32 v16, s1, s6, v5
	s_delay_alu instid0(VALU_DEP_1) | instskip(SKIP_3) | instid1(VALU_DEP_4)
	v_add_co_ci_u32_e64 v17, null, s7, 0, s1
	v_cndmask_b32_e32 v5, v4, v6, vcc_lo
	v_add3_u32 v2, v19, v2, v3
	v_xor_b32_e32 v3, 1, v4
	v_cmp_gt_i64_e32 vcc_lo, s[34:35], v[16:17]
	v_lshrrev_b32_e32 v6, 3, v1
	v_dual_mov_b32 v51, 0x800 :: v_dual_lshlrev_b32 v42, 2, v5
	v_lshl_add_u32 v43, v2, 4, 0x8808
	v_cmp_eq_u32_e64 s0, 0, v1
	s_delay_alu instid0(VALU_DEP_4)
	v_dual_mov_b32 v50, 1 :: v_dual_and_b32 v47, 60, v6
	v_cmp_gt_u32_e64 s6, 0x80, v1
	s_waitcnt lgkmcnt(0)
	s_sub_u32 s18, s4, s30
	s_subb_u32 s19, s5, 0
	s_add_u32 s26, s20, s2
	v_cmp_gt_i32_e64 s2, 32, v7
	v_and_b32_e32 v39, 15, v1
	s_addc_u32 s27, s21, s3
	v_cmp_gt_u32_e64 s3, 32, v1
	v_cmp_gt_u32_e64 s4, 64, v1
	v_cndmask_b32_e64 v2, v4, v7, s2
	v_cmp_gt_i32_e64 s2, 32, v18
	v_cmp_gt_u32_e64 s5, 0x60, v1
	v_cmp_gt_u32_e64 s7, 0xa0, v1
	;; [unrolled: 1-line block ×3, first 2 shown]
	v_lshlrev_b32_e32 v44, 2, v2
	v_cndmask_b32_e64 v5, v4, v18, s2
	v_cmp_gt_i32_e64 s2, 32, v3
	v_cmp_gt_u32_e64 s9, 0xe0, v1
	v_cmp_gt_u32_e64 s10, 0x100, v1
	;; [unrolled: 1-line block ×3, first 2 shown]
	v_dual_mov_b32 v2, v0 :: v_dual_lshlrev_b32 v45, 2, v5
	v_cndmask_b32_e64 v3, v4, v3, s2
	v_xor_b32_e32 v4, 63, v4
	v_cmp_eq_u32_e64 s2, 0x1ff, v1
	v_cmp_gt_u32_e64 s12, 0x140, v1
	v_cmp_gt_u32_e64 s13, 0x160, v1
	v_lshlrev_b32_e32 v46, 2, v3
	v_lshrrev_b64 v[18:19], v4, -1
	v_mov_b32_e32 v20, s19
	v_cmp_eq_u32_e64 s1, 15, v39
	v_cmp_gt_u32_e64 s14, 0x180, v1
	v_cmp_gt_u32_e64 s15, 0x1a0, v1
	;; [unrolled: 1-line block ×4, first 2 shown]
	v_or_b32_e32 v48, 0xfffffe00, v1
	v_dual_mov_b32 v52, v0 :: v_dual_lshlrev_b32 v49, 4, v1
	v_mov_b32_e32 v19, s18
	v_mov_b32_e32 v1, v0
	;; [unrolled: 1-line block ×3, first 2 shown]
	s_and_b32 s30, s53, vcc_lo
	s_add_u32 s53, s40, 8
	s_mov_b32 s51, s29
	s_mov_b32 s52, s31
	s_addc_u32 s54, s41, 0
	s_branch .LBB238_13
.LBB238_12:                             ;   in Loop: Header=BB238_13 Depth=1
	s_or_b32 exec_lo, exec_lo, s19
	ds_load_b32 v52, v0 offset:34816
	s_waitcnt lgkmcnt(0)
	s_barrier
	buffer_gl0_inv
	v_cmp_le_i32_e32 vcc_lo, s50, v52
	v_add_nc_u32_e32 v51, 0x800, v52
	s_cbranch_vccnz .LBB238_72
.LBB238_13:                             ; =>This Loop Header: Depth=1
                                        ;     Child Loop BB238_14 Depth 2
                                        ;     Child Loop BB238_20 Depth 2
                                        ;       Child Loop BB238_26 Depth 3
                                        ;         Child Loop BB238_30 Depth 4
                                        ;         Child Loop BB238_32 Depth 4
                                        ;     Child Loop BB238_47 Depth 2
                                        ;       Child Loop BB238_51 Depth 3
                                        ;       Child Loop BB238_53 Depth 3
                                        ;     Child Loop BB238_63 Depth 2
                                        ;     Child Loop BB238_68 Depth 2
	v_dual_mov_b32 v4, v49 :: v_dual_mov_b32 v5, v48
	s_mov_b32 s18, 0
.LBB238_14:                             ;   Parent Loop BB238_13 Depth=1
                                        ; =>  This Inner Loop Header: Depth=2
	ds_store_b8 v5, v0 offset:33280
	v_add_nc_u32_e32 v5, 0x200, v5
	ds_store_b128 v4, v[0:3]
	v_add_nc_u32_e32 v4, 0x2000, v4
	v_cmp_lt_u32_e32 vcc_lo, 0x5ff, v5
	s_or_b32 s18, vcc_lo, s18
	s_delay_alu instid0(SALU_CYCLE_1)
	s_and_not1_b32 exec_lo, exec_lo, s18
	s_cbranch_execnz .LBB238_14
; %bb.15:                               ;   in Loop: Header=BB238_13 Depth=1
	s_or_b32 exec_lo, exec_lo, s18
	s_and_saveexec_b32 s18, s0
	s_cbranch_execz .LBB238_17
; %bb.16:                               ;   in Loop: Header=BB238_13 Depth=1
	v_mov_b32_e32 v4, s50
	ds_store_b32 v0, v4 offset:34816
.LBB238_17:                             ;   in Loop: Header=BB238_13 Depth=1
	s_or_b32 exec_lo, exec_lo, s18
	v_mov_b32_e32 v53, s50
	s_waitcnt vmcnt(0) lgkmcnt(0)
	s_waitcnt_vscnt null, 0x0
	s_barrier
	buffer_gl0_inv
	s_and_saveexec_b32 s21, s30
	s_cbranch_execz .LBB238_43
; %bb.18:                               ;   in Loop: Header=BB238_13 Depth=1
	v_dual_mov_b32 v53, s50 :: v_dual_mov_b32 v22, v17
	v_cmp_ne_u32_e64 s18, 0, v52
	v_mov_b32_e32 v21, v16
	s_mov_b32 s55, 0
	s_branch .LBB238_20
.LBB238_19:                             ;   in Loop: Header=BB238_20 Depth=2
	s_or_b32 exec_lo, exec_lo, s20
	v_add_co_u32 v21, vcc_lo, v21, 32
	v_add_co_ci_u32_e32 v22, vcc_lo, 0, v22, vcc_lo
	s_delay_alu instid0(VALU_DEP_1) | instskip(SKIP_1) | instid1(SALU_CYCLE_1)
	v_cmp_le_i64_e32 vcc_lo, s[34:35], v[21:22]
	s_or_b32 s55, vcc_lo, s55
	s_and_not1_b32 exec_lo, exec_lo, s55
	s_cbranch_execz .LBB238_42
.LBB238_20:                             ;   Parent Loop BB238_13 Depth=1
                                        ; =>  This Loop Header: Depth=2
                                        ;       Child Loop BB238_26 Depth 3
                                        ;         Child Loop BB238_30 Depth 4
                                        ;         Child Loop BB238_32 Depth 4
	s_delay_alu instid0(VALU_DEP_1) | instskip(SKIP_2) | instid1(VALU_DEP_2)
	v_lshlrev_b64 v[4:5], 2, v[21:22]
	s_waitcnt lgkmcnt(0)
	v_lshlrev_b64 v[6:7], 4, v[21:22]
	v_add_co_u32 v4, vcc_lo, s36, v4
	s_delay_alu instid0(VALU_DEP_3)
	v_add_co_ci_u32_e32 v5, vcc_lo, s37, v5, vcc_lo
	global_load_b32 v23, v[4:5], off
	v_add_co_u32 v4, vcc_lo, s38, v6
	v_add_co_ci_u32_e32 v5, vcc_lo, s39, v7, vcc_lo
	s_and_b32 vcc_lo, exec_lo, s18
	global_load_b128 v[4:7], v[4:5], off
	s_waitcnt vmcnt(1)
	v_subrev_nc_u32_e32 v25, s28, v23
	v_lshlrev_b64 v[23:24], 3, v[21:22]
	s_delay_alu instid0(VALU_DEP_2)
	v_ashrrev_i32_e32 v26, 31, v25
	s_cbranch_vccz .LBB238_41
; %bb.21:                               ;   in Loop: Header=BB238_20 Depth=2
	s_delay_alu instid0(VALU_DEP_2) | instskip(NEXT) | instid1(VALU_DEP_3)
	v_add_co_u32 v27, vcc_lo, s46, v23
	v_add_co_ci_u32_e32 v28, vcc_lo, s47, v24, vcc_lo
	global_load_b64 v[29:30], v[27:28], off
	s_cbranch_execnz .LBB238_23
.LBB238_22:                             ;   in Loop: Header=BB238_20 Depth=2
	s_delay_alu instid0(VALU_DEP_1) | instskip(NEXT) | instid1(VALU_DEP_1)
	v_lshlrev_b64 v[27:28], 3, v[25:26]
	v_add_co_u32 v27, vcc_lo, s40, v27
	s_delay_alu instid0(VALU_DEP_2)
	v_add_co_ci_u32_e32 v28, vcc_lo, s41, v28, vcc_lo
	global_load_b64 v[27:28], v[27:28], off
	s_waitcnt vmcnt(0)
	v_sub_co_u32 v29, vcc_lo, v27, s51
	v_subrev_co_ci_u32_e32 v30, vcc_lo, 0, v28, vcc_lo
.LBB238_23:                             ;   in Loop: Header=BB238_20 Depth=2
	v_lshlrev_b64 v[25:26], 3, v[25:26]
	s_mov_b32 s56, exec_lo
	s_delay_alu instid0(VALU_DEP_1) | instskip(NEXT) | instid1(VALU_DEP_2)
	v_add_co_u32 v25, vcc_lo, s53, v25
	v_add_co_ci_u32_e32 v26, vcc_lo, s54, v26, vcc_lo
	global_load_b64 v[25:26], v[25:26], off
	s_waitcnt vmcnt(0)
	v_sub_co_u32 v27, vcc_lo, v25, s51
	v_subrev_co_ci_u32_e32 v28, vcc_lo, 0, v26, vcc_lo
	v_add_co_u32 v25, vcc_lo, v29, v39
	v_add_co_ci_u32_e32 v26, vcc_lo, 0, v30, vcc_lo
	s_delay_alu instid0(VALU_DEP_1)
	v_cmpx_lt_i64_e64 v[25:26], v[27:28]
	s_cbranch_execz .LBB238_39
; %bb.24:                               ;   in Loop: Header=BB238_20 Depth=2
	v_mul_f64 v[29:30], v[6:7], -v[12:13]
	v_mul_f64 v[6:7], v[10:11], v[6:7]
	v_dual_mov_b32 v34, v26 :: v_dual_mov_b32 v33, v25
	s_mov_b32 s58, 0
                                        ; implicit-def: $sgpr57
                                        ; implicit-def: $sgpr59
	s_delay_alu instid0(VALU_DEP_3) | instskip(NEXT) | instid1(VALU_DEP_3)
	v_fma_f64 v[29:30], v[10:11], v[4:5], v[29:30]
	v_fma_f64 v[31:32], v[12:13], v[4:5], v[6:7]
	s_branch .LBB238_26
.LBB238_25:                             ;   in Loop: Header=BB238_26 Depth=3
	s_or_b32 exec_lo, exec_lo, s20
	s_delay_alu instid0(SALU_CYCLE_1) | instskip(SKIP_4) | instid1(SALU_CYCLE_1)
	s_and_b32 s19, exec_lo, s60
	v_dual_mov_b32 v34, v7 :: v_dual_mov_b32 v33, v6
	s_or_b32 s58, s19, s58
	s_and_not1_b32 s19, s57, exec_lo
	s_and_b32 s20, s59, exec_lo
	s_or_b32 s57, s19, s20
	s_and_not1_b32 exec_lo, exec_lo, s58
	s_cbranch_execz .LBB238_36
.LBB238_26:                             ;   Parent Loop BB238_13 Depth=1
                                        ;     Parent Loop BB238_20 Depth=2
                                        ; =>    This Loop Header: Depth=3
                                        ;         Child Loop BB238_30 Depth 4
                                        ;         Child Loop BB238_32 Depth 4
	v_lshlrev_b64 v[4:5], 2, v[33:34]
	s_delay_alu instid0(VALU_DEP_1) | instskip(NEXT) | instid1(VALU_DEP_2)
	v_add_co_u32 v4, vcc_lo, s42, v4
	v_add_co_ci_u32_e32 v5, vcc_lo, s43, v5, vcc_lo
	global_load_b32 v4, v[4:5], off
	s_waitcnt vmcnt(0)
	v_subrev_nc_u32_e32 v54, s29, v4
	s_delay_alu instid0(VALU_DEP_1) | instskip(SKIP_2) | instid1(VALU_DEP_2)
	v_cmp_lt_i32_e64 s19, v54, v52
	v_cmp_ge_i32_e64 s20, v54, v51
	v_cmp_lt_i32_e32 vcc_lo, v54, v51
	s_or_b32 s60, s19, s20
	s_mov_b32 s19, 0
                                        ; implicit-def: $sgpr20
	s_and_saveexec_b32 s61, s60
	s_delay_alu instid0(SALU_CYCLE_1)
	s_xor_b32 s60, exec_lo, s61
; %bb.27:                               ;   in Loop: Header=BB238_26 Depth=3
	s_mov_b32 s20, -1
	s_and_b32 s19, vcc_lo, exec_lo
; %bb.28:                               ;   in Loop: Header=BB238_26 Depth=3
	s_and_not1_saveexec_b32 s60, s60
	s_cbranch_execz .LBB238_34
; %bb.29:                               ;   in Loop: Header=BB238_26 Depth=3
	v_lshlrev_b64 v[4:5], 4, v[33:34]
	v_sub_nc_u32_e32 v37, v54, v52
	s_mov_b32 s61, 0
	s_delay_alu instid0(VALU_DEP_1) | instskip(NEXT) | instid1(VALU_DEP_3)
	v_lshlrev_b32_e32 v55, 4, v37
	v_add_co_u32 v4, vcc_lo, s48, v4
	s_delay_alu instid0(VALU_DEP_4)
	v_add_co_ci_u32_e32 v5, vcc_lo, s49, v5, vcc_lo
	ds_store_b8 v37, v50 offset:32768
	ds_load_b64 v[37:38], v55
	global_load_b128 v[4:7], v[4:5], off
	s_waitcnt vmcnt(0)
	v_mul_f64 v[35:36], v[6:7], -v[31:32]
	s_delay_alu instid0(VALU_DEP_1)
	v_fma_f64 v[35:36], v[29:30], v[4:5], v[35:36]
.LBB238_30:                             ;   Parent Loop BB238_13 Depth=1
                                        ;     Parent Loop BB238_20 Depth=2
                                        ;       Parent Loop BB238_26 Depth=3
                                        ; =>      This Inner Loop Header: Depth=4
	s_waitcnt lgkmcnt(0)
	s_delay_alu instid0(VALU_DEP_1)
	v_add_f64 v[56:57], v[37:38], v[35:36]
	ds_cmpstore_rtn_b64 v[56:57], v55, v[56:57], v[37:38]
	s_waitcnt lgkmcnt(0)
	v_cmp_eq_u64_e32 vcc_lo, v[56:57], v[37:38]
	v_dual_mov_b32 v37, v56 :: v_dual_mov_b32 v38, v57
	s_or_b32 s61, vcc_lo, s61
	s_delay_alu instid0(SALU_CYCLE_1)
	s_and_not1_b32 exec_lo, exec_lo, s61
	s_cbranch_execnz .LBB238_30
; %bb.31:                               ;   in Loop: Header=BB238_26 Depth=3
	s_or_b32 exec_lo, exec_lo, s61
	v_mul_f64 v[6:7], v[29:30], v[6:7]
	s_mov_b32 s61, 0
	s_delay_alu instid0(VALU_DEP_1)
	v_fma_f64 v[4:5], v[31:32], v[4:5], v[6:7]
	ds_load_b64 v[6:7], v55 offset:8
.LBB238_32:                             ;   Parent Loop BB238_13 Depth=1
                                        ;     Parent Loop BB238_20 Depth=2
                                        ;       Parent Loop BB238_26 Depth=3
                                        ; =>      This Inner Loop Header: Depth=4
	s_waitcnt lgkmcnt(0)
	v_add_f64 v[35:36], v[6:7], v[4:5]
	ds_cmpstore_rtn_b64 v[35:36], v55, v[35:36], v[6:7] offset:8
	s_waitcnt lgkmcnt(0)
	v_cmp_eq_u64_e32 vcc_lo, v[35:36], v[6:7]
	v_dual_mov_b32 v6, v35 :: v_dual_mov_b32 v7, v36
	s_or_b32 s61, vcc_lo, s61
	s_delay_alu instid0(SALU_CYCLE_1)
	s_and_not1_b32 exec_lo, exec_lo, s61
	s_cbranch_execnz .LBB238_32
; %bb.33:                               ;   in Loop: Header=BB238_26 Depth=3
	s_or_b32 exec_lo, exec_lo, s61
	s_delay_alu instid0(SALU_CYCLE_1)
	s_or_b32 s19, s19, exec_lo
.LBB238_34:                             ;   in Loop: Header=BB238_26 Depth=3
	s_or_b32 exec_lo, exec_lo, s60
	v_dual_mov_b32 v4, v33 :: v_dual_mov_b32 v5, v34
	s_and_not1_b32 s59, s59, exec_lo
	s_and_b32 s20, s20, exec_lo
	s_mov_b32 s60, -1
	s_or_b32 s59, s59, s20
                                        ; implicit-def: $vgpr6_vgpr7
	s_and_saveexec_b32 s20, s19
	s_cbranch_execz .LBB238_25
; %bb.35:                               ;   in Loop: Header=BB238_26 Depth=3
	v_add_co_u32 v6, vcc_lo, v33, 16
	v_add_co_ci_u32_e32 v7, vcc_lo, 0, v34, vcc_lo
	v_dual_mov_b32 v4, v33 :: v_dual_mov_b32 v5, v34
	s_and_not1_b32 s59, s59, exec_lo
	s_delay_alu instid0(VALU_DEP_2)
	v_cmp_ge_i64_e32 vcc_lo, v[6:7], v[27:28]
	s_or_not1_b32 s60, vcc_lo, exec_lo
	s_branch .LBB238_25
.LBB238_36:                             ;   in Loop: Header=BB238_20 Depth=2
	s_or_b32 exec_lo, exec_lo, s58
	s_and_saveexec_b32 s19, s57
	s_delay_alu instid0(SALU_CYCLE_1)
	s_xor_b32 s19, exec_lo, s19
; %bb.37:                               ;   in Loop: Header=BB238_20 Depth=2
	v_min_i32_e32 v53, v54, v53
	v_dual_mov_b32 v26, v5 :: v_dual_mov_b32 v25, v4
; %bb.38:                               ;   in Loop: Header=BB238_20 Depth=2
	s_or_b32 exec_lo, exec_lo, s19
.LBB238_39:                             ;   in Loop: Header=BB238_20 Depth=2
	s_delay_alu instid0(SALU_CYCLE_1)
	s_or_b32 exec_lo, exec_lo, s56
	ds_bpermute_b32 v4, v42, v25
	ds_bpermute_b32 v5, v42, v26
	s_waitcnt lgkmcnt(0)
	v_cmp_lt_i64_e32 vcc_lo, v[4:5], v[25:26]
	v_dual_cndmask_b32 v5, v26, v5 :: v_dual_cndmask_b32 v4, v25, v4
	ds_bpermute_b32 v7, v44, v5
	ds_bpermute_b32 v6, v44, v4
	s_waitcnt lgkmcnt(0)
	v_cmp_lt_i64_e32 vcc_lo, v[6:7], v[4:5]
	v_dual_cndmask_b32 v5, v5, v7 :: v_dual_cndmask_b32 v4, v4, v6
	ds_bpermute_b32 v7, v45, v5
	ds_bpermute_b32 v6, v45, v4
	s_waitcnt lgkmcnt(0)
	v_cmp_lt_i64_e32 vcc_lo, v[6:7], v[4:5]
	v_dual_cndmask_b32 v5, v5, v7 :: v_dual_cndmask_b32 v4, v4, v6
	ds_bpermute_b32 v7, v46, v5
	ds_bpermute_b32 v6, v46, v4
	s_and_saveexec_b32 s20, s1
	s_cbranch_execz .LBB238_19
; %bb.40:                               ;   in Loop: Header=BB238_20 Depth=2
	s_waitcnt lgkmcnt(0)
	v_cmp_lt_i64_e32 vcc_lo, v[6:7], v[4:5]
	v_add_co_u32 v23, s19, s46, v23
	s_delay_alu instid0(VALU_DEP_1)
	v_add_co_ci_u32_e64 v24, s19, s47, v24, s19
	v_dual_cndmask_b32 v5, v5, v7 :: v_dual_cndmask_b32 v4, v4, v6
	global_store_b64 v[23:24], v[4:5], off
	s_branch .LBB238_19
.LBB238_41:                             ;   in Loop: Header=BB238_20 Depth=2
                                        ; implicit-def: $vgpr29_vgpr30
	s_branch .LBB238_22
.LBB238_42:                             ;   in Loop: Header=BB238_13 Depth=1
	s_or_b32 exec_lo, exec_lo, s55
.LBB238_43:                             ;   in Loop: Header=BB238_13 Depth=1
	s_delay_alu instid0(SALU_CYCLE_1) | instskip(NEXT) | instid1(SALU_CYCLE_1)
	s_or_b32 exec_lo, exec_lo, s21
	s_and_not1_b32 vcc_lo, exec_lo, s33
	s_cbranch_vccnz .LBB238_61
; %bb.44:                               ;   in Loop: Header=BB238_13 Depth=1
	s_load_b128 s[56:59], s[26:27], 0x0
	s_mov_b32 s55, exec_lo
	s_waitcnt lgkmcnt(0)
	v_add_co_u32 v21, vcc_lo, s56, v40
	v_add_co_ci_u32_e32 v22, vcc_lo, s57, v41, vcc_lo
	s_sub_u32 s20, s58, s52
	s_subb_u32 s21, s59, 0
	s_delay_alu instid0(VALU_DEP_1) | instid1(SALU_CYCLE_1)
	v_cmpx_gt_i64_e64 s[20:21], v[21:22]
	s_cbranch_execz .LBB238_60
; %bb.45:                               ;   in Loop: Header=BB238_13 Depth=1
	s_mov_b32 s56, 0
                                        ; implicit-def: $sgpr57
                                        ; implicit-def: $sgpr58
	s_branch .LBB238_47
.LBB238_46:                             ;   in Loop: Header=BB238_47 Depth=2
	s_or_b32 exec_lo, exec_lo, s59
	s_delay_alu instid0(SALU_CYCLE_1) | instskip(NEXT) | instid1(SALU_CYCLE_1)
	s_and_b32 s18, exec_lo, s19
	s_or_b32 s56, s18, s56
	s_and_not1_b32 s18, s57, exec_lo
	s_and_b32 s19, s58, exec_lo
	s_delay_alu instid0(SALU_CYCLE_1)
	s_or_b32 s57, s18, s19
	s_and_not1_b32 exec_lo, exec_lo, s56
	s_cbranch_execz .LBB238_57
.LBB238_47:                             ;   Parent Loop BB238_13 Depth=1
                                        ; =>  This Loop Header: Depth=2
                                        ;       Child Loop BB238_51 Depth 3
                                        ;       Child Loop BB238_53 Depth 3
	v_lshlrev_b64 v[4:5], 2, v[21:22]
	s_delay_alu instid0(VALU_DEP_1) | instskip(NEXT) | instid1(VALU_DEP_2)
	v_add_co_u32 v4, vcc_lo, s22, v4
	v_add_co_ci_u32_e32 v5, vcc_lo, s23, v5, vcc_lo
	global_load_b32 v4, v[4:5], off
	s_waitcnt vmcnt(0)
	v_subrev_nc_u32_e32 v27, s31, v4
	s_delay_alu instid0(VALU_DEP_1) | instskip(SKIP_2) | instid1(VALU_DEP_2)
	v_cmp_lt_i32_e64 s18, v27, v52
	v_cmp_ge_i32_e64 s19, v27, v51
	v_cmp_lt_i32_e32 vcc_lo, v27, v51
	s_or_b32 s59, s18, s19
	s_mov_b32 s18, 0
                                        ; implicit-def: $sgpr19
	s_and_saveexec_b32 s60, s59
	s_delay_alu instid0(SALU_CYCLE_1)
	s_xor_b32 s59, exec_lo, s60
; %bb.48:                               ;   in Loop: Header=BB238_47 Depth=2
	s_mov_b32 s19, -1
	s_and_b32 s18, vcc_lo, exec_lo
; %bb.49:                               ;   in Loop: Header=BB238_47 Depth=2
	s_and_not1_saveexec_b32 s59, s59
	s_cbranch_execz .LBB238_55
; %bb.50:                               ;   in Loop: Header=BB238_47 Depth=2
	v_lshlrev_b64 v[4:5], 4, v[21:22]
	v_sub_nc_u32_e32 v25, v27, v52
	s_mov_b32 s60, 0
	s_delay_alu instid0(VALU_DEP_1) | instskip(NEXT) | instid1(VALU_DEP_3)
	v_lshlrev_b32_e32 v28, 4, v25
	v_add_co_u32 v4, vcc_lo, s24, v4
	s_delay_alu instid0(VALU_DEP_4)
	v_add_co_ci_u32_e32 v5, vcc_lo, s25, v5, vcc_lo
	ds_store_b8 v25, v50 offset:32768
	ds_load_b64 v[25:26], v28
	global_load_b128 v[4:7], v[4:5], off
	s_waitcnt vmcnt(0)
	v_mul_f64 v[23:24], v[6:7], -v[8:9]
	s_delay_alu instid0(VALU_DEP_1)
	v_fma_f64 v[23:24], v[14:15], v[4:5], v[23:24]
.LBB238_51:                             ;   Parent Loop BB238_13 Depth=1
                                        ;     Parent Loop BB238_47 Depth=2
                                        ; =>    This Inner Loop Header: Depth=3
	s_waitcnt lgkmcnt(0)
	s_delay_alu instid0(VALU_DEP_1)
	v_add_f64 v[29:30], v[25:26], v[23:24]
	ds_cmpstore_rtn_b64 v[29:30], v28, v[29:30], v[25:26]
	s_waitcnt lgkmcnt(0)
	v_cmp_eq_u64_e32 vcc_lo, v[29:30], v[25:26]
	v_dual_mov_b32 v25, v29 :: v_dual_mov_b32 v26, v30
	s_or_b32 s60, vcc_lo, s60
	s_delay_alu instid0(SALU_CYCLE_1)
	s_and_not1_b32 exec_lo, exec_lo, s60
	s_cbranch_execnz .LBB238_51
; %bb.52:                               ;   in Loop: Header=BB238_47 Depth=2
	s_or_b32 exec_lo, exec_lo, s60
	v_mul_f64 v[6:7], v[14:15], v[6:7]
	s_mov_b32 s60, 0
	s_delay_alu instid0(VALU_DEP_1)
	v_fma_f64 v[4:5], v[8:9], v[4:5], v[6:7]
	ds_load_b64 v[6:7], v28 offset:8
.LBB238_53:                             ;   Parent Loop BB238_13 Depth=1
                                        ;     Parent Loop BB238_47 Depth=2
                                        ; =>    This Inner Loop Header: Depth=3
	s_waitcnt lgkmcnt(0)
	v_add_f64 v[23:24], v[6:7], v[4:5]
	ds_cmpstore_rtn_b64 v[23:24], v28, v[23:24], v[6:7] offset:8
	s_waitcnt lgkmcnt(0)
	v_cmp_eq_u64_e32 vcc_lo, v[23:24], v[6:7]
	v_dual_mov_b32 v6, v23 :: v_dual_mov_b32 v7, v24
	s_or_b32 s60, vcc_lo, s60
	s_delay_alu instid0(SALU_CYCLE_1)
	s_and_not1_b32 exec_lo, exec_lo, s60
	s_cbranch_execnz .LBB238_53
; %bb.54:                               ;   in Loop: Header=BB238_47 Depth=2
	s_or_b32 exec_lo, exec_lo, s60
	s_delay_alu instid0(SALU_CYCLE_1)
	s_or_b32 s18, s18, exec_lo
.LBB238_55:                             ;   in Loop: Header=BB238_47 Depth=2
	s_or_b32 exec_lo, exec_lo, s59
	s_delay_alu instid0(SALU_CYCLE_1)
	s_and_not1_b32 s58, s58, exec_lo
	s_and_b32 s59, s19, exec_lo
	s_mov_b32 s19, -1
	s_or_b32 s58, s58, s59
	s_and_saveexec_b32 s59, s18
	s_cbranch_execz .LBB238_46
; %bb.56:                               ;   in Loop: Header=BB238_47 Depth=2
	v_add_co_u32 v21, vcc_lo, 0x200, v21
	v_add_co_ci_u32_e32 v22, vcc_lo, 0, v22, vcc_lo
	s_and_not1_b32 s58, s58, exec_lo
	s_delay_alu instid0(VALU_DEP_1)
	v_cmp_le_i64_e32 vcc_lo, s[20:21], v[21:22]
	s_or_not1_b32 s19, vcc_lo, exec_lo
	s_branch .LBB238_46
.LBB238_57:                             ;   in Loop: Header=BB238_13 Depth=1
	s_or_b32 exec_lo, exec_lo, s56
	s_and_saveexec_b32 s18, s57
	s_delay_alu instid0(SALU_CYCLE_1)
	s_xor_b32 s18, exec_lo, s18
; %bb.58:                               ;   in Loop: Header=BB238_13 Depth=1
	v_min_i32_e32 v53, v27, v53
; %bb.59:                               ;   in Loop: Header=BB238_13 Depth=1
	s_or_b32 exec_lo, exec_lo, s18
.LBB238_60:                             ;   in Loop: Header=BB238_13 Depth=1
	s_delay_alu instid0(SALU_CYCLE_1)
	s_or_b32 exec_lo, exec_lo, s55
.LBB238_61:                             ;   in Loop: Header=BB238_13 Depth=1
	ds_bpermute_b32 v4, v42, v53
	s_waitcnt lgkmcnt(0)
	v_min_i32_e32 v4, v4, v53
	ds_bpermute_b32 v5, v44, v4
	s_waitcnt lgkmcnt(0)
	v_min_i32_e32 v4, v5, v4
	ds_bpermute_b32 v5, v45, v4
	s_waitcnt lgkmcnt(0)
	v_min_i32_e32 v4, v5, v4
	ds_bpermute_b32 v5, v46, v4
	s_and_saveexec_b32 s18, s1
	s_cbranch_execz .LBB238_66
; %bb.62:                               ;   in Loop: Header=BB238_13 Depth=1
	s_waitcnt lgkmcnt(0)
	v_min_i32_e32 v4, v5, v4
	s_mov_b32 s20, exec_lo
	s_brev_b32 s19, -2
.LBB238_63:                             ;   Parent Loop BB238_13 Depth=1
                                        ; =>  This Inner Loop Header: Depth=2
	s_ctz_i32_b32 s21, s20
	s_delay_alu instid0(VALU_DEP_1) | instid1(SALU_CYCLE_1)
	v_readlane_b32 s55, v4, s21
	s_lshl_b32 s21, 1, s21
	s_delay_alu instid0(SALU_CYCLE_1) | instskip(NEXT) | instid1(VALU_DEP_1)
	s_and_not1_b32 s20, s20, s21
	s_min_i32 s19, s19, s55
	s_cmp_lg_u32 s20, 0
	s_cbranch_scc1 .LBB238_63
; %bb.64:                               ;   in Loop: Header=BB238_13 Depth=1
	v_mbcnt_lo_u32_b32 v4, exec_lo, 0
	s_mov_b32 s20, exec_lo
	s_delay_alu instid0(VALU_DEP_1)
	v_cmpx_eq_u32_e32 0, v4
	s_xor_b32 s20, exec_lo, s20
	s_cbranch_execz .LBB238_66
; %bb.65:                               ;   in Loop: Header=BB238_13 Depth=1
	v_mov_b32_e32 v4, s19
	ds_min_i32 v0, v4 offset:34816
.LBB238_66:                             ;   in Loop: Header=BB238_13 Depth=1
	s_or_b32 exec_lo, exec_lo, s18
	v_dual_mov_b32 v6, v49 :: v_dual_mov_b32 v7, v48
	s_mov_b32 s19, 0
	s_waitcnt lgkmcnt(0)
	s_waitcnt_vscnt null, 0x0
	s_barrier
	buffer_gl0_inv
	s_branch .LBB238_68
.LBB238_67:                             ;   in Loop: Header=BB238_68 Depth=2
	s_or_b32 exec_lo, exec_lo, s18
	s_waitcnt lgkmcnt(0)
	s_waitcnt_vscnt null, 0x0
	s_barrier
	buffer_gl0_inv
	ds_load_b32 v4, v0 offset:60
	v_add_nc_u32_e32 v7, 0x200, v7
	v_add_nc_u32_e32 v6, 0x2000, v6
	s_delay_alu instid0(VALU_DEP_2) | instskip(SKIP_4) | instid1(VALU_DEP_1)
	v_cmp_lt_u32_e32 vcc_lo, 0x5ff, v7
	s_or_b32 s19, vcc_lo, s19
	s_waitcnt lgkmcnt(0)
	v_ashrrev_i32_e32 v5, 31, v4
	v_add_co_u32 v19, s18, v19, v4
	v_add_co_ci_u32_e64 v20, s18, v20, v5, s18
	s_and_not1_b32 exec_lo, exec_lo, s19
	s_cbranch_execz .LBB238_12
.LBB238_68:                             ;   Parent Loop BB238_13 Depth=1
                                        ; =>  This Inner Loop Header: Depth=2
	ds_load_u8 v4, v7 offset:33280
	ds_load_2addr_b64 v[21:24], v6 offset1:1
	s_waitcnt lgkmcnt(1)
	v_cmp_ne_u16_e32 vcc_lo, 0, v4
	s_waitcnt lgkmcnt(0)
	ds_store_2addr_b64 v43, v[21:22], v[23:24] offset1:1
	s_waitcnt lgkmcnt(0)
	s_barrier
	buffer_gl0_inv
	s_bcnt1_i32_b32 s18, vcc_lo
	s_delay_alu instid0(SALU_CYCLE_1)
	v_mov_b32_e32 v5, s18
	s_mov_b32 s18, exec_lo
	ds_store_b32 v47, v5
	s_waitcnt lgkmcnt(0)
	s_barrier
	buffer_gl0_inv
	ds_load_b128 v[21:24], v0
	ds_load_b128 v[25:28], v0 offset:16
	v_and_b32_e32 v5, vcc_lo, v18
	ds_load_b128 v[29:32], v0 offset:32
	s_waitcnt lgkmcnt(2)
	v_cndmask_b32_e64 v21, v21, 0, s3
	v_cndmask_b32_e64 v33, v22, 0, s4
	v_cndmask_b32_e64 v34, v23, 0, s5
	v_cndmask_b32_e64 v24, v24, 0, s6
	s_waitcnt lgkmcnt(1)
	v_cndmask_b32_e64 v25, v25, 0, s7
	v_bcnt_u32_b32 v5, v5, v21
	ds_load_b96 v[21:23], v0 offset:48
	v_cndmask_b32_e64 v26, v26, 0, s8
	v_cndmask_b32_e64 v27, v27, 0, s9
	v_add3_u32 v5, v5, v33, v34
	s_delay_alu instid0(VALU_DEP_1) | instskip(SKIP_3) | instid1(VALU_DEP_3)
	v_add3_u32 v5, v5, v24, v25
	v_cndmask_b32_e64 v24, v28, 0, s10
	s_waitcnt lgkmcnt(1)
	v_cndmask_b32_e64 v25, v29, 0, s11
	v_add3_u32 v5, v5, v26, v27
	v_cndmask_b32_e64 v26, v30, 0, s12
	v_cndmask_b32_e64 v27, v31, 0, s13
	s_delay_alu instid0(VALU_DEP_3)
	v_add3_u32 v5, v5, v24, v25
	v_cndmask_b32_e64 v24, v32, 0, s14
	s_waitcnt lgkmcnt(0)
	v_cndmask_b32_e64 v21, v21, 0, s15
	v_cndmask_b32_e64 v22, v22, 0, s16
	;; [unrolled: 1-line block ×3, first 2 shown]
	v_add3_u32 v5, v5, v26, v27
	s_delay_alu instid0(VALU_DEP_1) | instskip(SKIP_1) | instid1(VALU_DEP_2)
	v_add3_u32 v5, v5, v24, v21
	v_and_b32_e32 v21, 1, v4
	v_add3_u32 v4, v5, v22, v23
	s_delay_alu instid0(VALU_DEP_2)
	v_cmpx_eq_u32_e32 1, v21
	s_cbranch_execz .LBB238_70
; %bb.69:                               ;   in Loop: Header=BB238_68 Depth=2
	ds_load_2addr_b64 v[21:24], v43 offset1:1
	v_ashrrev_i32_e32 v5, 31, v4
	v_lshlrev_b64 v[25:26], 4, v[19:20]
	s_delay_alu instid0(VALU_DEP_2) | instskip(NEXT) | instid1(VALU_DEP_2)
	v_lshlrev_b64 v[27:28], 4, v[4:5]
	v_add_co_u32 v5, vcc_lo, s44, v25
	s_delay_alu instid0(VALU_DEP_3) | instskip(NEXT) | instid1(VALU_DEP_2)
	v_add_co_ci_u32_e32 v26, vcc_lo, s45, v26, vcc_lo
	v_add_co_u32 v25, vcc_lo, v5, v27
	s_delay_alu instid0(VALU_DEP_2)
	v_add_co_ci_u32_e32 v26, vcc_lo, v26, v28, vcc_lo
	s_waitcnt lgkmcnt(0)
	global_store_b128 v[25:26], v[21:24], off offset:-16
.LBB238_70:                             ;   in Loop: Header=BB238_68 Depth=2
	s_or_b32 exec_lo, exec_lo, s18
	s_and_saveexec_b32 s18, s2
	s_cbranch_execz .LBB238_67
; %bb.71:                               ;   in Loop: Header=BB238_68 Depth=2
	ds_store_b32 v0, v4 offset:60
	s_branch .LBB238_67
.LBB238_72:
	s_endpgm
	.section	.rodata,"a",@progbits
	.p2align	6, 0x0
	.amdhsa_kernel _ZN9rocsparseL51csrgemm_numeric_fill_block_per_row_multipass_kernelILj512ELj16ELj2048ELj32Eli21rocsparse_complex_numIdEEEvT4_PKS3_S5_NS_24const_host_device_scalarIT5_EEPKT3_S5_PKS7_SB_S5_SD_S8_SB_S5_SD_SB_S5_PS7_PS9_21rocsparse_index_base_SG_SG_SG_bbb
		.amdhsa_group_segment_fixed_size 43016
		.amdhsa_private_segment_fixed_size 24
		.amdhsa_kernarg_size 180
		.amdhsa_user_sgpr_count 15
		.amdhsa_user_sgpr_dispatch_ptr 1
		.amdhsa_user_sgpr_queue_ptr 0
		.amdhsa_user_sgpr_kernarg_segment_ptr 1
		.amdhsa_user_sgpr_dispatch_id 0
		.amdhsa_user_sgpr_private_segment_size 0
		.amdhsa_wavefront_size32 1
		.amdhsa_uses_dynamic_stack 0
		.amdhsa_enable_private_segment 1
		.amdhsa_system_sgpr_workgroup_id_x 1
		.amdhsa_system_sgpr_workgroup_id_y 0
		.amdhsa_system_sgpr_workgroup_id_z 0
		.amdhsa_system_sgpr_workgroup_info 0
		.amdhsa_system_vgpr_workitem_id 2
		.amdhsa_next_free_vgpr 58
		.amdhsa_next_free_sgpr 62
		.amdhsa_reserve_vcc 1
		.amdhsa_float_round_mode_32 0
		.amdhsa_float_round_mode_16_64 0
		.amdhsa_float_denorm_mode_32 3
		.amdhsa_float_denorm_mode_16_64 3
		.amdhsa_dx10_clamp 1
		.amdhsa_ieee_mode 1
		.amdhsa_fp16_overflow 0
		.amdhsa_workgroup_processor_mode 1
		.amdhsa_memory_ordered 1
		.amdhsa_forward_progress 0
		.amdhsa_shared_vgpr_count 0
		.amdhsa_exception_fp_ieee_invalid_op 0
		.amdhsa_exception_fp_denorm_src 0
		.amdhsa_exception_fp_ieee_div_zero 0
		.amdhsa_exception_fp_ieee_overflow 0
		.amdhsa_exception_fp_ieee_underflow 0
		.amdhsa_exception_fp_ieee_inexact 0
		.amdhsa_exception_int_div_zero 0
	.end_amdhsa_kernel
	.section	.text._ZN9rocsparseL51csrgemm_numeric_fill_block_per_row_multipass_kernelILj512ELj16ELj2048ELj32Eli21rocsparse_complex_numIdEEEvT4_PKS3_S5_NS_24const_host_device_scalarIT5_EEPKT3_S5_PKS7_SB_S5_SD_S8_SB_S5_SD_SB_S5_PS7_PS9_21rocsparse_index_base_SG_SG_SG_bbb,"axG",@progbits,_ZN9rocsparseL51csrgemm_numeric_fill_block_per_row_multipass_kernelILj512ELj16ELj2048ELj32Eli21rocsparse_complex_numIdEEEvT4_PKS3_S5_NS_24const_host_device_scalarIT5_EEPKT3_S5_PKS7_SB_S5_SD_S8_SB_S5_SD_SB_S5_PS7_PS9_21rocsparse_index_base_SG_SG_SG_bbb,comdat
.Lfunc_end238:
	.size	_ZN9rocsparseL51csrgemm_numeric_fill_block_per_row_multipass_kernelILj512ELj16ELj2048ELj32Eli21rocsparse_complex_numIdEEEvT4_PKS3_S5_NS_24const_host_device_scalarIT5_EEPKT3_S5_PKS7_SB_S5_SD_S8_SB_S5_SD_SB_S5_PS7_PS9_21rocsparse_index_base_SG_SG_SG_bbb, .Lfunc_end238-_ZN9rocsparseL51csrgemm_numeric_fill_block_per_row_multipass_kernelILj512ELj16ELj2048ELj32Eli21rocsparse_complex_numIdEEEvT4_PKS3_S5_NS_24const_host_device_scalarIT5_EEPKT3_S5_PKS7_SB_S5_SD_S8_SB_S5_SD_SB_S5_PS7_PS9_21rocsparse_index_base_SG_SG_SG_bbb
                                        ; -- End function
	.section	.AMDGPU.csdata,"",@progbits
; Kernel info:
; codeLenInByte = 3668
; NumSgprs: 64
; NumVgprs: 58
; ScratchSize: 24
; MemoryBound: 0
; FloatMode: 240
; IeeeMode: 1
; LDSByteSize: 43016 bytes/workgroup (compile time only)
; SGPRBlocks: 7
; VGPRBlocks: 7
; NumSGPRsForWavesPerEU: 64
; NumVGPRsForWavesPerEU: 58
; Occupancy: 12
; WaveLimiterHint : 1
; COMPUTE_PGM_RSRC2:SCRATCH_EN: 1
; COMPUTE_PGM_RSRC2:USER_SGPR: 15
; COMPUTE_PGM_RSRC2:TRAP_HANDLER: 0
; COMPUTE_PGM_RSRC2:TGID_X_EN: 1
; COMPUTE_PGM_RSRC2:TGID_Y_EN: 0
; COMPUTE_PGM_RSRC2:TGID_Z_EN: 0
; COMPUTE_PGM_RSRC2:TIDIG_COMP_CNT: 2
	.section	.text._ZN9rocsparseL51csrgemm_numeric_fill_block_per_row_multipass_kernelILj512ELj16ELj2048ELj64Eli21rocsparse_complex_numIdEEEvT4_PKS3_S5_NS_24const_host_device_scalarIT5_EEPKT3_S5_PKS7_SB_S5_SD_S8_SB_S5_SD_SB_S5_PS7_PS9_21rocsparse_index_base_SG_SG_SG_bbb,"axG",@progbits,_ZN9rocsparseL51csrgemm_numeric_fill_block_per_row_multipass_kernelILj512ELj16ELj2048ELj64Eli21rocsparse_complex_numIdEEEvT4_PKS3_S5_NS_24const_host_device_scalarIT5_EEPKT3_S5_PKS7_SB_S5_SD_S8_SB_S5_SD_SB_S5_PS7_PS9_21rocsparse_index_base_SG_SG_SG_bbb,comdat
	.globl	_ZN9rocsparseL51csrgemm_numeric_fill_block_per_row_multipass_kernelILj512ELj16ELj2048ELj64Eli21rocsparse_complex_numIdEEEvT4_PKS3_S5_NS_24const_host_device_scalarIT5_EEPKT3_S5_PKS7_SB_S5_SD_S8_SB_S5_SD_SB_S5_PS7_PS9_21rocsparse_index_base_SG_SG_SG_bbb ; -- Begin function _ZN9rocsparseL51csrgemm_numeric_fill_block_per_row_multipass_kernelILj512ELj16ELj2048ELj64Eli21rocsparse_complex_numIdEEEvT4_PKS3_S5_NS_24const_host_device_scalarIT5_EEPKT3_S5_PKS7_SB_S5_SD_S8_SB_S5_SD_SB_S5_PS7_PS9_21rocsparse_index_base_SG_SG_SG_bbb
	.p2align	8
	.type	_ZN9rocsparseL51csrgemm_numeric_fill_block_per_row_multipass_kernelILj512ELj16ELj2048ELj64Eli21rocsparse_complex_numIdEEEvT4_PKS3_S5_NS_24const_host_device_scalarIT5_EEPKT3_S5_PKS7_SB_S5_SD_S8_SB_S5_SD_SB_S5_PS7_PS9_21rocsparse_index_base_SG_SG_SG_bbb,@function
_ZN9rocsparseL51csrgemm_numeric_fill_block_per_row_multipass_kernelILj512ELj16ELj2048ELj64Eli21rocsparse_complex_numIdEEEvT4_PKS3_S5_NS_24const_host_device_scalarIT5_EEPKT3_S5_PKS7_SB_S5_SD_S8_SB_S5_SD_SB_S5_PS7_PS9_21rocsparse_index_base_SG_SG_SG_bbb: ; @_ZN9rocsparseL51csrgemm_numeric_fill_block_per_row_multipass_kernelILj512ELj16ELj2048ELj64Eli21rocsparse_complex_numIdEEEvT4_PKS3_S5_NS_24const_host_device_scalarIT5_EEPKT3_S5_PKS7_SB_S5_SD_S8_SB_S5_SD_SB_S5_PS7_PS9_21rocsparse_index_base_SG_SG_SG_bbb
; %bb.0:
	s_clause 0x3
	s_load_b32 s5, s[2:3], 0xb0
	s_load_b256 s[16:23], s[2:3], 0x8
	s_load_b128 s[8:11], s[2:3], 0x58
	s_load_b128 s[28:31], s[2:3], 0xa0
	v_mov_b32_e32 v8, 0
	v_mov_b32_e32 v9, 0
	s_waitcnt lgkmcnt(0)
	s_bitcmp1_b32 s5, 0
	v_dual_mov_b32 v1, s20 :: v_dual_mov_b32 v2, s21
	s_cselect_b32 s45, -1, 0
	s_bitcmp1_b32 s5, 16
	v_dual_mov_b32 v11, v9 :: v_dual_mov_b32 v10, v8
	s_cselect_b32 s4, -1, 0
	v_dual_mov_b32 v13, v9 :: v_dual_mov_b32 v12, v8
	v_dual_mov_b32 v3, s8 :: v_dual_mov_b32 v4, s9
	s_xor_b32 s14, s4, -1
	s_bitcmp0_b32 s5, 0
	s_clause 0x1
	scratch_store_b64 off, v[1:2], off
	scratch_store_b64 off, v[3:4], off offset:8
	s_cbranch_scc1 .LBB239_3
; %bb.1:
	s_mov_b64 s[6:7], src_private_base
	s_and_b32 s6, s4, exec_lo
	s_cselect_b32 s6, s7, s21
	s_delay_alu instid0(SALU_CYCLE_1) | instskip(SKIP_2) | instid1(VALU_DEP_2)
	v_dual_mov_b32 v1, 0 :: v_dual_mov_b32 v2, s6
	v_dual_mov_b32 v12, s22 :: v_dual_mov_b32 v13, s23
	s_and_not1_b32 vcc_lo, exec_lo, s14
	v_cndmask_b32_e64 v1, s20, v1, s4
	flat_load_b64 v[10:11], v[1:2]
	s_cbranch_vccnz .LBB239_3
; %bb.2:
	v_dual_mov_b32 v1, s20 :: v_dual_mov_b32 v2, s21
	flat_load_b64 v[12:13], v[1:2] offset:8
.LBB239_3:
	s_load_b64 s[12:13], s[2:3], 0x28
	s_bitcmp1_b32 s5, 8
	v_dual_mov_b32 v15, v9 :: v_dual_mov_b32 v14, v8
	s_cselect_b32 s33, -1, 0
	s_bfe_u32 s5, s5, 0x10008
	s_mov_b64 s[6:7], 0
	s_cmp_eq_u32 s5, 0
	s_cbranch_scc1 .LBB239_6
; %bb.4:
	s_mov_b64 s[20:21], src_private_base
	s_and_b32 s5, s4, exec_lo
	s_cselect_b32 s5, s21, s9
	s_delay_alu instid0(SALU_CYCLE_1) | instskip(SKIP_2) | instid1(VALU_DEP_2)
	v_dual_mov_b32 v1, 8 :: v_dual_mov_b32 v2, s5
	v_dual_mov_b32 v8, s10 :: v_dual_mov_b32 v9, s11
	s_and_not1_b32 vcc_lo, exec_lo, s14
	v_cndmask_b32_e64 v1, s8, v1, s4
	flat_load_b64 v[14:15], v[1:2]
	s_cbranch_vccnz .LBB239_6
; %bb.5:
	v_dual_mov_b32 v1, s8 :: v_dual_mov_b32 v2, s9
	flat_load_b64 v[8:9], v[1:2] offset:8
.LBB239_6:
	s_load_b32 s4, s[16:17], 0x0
	s_mov_b32 s5, 0
	s_waitcnt lgkmcnt(0)
	s_add_i32 s4, s4, s15
	s_delay_alu instid0(SALU_CYCLE_1) | instskip(NEXT) | instid1(SALU_CYCLE_1)
	s_lshl_b64 s[4:5], s[4:5], 2
	s_add_u32 s4, s18, s4
	s_addc_u32 s5, s19, s5
	s_and_not1_b32 vcc_lo, exec_lo, s45
	s_load_b32 s4, s[4:5], 0x0
	s_cbranch_vccz .LBB239_9
; %bb.7:
	s_and_not1_b32 vcc_lo, exec_lo, s45
	s_mov_b64 s[34:35], 0
	s_cbranch_vccz .LBB239_10
.LBB239_8:
	s_load_b32 s42, s[2:3], 0x0
	s_waitcnt lgkmcnt(0)
	s_cmp_lt_i32 s42, 1
	s_cbranch_scc0 .LBB239_11
	s_branch .LBB239_72
.LBB239_9:
	s_waitcnt lgkmcnt(0)
	s_ashr_i32 s5, s4, 31
	s_delay_alu instid0(SALU_CYCLE_1) | instskip(NEXT) | instid1(SALU_CYCLE_1)
	s_lshl_b64 s[6:7], s[4:5], 3
	s_add_u32 s6, s12, s6
	s_addc_u32 s7, s13, s7
	s_load_b64 s[6:7], s[6:7], 0x0
	s_waitcnt lgkmcnt(0)
	s_sub_u32 s6, s6, s28
	s_subb_u32 s7, s7, 0
	s_and_not1_b32 vcc_lo, exec_lo, s45
	s_mov_b64 s[34:35], 0
	s_cbranch_vccnz .LBB239_8
.LBB239_10:
	s_waitcnt lgkmcnt(0)
	s_ashr_i32 s5, s4, 31
	s_delay_alu instid0(SALU_CYCLE_1) | instskip(NEXT) | instid1(SALU_CYCLE_1)
	s_lshl_b64 s[8:9], s[4:5], 3
	s_add_u32 s8, s12, s8
	s_addc_u32 s9, s13, s9
	s_load_b64 s[8:9], s[8:9], 0x8
	s_waitcnt lgkmcnt(0)
	s_sub_u32 s34, s8, s28
	s_subb_u32 s35, s9, 0
	s_load_b32 s42, s[2:3], 0x0
	s_waitcnt lgkmcnt(0)
	s_cmp_lt_i32 s42, 1
	s_cbranch_scc1 .LBB239_72
.LBB239_11:
	s_load_b64 s[8:9], s[0:1], 0x4
	s_clause 0x3
	s_load_b256 s[12:19], s[2:3], 0x68
	s_load_b128 s[36:39], s[2:3], 0x90
	s_load_b64 s[40:41], s[2:3], 0x50
	s_load_b256 s[20:27], s[2:3], 0x30
	s_ashr_i32 s5, s4, 31
	v_and_b32_e32 v1, 0x3ff, v0
	s_lshl_b64 s[2:3], s[4:5], 3
	v_bfe_u32 v2, v0, 10, 10
	v_mbcnt_lo_u32_b32 v4, -1, 0
	v_bfe_u32 v3, v0, 20, 10
	v_mov_b32_e32 v0, 0
	v_lshrrev_b32_e32 v5, 4, v1
	v_cmp_eq_u32_e64 s0, 0, v1
	v_xor_b32_e32 v6, 8, v4
	v_xor_b32_e32 v18, 2, v4
	;; [unrolled: 1-line block ×4, first 2 shown]
	v_dual_mov_b32 v50, 1 :: v_dual_and_b32 v47, 28, v5
	s_waitcnt lgkmcnt(0)
	s_lshr_b32 s1, s8, 16
	s_add_u32 s4, s18, s2
	s_addc_u32 s5, s19, s3
	s_mul_i32 s1, s1, s9
	s_load_b64 s[4:5], s[4:5], 0x0
	v_mul_lo_u32 v19, s1, v1
	v_mul_u32_u24_e32 v2, s9, v2
	v_cmp_gt_i32_e32 vcc_lo, 32, v6
	v_add_co_u32 v16, s1, s6, v5
	s_delay_alu instid0(VALU_DEP_1)
	v_add_co_ci_u32_e64 v17, null, s7, 0, s1
	v_sub_co_u32 v40, s8, v1, s31
	v_add3_u32 v2, v19, v2, v3
	v_cndmask_b32_e32 v3, v4, v6, vcc_lo
	v_cmp_gt_i32_e32 vcc_lo, 32, v7
	v_and_b32_e32 v39, 15, v1
	v_sub_co_ci_u32_e64 v41, null, 0, 0, s8
	v_lshl_add_u32 v42, v2, 4, 0x8808
	v_cndmask_b32_e32 v6, v4, v7, vcc_lo
	v_cmp_gt_i64_e32 vcc_lo, s[34:35], v[16:17]
	v_cmp_eq_u32_e64 s1, 15, v39
	s_waitcnt lgkmcnt(0)
	s_sub_u32 s10, s4, s30
	s_subb_u32 s11, s5, 0
	s_add_u32 s18, s12, s2
	v_cmp_gt_i32_e64 s2, 32, v18
	s_addc_u32 s19, s13, s3
	v_dual_mov_b32 v51, 0x800 :: v_dual_lshlrev_b32 v44, 2, v6
	v_cmp_gt_u32_e64 s3, 64, v1
	s_delay_alu instid0(VALU_DEP_3)
	v_cndmask_b32_e64 v2, v4, v18, s2
	v_cmp_gt_i32_e64 s2, 32, v20
	v_cmp_gt_u32_e64 s4, 0x80, v1
	v_cmp_gt_u32_e64 s5, 0xc0, v1
	;; [unrolled: 1-line block ×3, first 2 shown]
	v_dual_mov_b32 v2, v0 :: v_dual_lshlrev_b32 v45, 2, v2
	v_cndmask_b32_e64 v7, v4, v20, s2
	v_xor_b32_e32 v4, 63, v4
	v_cmp_eq_u32_e64 s2, 0x1ff, v1
	v_cmp_gt_u32_e64 s7, 0x140, v1
	v_cmp_gt_u32_e64 s8, 0x180, v1
	v_lshlrev_b32_e32 v46, 2, v7
	v_lshrrev_b64 v[18:19], v4, -1
	v_dual_mov_b32 v20, s11 :: v_dual_lshlrev_b32 v43, 2, v3
	v_cmp_gt_u32_e64 s9, 0x1c0, v1
	v_or_b32_e32 v48, 0xfffffe00, v1
	v_dual_mov_b32 v52, v0 :: v_dual_lshlrev_b32 v49, 4, v1
	v_mov_b32_e32 v19, s10
	v_mov_b32_e32 v1, v0
	;; [unrolled: 1-line block ×3, first 2 shown]
	s_and_b32 s30, s45, vcc_lo
	s_add_u32 s45, s24, 8
	s_mov_b32 s43, s29
	s_mov_b32 s44, s31
	s_addc_u32 s46, s25, 0
	s_branch .LBB239_13
.LBB239_12:                             ;   in Loop: Header=BB239_13 Depth=1
	s_or_b32 exec_lo, exec_lo, s11
	ds_load_b32 v52, v0 offset:34816
	s_waitcnt lgkmcnt(0)
	s_barrier
	buffer_gl0_inv
	v_cmp_le_i32_e32 vcc_lo, s42, v52
	v_add_nc_u32_e32 v51, 0x800, v52
	s_cbranch_vccnz .LBB239_72
.LBB239_13:                             ; =>This Loop Header: Depth=1
                                        ;     Child Loop BB239_14 Depth 2
                                        ;     Child Loop BB239_20 Depth 2
                                        ;       Child Loop BB239_26 Depth 3
                                        ;         Child Loop BB239_30 Depth 4
                                        ;         Child Loop BB239_32 Depth 4
                                        ;     Child Loop BB239_47 Depth 2
                                        ;       Child Loop BB239_51 Depth 3
                                        ;       Child Loop BB239_53 Depth 3
                                        ;     Child Loop BB239_63 Depth 2
                                        ;     Child Loop BB239_68 Depth 2
	v_dual_mov_b32 v4, v49 :: v_dual_mov_b32 v5, v48
	s_mov_b32 s10, 0
.LBB239_14:                             ;   Parent Loop BB239_13 Depth=1
                                        ; =>  This Inner Loop Header: Depth=2
	ds_store_b8 v5, v0 offset:33280
	v_add_nc_u32_e32 v5, 0x200, v5
	ds_store_b128 v4, v[0:3]
	v_add_nc_u32_e32 v4, 0x2000, v4
	v_cmp_lt_u32_e32 vcc_lo, 0x5ff, v5
	s_or_b32 s10, vcc_lo, s10
	s_delay_alu instid0(SALU_CYCLE_1)
	s_and_not1_b32 exec_lo, exec_lo, s10
	s_cbranch_execnz .LBB239_14
; %bb.15:                               ;   in Loop: Header=BB239_13 Depth=1
	s_or_b32 exec_lo, exec_lo, s10
	s_and_saveexec_b32 s10, s0
	s_cbranch_execz .LBB239_17
; %bb.16:                               ;   in Loop: Header=BB239_13 Depth=1
	v_mov_b32_e32 v4, s42
	ds_store_b32 v0, v4 offset:34816
.LBB239_17:                             ;   in Loop: Header=BB239_13 Depth=1
	s_or_b32 exec_lo, exec_lo, s10
	v_mov_b32_e32 v53, s42
	s_waitcnt vmcnt(0) lgkmcnt(0)
	s_waitcnt_vscnt null, 0x0
	s_barrier
	buffer_gl0_inv
	s_and_saveexec_b32 s13, s30
	s_cbranch_execz .LBB239_43
; %bb.18:                               ;   in Loop: Header=BB239_13 Depth=1
	v_dual_mov_b32 v53, s42 :: v_dual_mov_b32 v22, v17
	v_cmp_ne_u32_e64 s10, 0, v52
	v_mov_b32_e32 v21, v16
	s_mov_b32 s47, 0
	s_branch .LBB239_20
.LBB239_19:                             ;   in Loop: Header=BB239_20 Depth=2
	s_or_b32 exec_lo, exec_lo, s12
	v_add_co_u32 v21, vcc_lo, v21, 32
	v_add_co_ci_u32_e32 v22, vcc_lo, 0, v22, vcc_lo
	s_delay_alu instid0(VALU_DEP_1) | instskip(SKIP_1) | instid1(SALU_CYCLE_1)
	v_cmp_le_i64_e32 vcc_lo, s[34:35], v[21:22]
	s_or_b32 s47, vcc_lo, s47
	s_and_not1_b32 exec_lo, exec_lo, s47
	s_cbranch_execz .LBB239_42
.LBB239_20:                             ;   Parent Loop BB239_13 Depth=1
                                        ; =>  This Loop Header: Depth=2
                                        ;       Child Loop BB239_26 Depth 3
                                        ;         Child Loop BB239_30 Depth 4
                                        ;         Child Loop BB239_32 Depth 4
	s_delay_alu instid0(VALU_DEP_1) | instskip(SKIP_2) | instid1(VALU_DEP_2)
	v_lshlrev_b64 v[4:5], 2, v[21:22]
	s_waitcnt lgkmcnt(0)
	v_lshlrev_b64 v[6:7], 4, v[21:22]
	v_add_co_u32 v4, vcc_lo, s20, v4
	s_delay_alu instid0(VALU_DEP_3)
	v_add_co_ci_u32_e32 v5, vcc_lo, s21, v5, vcc_lo
	global_load_b32 v23, v[4:5], off
	v_add_co_u32 v4, vcc_lo, s22, v6
	v_add_co_ci_u32_e32 v5, vcc_lo, s23, v7, vcc_lo
	s_and_b32 vcc_lo, exec_lo, s10
	global_load_b128 v[4:7], v[4:5], off
	s_waitcnt vmcnt(1)
	v_subrev_nc_u32_e32 v25, s28, v23
	v_lshlrev_b64 v[23:24], 3, v[21:22]
	s_delay_alu instid0(VALU_DEP_2)
	v_ashrrev_i32_e32 v26, 31, v25
	s_cbranch_vccz .LBB239_41
; %bb.21:                               ;   in Loop: Header=BB239_20 Depth=2
	s_delay_alu instid0(VALU_DEP_2) | instskip(NEXT) | instid1(VALU_DEP_3)
	v_add_co_u32 v27, vcc_lo, s38, v23
	v_add_co_ci_u32_e32 v28, vcc_lo, s39, v24, vcc_lo
	global_load_b64 v[29:30], v[27:28], off
	s_cbranch_execnz .LBB239_23
.LBB239_22:                             ;   in Loop: Header=BB239_20 Depth=2
	s_delay_alu instid0(VALU_DEP_1) | instskip(NEXT) | instid1(VALU_DEP_1)
	v_lshlrev_b64 v[27:28], 3, v[25:26]
	v_add_co_u32 v27, vcc_lo, s24, v27
	s_delay_alu instid0(VALU_DEP_2)
	v_add_co_ci_u32_e32 v28, vcc_lo, s25, v28, vcc_lo
	global_load_b64 v[27:28], v[27:28], off
	s_waitcnt vmcnt(0)
	v_sub_co_u32 v29, vcc_lo, v27, s43
	v_subrev_co_ci_u32_e32 v30, vcc_lo, 0, v28, vcc_lo
.LBB239_23:                             ;   in Loop: Header=BB239_20 Depth=2
	v_lshlrev_b64 v[25:26], 3, v[25:26]
	s_mov_b32 s48, exec_lo
	s_delay_alu instid0(VALU_DEP_1) | instskip(NEXT) | instid1(VALU_DEP_2)
	v_add_co_u32 v25, vcc_lo, s45, v25
	v_add_co_ci_u32_e32 v26, vcc_lo, s46, v26, vcc_lo
	global_load_b64 v[25:26], v[25:26], off
	s_waitcnt vmcnt(0)
	v_sub_co_u32 v27, vcc_lo, v25, s43
	v_subrev_co_ci_u32_e32 v28, vcc_lo, 0, v26, vcc_lo
	v_add_co_u32 v25, vcc_lo, v29, v39
	v_add_co_ci_u32_e32 v26, vcc_lo, 0, v30, vcc_lo
	s_delay_alu instid0(VALU_DEP_1)
	v_cmpx_lt_i64_e64 v[25:26], v[27:28]
	s_cbranch_execz .LBB239_39
; %bb.24:                               ;   in Loop: Header=BB239_20 Depth=2
	v_mul_f64 v[29:30], v[6:7], -v[12:13]
	v_mul_f64 v[6:7], v[10:11], v[6:7]
	v_dual_mov_b32 v34, v26 :: v_dual_mov_b32 v33, v25
	s_mov_b32 s50, 0
                                        ; implicit-def: $sgpr49
                                        ; implicit-def: $sgpr51
	s_delay_alu instid0(VALU_DEP_3) | instskip(NEXT) | instid1(VALU_DEP_3)
	v_fma_f64 v[29:30], v[10:11], v[4:5], v[29:30]
	v_fma_f64 v[31:32], v[12:13], v[4:5], v[6:7]
	s_branch .LBB239_26
.LBB239_25:                             ;   in Loop: Header=BB239_26 Depth=3
	s_or_b32 exec_lo, exec_lo, s12
	s_delay_alu instid0(SALU_CYCLE_1) | instskip(SKIP_4) | instid1(SALU_CYCLE_1)
	s_and_b32 s11, exec_lo, s52
	v_dual_mov_b32 v34, v7 :: v_dual_mov_b32 v33, v6
	s_or_b32 s50, s11, s50
	s_and_not1_b32 s11, s49, exec_lo
	s_and_b32 s12, s51, exec_lo
	s_or_b32 s49, s11, s12
	s_and_not1_b32 exec_lo, exec_lo, s50
	s_cbranch_execz .LBB239_36
.LBB239_26:                             ;   Parent Loop BB239_13 Depth=1
                                        ;     Parent Loop BB239_20 Depth=2
                                        ; =>    This Loop Header: Depth=3
                                        ;         Child Loop BB239_30 Depth 4
                                        ;         Child Loop BB239_32 Depth 4
	v_lshlrev_b64 v[4:5], 2, v[33:34]
	s_delay_alu instid0(VALU_DEP_1) | instskip(NEXT) | instid1(VALU_DEP_2)
	v_add_co_u32 v4, vcc_lo, s26, v4
	v_add_co_ci_u32_e32 v5, vcc_lo, s27, v5, vcc_lo
	global_load_b32 v4, v[4:5], off
	s_waitcnt vmcnt(0)
	v_subrev_nc_u32_e32 v54, s29, v4
	s_delay_alu instid0(VALU_DEP_1) | instskip(SKIP_2) | instid1(VALU_DEP_2)
	v_cmp_lt_i32_e64 s11, v54, v52
	v_cmp_ge_i32_e64 s12, v54, v51
	v_cmp_lt_i32_e32 vcc_lo, v54, v51
	s_or_b32 s52, s11, s12
	s_mov_b32 s11, 0
                                        ; implicit-def: $sgpr12
	s_and_saveexec_b32 s53, s52
	s_delay_alu instid0(SALU_CYCLE_1)
	s_xor_b32 s52, exec_lo, s53
; %bb.27:                               ;   in Loop: Header=BB239_26 Depth=3
	s_mov_b32 s12, -1
	s_and_b32 s11, vcc_lo, exec_lo
; %bb.28:                               ;   in Loop: Header=BB239_26 Depth=3
	s_and_not1_saveexec_b32 s52, s52
	s_cbranch_execz .LBB239_34
; %bb.29:                               ;   in Loop: Header=BB239_26 Depth=3
	v_lshlrev_b64 v[4:5], 4, v[33:34]
	v_sub_nc_u32_e32 v37, v54, v52
	s_mov_b32 s53, 0
	s_delay_alu instid0(VALU_DEP_1) | instskip(NEXT) | instid1(VALU_DEP_3)
	v_lshlrev_b32_e32 v55, 4, v37
	v_add_co_u32 v4, vcc_lo, s40, v4
	s_delay_alu instid0(VALU_DEP_4)
	v_add_co_ci_u32_e32 v5, vcc_lo, s41, v5, vcc_lo
	ds_store_b8 v37, v50 offset:32768
	ds_load_b64 v[37:38], v55
	global_load_b128 v[4:7], v[4:5], off
	s_waitcnt vmcnt(0)
	v_mul_f64 v[35:36], v[6:7], -v[31:32]
	s_delay_alu instid0(VALU_DEP_1)
	v_fma_f64 v[35:36], v[29:30], v[4:5], v[35:36]
.LBB239_30:                             ;   Parent Loop BB239_13 Depth=1
                                        ;     Parent Loop BB239_20 Depth=2
                                        ;       Parent Loop BB239_26 Depth=3
                                        ; =>      This Inner Loop Header: Depth=4
	s_waitcnt lgkmcnt(0)
	s_delay_alu instid0(VALU_DEP_1)
	v_add_f64 v[56:57], v[37:38], v[35:36]
	ds_cmpstore_rtn_b64 v[56:57], v55, v[56:57], v[37:38]
	s_waitcnt lgkmcnt(0)
	v_cmp_eq_u64_e32 vcc_lo, v[56:57], v[37:38]
	v_dual_mov_b32 v37, v56 :: v_dual_mov_b32 v38, v57
	s_or_b32 s53, vcc_lo, s53
	s_delay_alu instid0(SALU_CYCLE_1)
	s_and_not1_b32 exec_lo, exec_lo, s53
	s_cbranch_execnz .LBB239_30
; %bb.31:                               ;   in Loop: Header=BB239_26 Depth=3
	s_or_b32 exec_lo, exec_lo, s53
	v_mul_f64 v[6:7], v[29:30], v[6:7]
	s_mov_b32 s53, 0
	s_delay_alu instid0(VALU_DEP_1)
	v_fma_f64 v[4:5], v[31:32], v[4:5], v[6:7]
	ds_load_b64 v[6:7], v55 offset:8
.LBB239_32:                             ;   Parent Loop BB239_13 Depth=1
                                        ;     Parent Loop BB239_20 Depth=2
                                        ;       Parent Loop BB239_26 Depth=3
                                        ; =>      This Inner Loop Header: Depth=4
	s_waitcnt lgkmcnt(0)
	v_add_f64 v[35:36], v[6:7], v[4:5]
	ds_cmpstore_rtn_b64 v[35:36], v55, v[35:36], v[6:7] offset:8
	s_waitcnt lgkmcnt(0)
	v_cmp_eq_u64_e32 vcc_lo, v[35:36], v[6:7]
	v_dual_mov_b32 v6, v35 :: v_dual_mov_b32 v7, v36
	s_or_b32 s53, vcc_lo, s53
	s_delay_alu instid0(SALU_CYCLE_1)
	s_and_not1_b32 exec_lo, exec_lo, s53
	s_cbranch_execnz .LBB239_32
; %bb.33:                               ;   in Loop: Header=BB239_26 Depth=3
	s_or_b32 exec_lo, exec_lo, s53
	s_delay_alu instid0(SALU_CYCLE_1)
	s_or_b32 s11, s11, exec_lo
.LBB239_34:                             ;   in Loop: Header=BB239_26 Depth=3
	s_or_b32 exec_lo, exec_lo, s52
	v_dual_mov_b32 v4, v33 :: v_dual_mov_b32 v5, v34
	s_and_not1_b32 s51, s51, exec_lo
	s_and_b32 s12, s12, exec_lo
	s_mov_b32 s52, -1
	s_or_b32 s51, s51, s12
                                        ; implicit-def: $vgpr6_vgpr7
	s_and_saveexec_b32 s12, s11
	s_cbranch_execz .LBB239_25
; %bb.35:                               ;   in Loop: Header=BB239_26 Depth=3
	v_add_co_u32 v6, vcc_lo, v33, 16
	v_add_co_ci_u32_e32 v7, vcc_lo, 0, v34, vcc_lo
	v_dual_mov_b32 v4, v33 :: v_dual_mov_b32 v5, v34
	s_and_not1_b32 s51, s51, exec_lo
	s_delay_alu instid0(VALU_DEP_2)
	v_cmp_ge_i64_e32 vcc_lo, v[6:7], v[27:28]
	s_or_not1_b32 s52, vcc_lo, exec_lo
	s_branch .LBB239_25
.LBB239_36:                             ;   in Loop: Header=BB239_20 Depth=2
	s_or_b32 exec_lo, exec_lo, s50
	s_and_saveexec_b32 s11, s49
	s_delay_alu instid0(SALU_CYCLE_1)
	s_xor_b32 s11, exec_lo, s11
; %bb.37:                               ;   in Loop: Header=BB239_20 Depth=2
	v_min_i32_e32 v53, v54, v53
	v_dual_mov_b32 v26, v5 :: v_dual_mov_b32 v25, v4
; %bb.38:                               ;   in Loop: Header=BB239_20 Depth=2
	s_or_b32 exec_lo, exec_lo, s11
.LBB239_39:                             ;   in Loop: Header=BB239_20 Depth=2
	s_delay_alu instid0(SALU_CYCLE_1)
	s_or_b32 exec_lo, exec_lo, s48
	ds_bpermute_b32 v4, v43, v25
	ds_bpermute_b32 v5, v43, v26
	s_waitcnt lgkmcnt(0)
	v_cmp_lt_i64_e32 vcc_lo, v[4:5], v[25:26]
	v_dual_cndmask_b32 v5, v26, v5 :: v_dual_cndmask_b32 v4, v25, v4
	ds_bpermute_b32 v7, v44, v5
	ds_bpermute_b32 v6, v44, v4
	s_waitcnt lgkmcnt(0)
	v_cmp_lt_i64_e32 vcc_lo, v[6:7], v[4:5]
	v_dual_cndmask_b32 v5, v5, v7 :: v_dual_cndmask_b32 v4, v4, v6
	;; [unrolled: 5-line block ×3, first 2 shown]
	ds_bpermute_b32 v7, v46, v5
	ds_bpermute_b32 v6, v46, v4
	s_and_saveexec_b32 s12, s1
	s_cbranch_execz .LBB239_19
; %bb.40:                               ;   in Loop: Header=BB239_20 Depth=2
	s_waitcnt lgkmcnt(0)
	v_cmp_lt_i64_e32 vcc_lo, v[6:7], v[4:5]
	v_add_co_u32 v23, s11, s38, v23
	s_delay_alu instid0(VALU_DEP_1)
	v_add_co_ci_u32_e64 v24, s11, s39, v24, s11
	v_dual_cndmask_b32 v5, v5, v7 :: v_dual_cndmask_b32 v4, v4, v6
	global_store_b64 v[23:24], v[4:5], off
	s_branch .LBB239_19
.LBB239_41:                             ;   in Loop: Header=BB239_20 Depth=2
                                        ; implicit-def: $vgpr29_vgpr30
	s_branch .LBB239_22
.LBB239_42:                             ;   in Loop: Header=BB239_13 Depth=1
	s_or_b32 exec_lo, exec_lo, s47
.LBB239_43:                             ;   in Loop: Header=BB239_13 Depth=1
	s_delay_alu instid0(SALU_CYCLE_1) | instskip(NEXT) | instid1(SALU_CYCLE_1)
	s_or_b32 exec_lo, exec_lo, s13
	s_and_not1_b32 vcc_lo, exec_lo, s33
	s_cbranch_vccnz .LBB239_61
; %bb.44:                               ;   in Loop: Header=BB239_13 Depth=1
	s_load_b128 s[48:51], s[18:19], 0x0
	s_mov_b32 s47, exec_lo
	s_waitcnt lgkmcnt(0)
	v_add_co_u32 v21, vcc_lo, s48, v40
	v_add_co_ci_u32_e32 v22, vcc_lo, s49, v41, vcc_lo
	s_sub_u32 s12, s50, s44
	s_subb_u32 s13, s51, 0
	s_delay_alu instid0(VALU_DEP_1) | instid1(SALU_CYCLE_1)
	v_cmpx_gt_i64_e64 s[12:13], v[21:22]
	s_cbranch_execz .LBB239_60
; %bb.45:                               ;   in Loop: Header=BB239_13 Depth=1
	s_mov_b32 s48, 0
                                        ; implicit-def: $sgpr49
                                        ; implicit-def: $sgpr50
	s_branch .LBB239_47
.LBB239_46:                             ;   in Loop: Header=BB239_47 Depth=2
	s_or_b32 exec_lo, exec_lo, s51
	s_delay_alu instid0(SALU_CYCLE_1) | instskip(NEXT) | instid1(SALU_CYCLE_1)
	s_and_b32 s10, exec_lo, s11
	s_or_b32 s48, s10, s48
	s_and_not1_b32 s10, s49, exec_lo
	s_and_b32 s11, s50, exec_lo
	s_delay_alu instid0(SALU_CYCLE_1)
	s_or_b32 s49, s10, s11
	s_and_not1_b32 exec_lo, exec_lo, s48
	s_cbranch_execz .LBB239_57
.LBB239_47:                             ;   Parent Loop BB239_13 Depth=1
                                        ; =>  This Loop Header: Depth=2
                                        ;       Child Loop BB239_51 Depth 3
                                        ;       Child Loop BB239_53 Depth 3
	v_lshlrev_b64 v[4:5], 2, v[21:22]
	s_delay_alu instid0(VALU_DEP_1) | instskip(NEXT) | instid1(VALU_DEP_2)
	v_add_co_u32 v4, vcc_lo, s14, v4
	v_add_co_ci_u32_e32 v5, vcc_lo, s15, v5, vcc_lo
	global_load_b32 v4, v[4:5], off
	s_waitcnt vmcnt(0)
	v_subrev_nc_u32_e32 v27, s31, v4
	s_delay_alu instid0(VALU_DEP_1) | instskip(SKIP_2) | instid1(VALU_DEP_2)
	v_cmp_lt_i32_e64 s10, v27, v52
	v_cmp_ge_i32_e64 s11, v27, v51
	v_cmp_lt_i32_e32 vcc_lo, v27, v51
	s_or_b32 s51, s10, s11
	s_mov_b32 s10, 0
                                        ; implicit-def: $sgpr11
	s_and_saveexec_b32 s52, s51
	s_delay_alu instid0(SALU_CYCLE_1)
	s_xor_b32 s51, exec_lo, s52
; %bb.48:                               ;   in Loop: Header=BB239_47 Depth=2
	s_mov_b32 s11, -1
	s_and_b32 s10, vcc_lo, exec_lo
; %bb.49:                               ;   in Loop: Header=BB239_47 Depth=2
	s_and_not1_saveexec_b32 s51, s51
	s_cbranch_execz .LBB239_55
; %bb.50:                               ;   in Loop: Header=BB239_47 Depth=2
	v_lshlrev_b64 v[4:5], 4, v[21:22]
	v_sub_nc_u32_e32 v25, v27, v52
	s_mov_b32 s52, 0
	s_delay_alu instid0(VALU_DEP_1) | instskip(NEXT) | instid1(VALU_DEP_3)
	v_lshlrev_b32_e32 v28, 4, v25
	v_add_co_u32 v4, vcc_lo, s16, v4
	s_delay_alu instid0(VALU_DEP_4)
	v_add_co_ci_u32_e32 v5, vcc_lo, s17, v5, vcc_lo
	ds_store_b8 v25, v50 offset:32768
	ds_load_b64 v[25:26], v28
	global_load_b128 v[4:7], v[4:5], off
	s_waitcnt vmcnt(0)
	v_mul_f64 v[23:24], v[6:7], -v[8:9]
	s_delay_alu instid0(VALU_DEP_1)
	v_fma_f64 v[23:24], v[14:15], v[4:5], v[23:24]
.LBB239_51:                             ;   Parent Loop BB239_13 Depth=1
                                        ;     Parent Loop BB239_47 Depth=2
                                        ; =>    This Inner Loop Header: Depth=3
	s_waitcnt lgkmcnt(0)
	s_delay_alu instid0(VALU_DEP_1)
	v_add_f64 v[29:30], v[25:26], v[23:24]
	ds_cmpstore_rtn_b64 v[29:30], v28, v[29:30], v[25:26]
	s_waitcnt lgkmcnt(0)
	v_cmp_eq_u64_e32 vcc_lo, v[29:30], v[25:26]
	v_dual_mov_b32 v25, v29 :: v_dual_mov_b32 v26, v30
	s_or_b32 s52, vcc_lo, s52
	s_delay_alu instid0(SALU_CYCLE_1)
	s_and_not1_b32 exec_lo, exec_lo, s52
	s_cbranch_execnz .LBB239_51
; %bb.52:                               ;   in Loop: Header=BB239_47 Depth=2
	s_or_b32 exec_lo, exec_lo, s52
	v_mul_f64 v[6:7], v[14:15], v[6:7]
	s_mov_b32 s52, 0
	s_delay_alu instid0(VALU_DEP_1)
	v_fma_f64 v[4:5], v[8:9], v[4:5], v[6:7]
	ds_load_b64 v[6:7], v28 offset:8
.LBB239_53:                             ;   Parent Loop BB239_13 Depth=1
                                        ;     Parent Loop BB239_47 Depth=2
                                        ; =>    This Inner Loop Header: Depth=3
	s_waitcnt lgkmcnt(0)
	v_add_f64 v[23:24], v[6:7], v[4:5]
	ds_cmpstore_rtn_b64 v[23:24], v28, v[23:24], v[6:7] offset:8
	s_waitcnt lgkmcnt(0)
	v_cmp_eq_u64_e32 vcc_lo, v[23:24], v[6:7]
	v_dual_mov_b32 v6, v23 :: v_dual_mov_b32 v7, v24
	s_or_b32 s52, vcc_lo, s52
	s_delay_alu instid0(SALU_CYCLE_1)
	s_and_not1_b32 exec_lo, exec_lo, s52
	s_cbranch_execnz .LBB239_53
; %bb.54:                               ;   in Loop: Header=BB239_47 Depth=2
	s_or_b32 exec_lo, exec_lo, s52
	s_delay_alu instid0(SALU_CYCLE_1)
	s_or_b32 s10, s10, exec_lo
.LBB239_55:                             ;   in Loop: Header=BB239_47 Depth=2
	s_or_b32 exec_lo, exec_lo, s51
	s_delay_alu instid0(SALU_CYCLE_1)
	s_and_not1_b32 s50, s50, exec_lo
	s_and_b32 s51, s11, exec_lo
	s_mov_b32 s11, -1
	s_or_b32 s50, s50, s51
	s_and_saveexec_b32 s51, s10
	s_cbranch_execz .LBB239_46
; %bb.56:                               ;   in Loop: Header=BB239_47 Depth=2
	v_add_co_u32 v21, vcc_lo, 0x200, v21
	v_add_co_ci_u32_e32 v22, vcc_lo, 0, v22, vcc_lo
	s_and_not1_b32 s50, s50, exec_lo
	s_delay_alu instid0(VALU_DEP_1)
	v_cmp_le_i64_e32 vcc_lo, s[12:13], v[21:22]
	s_or_not1_b32 s11, vcc_lo, exec_lo
	s_branch .LBB239_46
.LBB239_57:                             ;   in Loop: Header=BB239_13 Depth=1
	s_or_b32 exec_lo, exec_lo, s48
	s_and_saveexec_b32 s10, s49
	s_delay_alu instid0(SALU_CYCLE_1)
	s_xor_b32 s10, exec_lo, s10
; %bb.58:                               ;   in Loop: Header=BB239_13 Depth=1
	v_min_i32_e32 v53, v27, v53
; %bb.59:                               ;   in Loop: Header=BB239_13 Depth=1
	s_or_b32 exec_lo, exec_lo, s10
.LBB239_60:                             ;   in Loop: Header=BB239_13 Depth=1
	s_delay_alu instid0(SALU_CYCLE_1)
	s_or_b32 exec_lo, exec_lo, s47
.LBB239_61:                             ;   in Loop: Header=BB239_13 Depth=1
	ds_bpermute_b32 v4, v43, v53
	s_waitcnt lgkmcnt(0)
	v_min_i32_e32 v4, v4, v53
	ds_bpermute_b32 v5, v44, v4
	s_waitcnt lgkmcnt(0)
	v_min_i32_e32 v4, v5, v4
	;; [unrolled: 3-line block ×3, first 2 shown]
	ds_bpermute_b32 v5, v46, v4
	s_and_saveexec_b32 s10, s1
	s_cbranch_execz .LBB239_66
; %bb.62:                               ;   in Loop: Header=BB239_13 Depth=1
	s_waitcnt lgkmcnt(0)
	v_min_i32_e32 v4, v5, v4
	s_mov_b32 s12, exec_lo
	s_brev_b32 s11, -2
.LBB239_63:                             ;   Parent Loop BB239_13 Depth=1
                                        ; =>  This Inner Loop Header: Depth=2
	s_ctz_i32_b32 s13, s12
	s_delay_alu instid0(VALU_DEP_1) | instid1(SALU_CYCLE_1)
	v_readlane_b32 s47, v4, s13
	s_lshl_b32 s13, 1, s13
	s_delay_alu instid0(SALU_CYCLE_1) | instskip(NEXT) | instid1(VALU_DEP_1)
	s_and_not1_b32 s12, s12, s13
	s_min_i32 s11, s11, s47
	s_cmp_lg_u32 s12, 0
	s_cbranch_scc1 .LBB239_63
; %bb.64:                               ;   in Loop: Header=BB239_13 Depth=1
	v_mbcnt_lo_u32_b32 v4, exec_lo, 0
	s_mov_b32 s12, exec_lo
	s_delay_alu instid0(VALU_DEP_1)
	v_cmpx_eq_u32_e32 0, v4
	s_xor_b32 s12, exec_lo, s12
	s_cbranch_execz .LBB239_66
; %bb.65:                               ;   in Loop: Header=BB239_13 Depth=1
	v_mov_b32_e32 v4, s11
	ds_min_i32 v0, v4 offset:34816
.LBB239_66:                             ;   in Loop: Header=BB239_13 Depth=1
	s_or_b32 exec_lo, exec_lo, s10
	v_dual_mov_b32 v6, v49 :: v_dual_mov_b32 v7, v48
	s_mov_b32 s11, 0
	s_waitcnt lgkmcnt(0)
	s_waitcnt_vscnt null, 0x0
	s_barrier
	buffer_gl0_inv
	s_branch .LBB239_68
.LBB239_67:                             ;   in Loop: Header=BB239_68 Depth=2
	s_or_b32 exec_lo, exec_lo, s10
	s_waitcnt lgkmcnt(0)
	s_waitcnt_vscnt null, 0x0
	s_barrier
	buffer_gl0_inv
	ds_load_b32 v4, v0 offset:28
	v_add_nc_u32_e32 v7, 0x200, v7
	v_add_nc_u32_e32 v6, 0x2000, v6
	s_delay_alu instid0(VALU_DEP_2) | instskip(SKIP_4) | instid1(VALU_DEP_1)
	v_cmp_lt_u32_e32 vcc_lo, 0x5ff, v7
	s_or_b32 s11, vcc_lo, s11
	s_waitcnt lgkmcnt(0)
	v_ashrrev_i32_e32 v5, 31, v4
	v_add_co_u32 v19, s10, v19, v4
	v_add_co_ci_u32_e64 v20, s10, v20, v5, s10
	s_and_not1_b32 exec_lo, exec_lo, s11
	s_cbranch_execz .LBB239_12
.LBB239_68:                             ;   Parent Loop BB239_13 Depth=1
                                        ; =>  This Inner Loop Header: Depth=2
	ds_load_u8 v4, v7 offset:33280
	ds_load_2addr_b64 v[21:24], v6 offset1:1
	s_waitcnt lgkmcnt(1)
	v_cmp_ne_u16_e32 vcc_lo, 0, v4
	s_waitcnt lgkmcnt(0)
	ds_store_2addr_b64 v42, v[21:22], v[23:24] offset1:1
	s_waitcnt lgkmcnt(0)
	s_barrier
	buffer_gl0_inv
	s_bcnt1_i32_b32 s10, vcc_lo
	s_delay_alu instid0(SALU_CYCLE_1)
	v_mov_b32_e32 v5, s10
	s_mov_b32 s10, exec_lo
	ds_store_b32 v47, v5
	s_waitcnt lgkmcnt(0)
	s_barrier
	buffer_gl0_inv
	ds_load_b128 v[21:24], v0
	ds_load_b96 v[25:27], v0 offset:16
	v_and_b32_e32 v5, vcc_lo, v18
	s_waitcnt lgkmcnt(1)
	v_cndmask_b32_e64 v21, v21, 0, s3
	v_cndmask_b32_e64 v22, v22, 0, s4
	;; [unrolled: 1-line block ×3, first 2 shown]
	s_delay_alu instid0(VALU_DEP_3) | instskip(SKIP_3) | instid1(VALU_DEP_3)
	v_bcnt_u32_b32 v5, v5, v21
	v_cndmask_b32_e64 v21, v24, 0, s6
	s_waitcnt lgkmcnt(0)
	v_cndmask_b32_e64 v24, v25, 0, s7
	v_add3_u32 v5, v5, v22, v23
	v_cndmask_b32_e64 v22, v26, 0, s8
	v_cndmask_b32_e64 v23, v27, 0, s9
	s_delay_alu instid0(VALU_DEP_3) | instskip(SKIP_1) | instid1(VALU_DEP_2)
	v_add3_u32 v5, v5, v21, v24
	v_and_b32_e32 v21, 1, v4
	v_add3_u32 v4, v5, v22, v23
	s_delay_alu instid0(VALU_DEP_2)
	v_cmpx_eq_u32_e32 1, v21
	s_cbranch_execz .LBB239_70
; %bb.69:                               ;   in Loop: Header=BB239_68 Depth=2
	ds_load_2addr_b64 v[21:24], v42 offset1:1
	v_ashrrev_i32_e32 v5, 31, v4
	v_lshlrev_b64 v[25:26], 4, v[19:20]
	s_delay_alu instid0(VALU_DEP_2) | instskip(NEXT) | instid1(VALU_DEP_2)
	v_lshlrev_b64 v[27:28], 4, v[4:5]
	v_add_co_u32 v5, vcc_lo, s36, v25
	s_delay_alu instid0(VALU_DEP_3) | instskip(NEXT) | instid1(VALU_DEP_2)
	v_add_co_ci_u32_e32 v26, vcc_lo, s37, v26, vcc_lo
	v_add_co_u32 v25, vcc_lo, v5, v27
	s_delay_alu instid0(VALU_DEP_2)
	v_add_co_ci_u32_e32 v26, vcc_lo, v26, v28, vcc_lo
	s_waitcnt lgkmcnt(0)
	global_store_b128 v[25:26], v[21:24], off offset:-16
.LBB239_70:                             ;   in Loop: Header=BB239_68 Depth=2
	s_or_b32 exec_lo, exec_lo, s10
	s_and_saveexec_b32 s10, s2
	s_cbranch_execz .LBB239_67
; %bb.71:                               ;   in Loop: Header=BB239_68 Depth=2
	ds_store_b32 v0, v4 offset:28
	s_branch .LBB239_67
.LBB239_72:
	s_endpgm
	.section	.rodata,"a",@progbits
	.p2align	6, 0x0
	.amdhsa_kernel _ZN9rocsparseL51csrgemm_numeric_fill_block_per_row_multipass_kernelILj512ELj16ELj2048ELj64Eli21rocsparse_complex_numIdEEEvT4_PKS3_S5_NS_24const_host_device_scalarIT5_EEPKT3_S5_PKS7_SB_S5_SD_S8_SB_S5_SD_SB_S5_PS7_PS9_21rocsparse_index_base_SG_SG_SG_bbb
		.amdhsa_group_segment_fixed_size 43016
		.amdhsa_private_segment_fixed_size 24
		.amdhsa_kernarg_size 180
		.amdhsa_user_sgpr_count 15
		.amdhsa_user_sgpr_dispatch_ptr 1
		.amdhsa_user_sgpr_queue_ptr 0
		.amdhsa_user_sgpr_kernarg_segment_ptr 1
		.amdhsa_user_sgpr_dispatch_id 0
		.amdhsa_user_sgpr_private_segment_size 0
		.amdhsa_wavefront_size32 1
		.amdhsa_uses_dynamic_stack 0
		.amdhsa_enable_private_segment 1
		.amdhsa_system_sgpr_workgroup_id_x 1
		.amdhsa_system_sgpr_workgroup_id_y 0
		.amdhsa_system_sgpr_workgroup_id_z 0
		.amdhsa_system_sgpr_workgroup_info 0
		.amdhsa_system_vgpr_workitem_id 2
		.amdhsa_next_free_vgpr 58
		.amdhsa_next_free_sgpr 54
		.amdhsa_reserve_vcc 1
		.amdhsa_float_round_mode_32 0
		.amdhsa_float_round_mode_16_64 0
		.amdhsa_float_denorm_mode_32 3
		.amdhsa_float_denorm_mode_16_64 3
		.amdhsa_dx10_clamp 1
		.amdhsa_ieee_mode 1
		.amdhsa_fp16_overflow 0
		.amdhsa_workgroup_processor_mode 1
		.amdhsa_memory_ordered 1
		.amdhsa_forward_progress 0
		.amdhsa_shared_vgpr_count 0
		.amdhsa_exception_fp_ieee_invalid_op 0
		.amdhsa_exception_fp_denorm_src 0
		.amdhsa_exception_fp_ieee_div_zero 0
		.amdhsa_exception_fp_ieee_overflow 0
		.amdhsa_exception_fp_ieee_underflow 0
		.amdhsa_exception_fp_ieee_inexact 0
		.amdhsa_exception_int_div_zero 0
	.end_amdhsa_kernel
	.section	.text._ZN9rocsparseL51csrgemm_numeric_fill_block_per_row_multipass_kernelILj512ELj16ELj2048ELj64Eli21rocsparse_complex_numIdEEEvT4_PKS3_S5_NS_24const_host_device_scalarIT5_EEPKT3_S5_PKS7_SB_S5_SD_S8_SB_S5_SD_SB_S5_PS7_PS9_21rocsparse_index_base_SG_SG_SG_bbb,"axG",@progbits,_ZN9rocsparseL51csrgemm_numeric_fill_block_per_row_multipass_kernelILj512ELj16ELj2048ELj64Eli21rocsparse_complex_numIdEEEvT4_PKS3_S5_NS_24const_host_device_scalarIT5_EEPKT3_S5_PKS7_SB_S5_SD_S8_SB_S5_SD_SB_S5_PS7_PS9_21rocsparse_index_base_SG_SG_SG_bbb,comdat
.Lfunc_end239:
	.size	_ZN9rocsparseL51csrgemm_numeric_fill_block_per_row_multipass_kernelILj512ELj16ELj2048ELj64Eli21rocsparse_complex_numIdEEEvT4_PKS3_S5_NS_24const_host_device_scalarIT5_EEPKT3_S5_PKS7_SB_S5_SD_S8_SB_S5_SD_SB_S5_PS7_PS9_21rocsparse_index_base_SG_SG_SG_bbb, .Lfunc_end239-_ZN9rocsparseL51csrgemm_numeric_fill_block_per_row_multipass_kernelILj512ELj16ELj2048ELj64Eli21rocsparse_complex_numIdEEEvT4_PKS3_S5_NS_24const_host_device_scalarIT5_EEPKT3_S5_PKS7_SB_S5_SD_S8_SB_S5_SD_SB_S5_PS7_PS9_21rocsparse_index_base_SG_SG_SG_bbb
                                        ; -- End function
	.section	.AMDGPU.csdata,"",@progbits
; Kernel info:
; codeLenInByte = 3440
; NumSgprs: 56
; NumVgprs: 58
; ScratchSize: 24
; MemoryBound: 0
; FloatMode: 240
; IeeeMode: 1
; LDSByteSize: 43016 bytes/workgroup (compile time only)
; SGPRBlocks: 6
; VGPRBlocks: 7
; NumSGPRsForWavesPerEU: 56
; NumVGPRsForWavesPerEU: 58
; Occupancy: 12
; WaveLimiterHint : 1
; COMPUTE_PGM_RSRC2:SCRATCH_EN: 1
; COMPUTE_PGM_RSRC2:USER_SGPR: 15
; COMPUTE_PGM_RSRC2:TRAP_HANDLER: 0
; COMPUTE_PGM_RSRC2:TGID_X_EN: 1
; COMPUTE_PGM_RSRC2:TGID_Y_EN: 0
; COMPUTE_PGM_RSRC2:TGID_Z_EN: 0
; COMPUTE_PGM_RSRC2:TIDIG_COMP_CNT: 2
	.text
	.p2alignl 7, 3214868480
	.fill 96, 4, 3214868480
	.type	__hip_cuid_2a2cc2a1d283585f,@object ; @__hip_cuid_2a2cc2a1d283585f
	.section	.bss,"aw",@nobits
	.globl	__hip_cuid_2a2cc2a1d283585f
__hip_cuid_2a2cc2a1d283585f:
	.byte	0                               ; 0x0
	.size	__hip_cuid_2a2cc2a1d283585f, 1

	.ident	"AMD clang version 19.0.0git (https://github.com/RadeonOpenCompute/llvm-project roc-6.4.0 25133 c7fe45cf4b819c5991fe208aaa96edf142730f1d)"
	.section	".note.GNU-stack","",@progbits
	.addrsig
	.addrsig_sym _ZN9rocsparse13shared_memoryE
	.addrsig_sym __hip_cuid_2a2cc2a1d283585f
	.amdgpu_metadata
---
amdhsa.kernels:
  - .args:
      - .offset:         0
        .size:           4
        .value_kind:     by_value
      - .offset:         4
        .size:           4
        .value_kind:     by_value
      - .actual_access:  read_only
        .address_space:  global
        .offset:         8
        .size:           8
        .value_kind:     global_buffer
      - .actual_access:  read_only
        .address_space:  global
        .offset:         16
        .size:           8
        .value_kind:     global_buffer
      - .offset:         24
        .size:           8
        .value_kind:     by_value
      - .actual_access:  read_only
        .address_space:  global
        .offset:         32
        .size:           8
        .value_kind:     global_buffer
      - .actual_access:  read_only
        .address_space:  global
        .offset:         40
        .size:           8
        .value_kind:     global_buffer
      - .actual_access:  read_only
        .address_space:  global
        .offset:         48
        .size:           8
        .value_kind:     global_buffer
      - .actual_access:  read_only
        .address_space:  global
        .offset:         56
        .size:           8
        .value_kind:     global_buffer
      - .actual_access:  read_only
        .address_space:  global
        .offset:         64
        .size:           8
        .value_kind:     global_buffer
      - .actual_access:  read_only
        .address_space:  global
        .offset:         72
        .size:           8
        .value_kind:     global_buffer
      - .offset:         80
        .size:           8
        .value_kind:     by_value
      - .actual_access:  read_only
        .address_space:  global
        .offset:         88
        .size:           8
        .value_kind:     global_buffer
      - .actual_access:  read_only
        .address_space:  global
        .offset:         96
        .size:           8
        .value_kind:     global_buffer
      - .actual_access:  read_only
        .address_space:  global
        .offset:         104
        .size:           8
        .value_kind:     global_buffer
      - .actual_access:  read_only
        .address_space:  global
        .offset:         112
        .size:           8
        .value_kind:     global_buffer
      - .actual_access:  read_only
        .address_space:  global
        .offset:         120
        .size:           8
        .value_kind:     global_buffer
      - .actual_access:  write_only
        .address_space:  global
        .offset:         128
        .size:           8
        .value_kind:     global_buffer
      - .offset:         136
        .size:           4
        .value_kind:     by_value
      - .offset:         140
        .size:           4
        .value_kind:     by_value
      - .offset:         144
        .size:           4
        .value_kind:     by_value
      - .offset:         148
        .size:           4
        .value_kind:     by_value
      - .offset:         152
        .size:           1
        .value_kind:     by_value
      - .offset:         153
        .size:           1
        .value_kind:     by_value
      - .offset:         154
        .size:           1
        .value_kind:     by_value
    .group_segment_fixed_size: 4096
    .kernarg_segment_align: 8
    .kernarg_segment_size: 156
    .language:       OpenCL C
    .language_version:
      - 2
      - 0
    .max_flat_workgroup_size: 256
    .name:           _ZN9rocsparseL38csrgemm_numeric_fill_wf_per_row_kernelILj256ELj8ELj16ELj137EiifEEvT4_S1_PKS1_S3_NS_24const_host_device_scalarIT5_EEPKT3_S3_PKS5_S9_S3_SB_S6_S9_S3_SB_S9_S3_PS5_21rocsparse_index_base_SD_SD_SD_bbb
    .private_segment_fixed_size: 0
    .sgpr_count:     42
    .sgpr_spill_count: 0
    .symbol:         _ZN9rocsparseL38csrgemm_numeric_fill_wf_per_row_kernelILj256ELj8ELj16ELj137EiifEEvT4_S1_PKS1_S3_NS_24const_host_device_scalarIT5_EEPKT3_S3_PKS5_S9_S3_SB_S6_S9_S3_SB_S9_S3_PS5_21rocsparse_index_base_SD_SD_SD_bbb.kd
    .uniform_work_group_size: 1
    .uses_dynamic_stack: false
    .vgpr_count:     22
    .vgpr_spill_count: 0
    .wavefront_size: 32
    .workgroup_processor_mode: 1
  - .args:
      - .offset:         0
        .size:           4
        .value_kind:     by_value
      - .offset:         4
        .size:           4
        .value_kind:     by_value
      - .actual_access:  read_only
        .address_space:  global
        .offset:         8
        .size:           8
        .value_kind:     global_buffer
      - .actual_access:  read_only
        .address_space:  global
        .offset:         16
        .size:           8
        .value_kind:     global_buffer
      - .offset:         24
        .size:           8
        .value_kind:     by_value
      - .actual_access:  read_only
        .address_space:  global
        .offset:         32
        .size:           8
        .value_kind:     global_buffer
      - .actual_access:  read_only
        .address_space:  global
        .offset:         40
        .size:           8
        .value_kind:     global_buffer
      - .actual_access:  read_only
        .address_space:  global
        .offset:         48
        .size:           8
        .value_kind:     global_buffer
      - .actual_access:  read_only
        .address_space:  global
        .offset:         56
        .size:           8
        .value_kind:     global_buffer
      - .actual_access:  read_only
        .address_space:  global
        .offset:         64
        .size:           8
        .value_kind:     global_buffer
      - .actual_access:  read_only
        .address_space:  global
        .offset:         72
        .size:           8
        .value_kind:     global_buffer
      - .offset:         80
        .size:           8
        .value_kind:     by_value
      - .actual_access:  read_only
        .address_space:  global
        .offset:         88
        .size:           8
        .value_kind:     global_buffer
      - .actual_access:  read_only
        .address_space:  global
        .offset:         96
        .size:           8
        .value_kind:     global_buffer
      - .actual_access:  read_only
        .address_space:  global
        .offset:         104
        .size:           8
        .value_kind:     global_buffer
      - .actual_access:  read_only
        .address_space:  global
        .offset:         112
        .size:           8
        .value_kind:     global_buffer
      - .actual_access:  read_only
        .address_space:  global
        .offset:         120
        .size:           8
        .value_kind:     global_buffer
      - .actual_access:  write_only
        .address_space:  global
        .offset:         128
        .size:           8
        .value_kind:     global_buffer
      - .offset:         136
        .size:           4
        .value_kind:     by_value
      - .offset:         140
        .size:           4
        .value_kind:     by_value
      - .offset:         144
        .size:           4
        .value_kind:     by_value
      - .offset:         148
        .size:           4
        .value_kind:     by_value
      - .offset:         152
        .size:           1
        .value_kind:     by_value
      - .offset:         153
        .size:           1
        .value_kind:     by_value
      - .offset:         154
        .size:           1
        .value_kind:     by_value
    .group_segment_fixed_size: 4096
    .kernarg_segment_align: 8
    .kernarg_segment_size: 156
    .language:       OpenCL C
    .language_version:
      - 2
      - 0
    .max_flat_workgroup_size: 256
    .name:           _ZN9rocsparseL38csrgemm_numeric_fill_wf_per_row_kernelILj256ELj16ELj32ELj137EiifEEvT4_S1_PKS1_S3_NS_24const_host_device_scalarIT5_EEPKT3_S3_PKS5_S9_S3_SB_S6_S9_S3_SB_S9_S3_PS5_21rocsparse_index_base_SD_SD_SD_bbb
    .private_segment_fixed_size: 0
    .sgpr_count:     42
    .sgpr_spill_count: 0
    .symbol:         _ZN9rocsparseL38csrgemm_numeric_fill_wf_per_row_kernelILj256ELj16ELj32ELj137EiifEEvT4_S1_PKS1_S3_NS_24const_host_device_scalarIT5_EEPKT3_S3_PKS5_S9_S3_SB_S6_S9_S3_SB_S9_S3_PS5_21rocsparse_index_base_SD_SD_SD_bbb.kd
    .uniform_work_group_size: 1
    .uses_dynamic_stack: false
    .vgpr_count:     38
    .vgpr_spill_count: 0
    .wavefront_size: 32
    .workgroup_processor_mode: 1
  - .args:
      - .offset:         0
        .size:           4
        .value_kind:     by_value
      - .actual_access:  read_only
        .address_space:  global
        .offset:         8
        .size:           8
        .value_kind:     global_buffer
      - .actual_access:  read_only
        .address_space:  global
        .offset:         16
        .size:           8
        .value_kind:     global_buffer
      - .offset:         24
        .size:           8
        .value_kind:     by_value
      - .actual_access:  read_only
        .address_space:  global
        .offset:         32
        .size:           8
        .value_kind:     global_buffer
      - .actual_access:  read_only
        .address_space:  global
        .offset:         40
        .size:           8
        .value_kind:     global_buffer
      - .actual_access:  read_only
        .address_space:  global
        .offset:         48
        .size:           8
        .value_kind:     global_buffer
      - .actual_access:  read_only
        .address_space:  global
        .offset:         56
        .size:           8
        .value_kind:     global_buffer
      - .actual_access:  read_only
        .address_space:  global
        .offset:         64
        .size:           8
        .value_kind:     global_buffer
      - .actual_access:  read_only
        .address_space:  global
        .offset:         72
        .size:           8
        .value_kind:     global_buffer
      - .offset:         80
        .size:           8
        .value_kind:     by_value
      - .actual_access:  read_only
        .address_space:  global
        .offset:         88
        .size:           8
        .value_kind:     global_buffer
      - .actual_access:  read_only
        .address_space:  global
        .offset:         96
        .size:           8
        .value_kind:     global_buffer
      - .actual_access:  read_only
        .address_space:  global
        .offset:         104
        .size:           8
        .value_kind:     global_buffer
      - .actual_access:  read_only
        .address_space:  global
        .offset:         112
        .size:           8
        .value_kind:     global_buffer
      - .actual_access:  read_only
        .address_space:  global
        .offset:         120
        .size:           8
        .value_kind:     global_buffer
      - .actual_access:  write_only
        .address_space:  global
        .offset:         128
        .size:           8
        .value_kind:     global_buffer
      - .offset:         136
        .size:           4
        .value_kind:     by_value
      - .offset:         140
        .size:           4
        .value_kind:     by_value
      - .offset:         144
        .size:           4
        .value_kind:     by_value
      - .offset:         148
        .size:           4
        .value_kind:     by_value
      - .offset:         152
        .size:           1
        .value_kind:     by_value
      - .offset:         153
        .size:           1
        .value_kind:     by_value
      - .offset:         154
        .size:           1
        .value_kind:     by_value
    .group_segment_fixed_size: 0
    .kernarg_segment_align: 8
    .kernarg_segment_size: 156
    .language:       OpenCL C
    .language_version:
      - 2
      - 0
    .max_flat_workgroup_size: 128
    .name:           _ZN9rocsparseL41csrgemm_numeric_fill_block_per_row_kernelILj128ELj16ELj256ELj137ELj32EiifEEvT5_PKS1_S3_NS_24const_host_device_scalarIT6_EEPKT4_S3_PKS5_S9_S3_SB_S6_S9_S3_SB_S9_S3_PS5_21rocsparse_index_base_SD_SD_SD_bbb
    .private_segment_fixed_size: 0
    .sgpr_count:     42
    .sgpr_spill_count: 0
    .symbol:         _ZN9rocsparseL41csrgemm_numeric_fill_block_per_row_kernelILj128ELj16ELj256ELj137ELj32EiifEEvT5_PKS1_S3_NS_24const_host_device_scalarIT6_EEPKT4_S3_PKS5_S9_S3_SB_S6_S9_S3_SB_S9_S3_PS5_21rocsparse_index_base_SD_SD_SD_bbb.kd
    .uniform_work_group_size: 1
    .uses_dynamic_stack: false
    .vgpr_count:     15
    .vgpr_spill_count: 0
    .wavefront_size: 32
    .workgroup_processor_mode: 1
  - .args:
      - .offset:         0
        .size:           4
        .value_kind:     by_value
      - .actual_access:  read_only
        .address_space:  global
        .offset:         8
        .size:           8
        .value_kind:     global_buffer
      - .actual_access:  read_only
        .address_space:  global
        .offset:         16
        .size:           8
        .value_kind:     global_buffer
      - .offset:         24
        .size:           8
        .value_kind:     by_value
      - .actual_access:  read_only
        .address_space:  global
        .offset:         32
        .size:           8
        .value_kind:     global_buffer
      - .actual_access:  read_only
        .address_space:  global
        .offset:         40
        .size:           8
        .value_kind:     global_buffer
      - .actual_access:  read_only
        .address_space:  global
        .offset:         48
        .size:           8
        .value_kind:     global_buffer
      - .actual_access:  read_only
        .address_space:  global
        .offset:         56
        .size:           8
        .value_kind:     global_buffer
      - .actual_access:  read_only
        .address_space:  global
        .offset:         64
        .size:           8
        .value_kind:     global_buffer
      - .actual_access:  read_only
        .address_space:  global
        .offset:         72
        .size:           8
        .value_kind:     global_buffer
      - .offset:         80
        .size:           8
        .value_kind:     by_value
      - .actual_access:  read_only
        .address_space:  global
        .offset:         88
        .size:           8
        .value_kind:     global_buffer
      - .actual_access:  read_only
        .address_space:  global
        .offset:         96
        .size:           8
        .value_kind:     global_buffer
      - .actual_access:  read_only
        .address_space:  global
        .offset:         104
        .size:           8
        .value_kind:     global_buffer
      - .actual_access:  read_only
        .address_space:  global
        .offset:         112
        .size:           8
        .value_kind:     global_buffer
      - .actual_access:  read_only
        .address_space:  global
        .offset:         120
        .size:           8
        .value_kind:     global_buffer
      - .actual_access:  write_only
        .address_space:  global
        .offset:         128
        .size:           8
        .value_kind:     global_buffer
      - .offset:         136
        .size:           4
        .value_kind:     by_value
      - .offset:         140
        .size:           4
        .value_kind:     by_value
      - .offset:         144
        .size:           4
        .value_kind:     by_value
      - .offset:         148
        .size:           4
        .value_kind:     by_value
      - .offset:         152
        .size:           1
        .value_kind:     by_value
      - .offset:         153
        .size:           1
        .value_kind:     by_value
      - .offset:         154
        .size:           1
        .value_kind:     by_value
    .group_segment_fixed_size: 0
    .kernarg_segment_align: 8
    .kernarg_segment_size: 156
    .language:       OpenCL C
    .language_version:
      - 2
      - 0
    .max_flat_workgroup_size: 128
    .name:           _ZN9rocsparseL41csrgemm_numeric_fill_block_per_row_kernelILj128ELj16ELj256ELj137ELj64EiifEEvT5_PKS1_S3_NS_24const_host_device_scalarIT6_EEPKT4_S3_PKS5_S9_S3_SB_S6_S9_S3_SB_S9_S3_PS5_21rocsparse_index_base_SD_SD_SD_bbb
    .private_segment_fixed_size: 0
    .sgpr_count:     42
    .sgpr_spill_count: 0
    .symbol:         _ZN9rocsparseL41csrgemm_numeric_fill_block_per_row_kernelILj128ELj16ELj256ELj137ELj64EiifEEvT5_PKS1_S3_NS_24const_host_device_scalarIT6_EEPKT4_S3_PKS5_S9_S3_SB_S6_S9_S3_SB_S9_S3_PS5_21rocsparse_index_base_SD_SD_SD_bbb.kd
    .uniform_work_group_size: 1
    .uses_dynamic_stack: false
    .vgpr_count:     16
    .vgpr_spill_count: 0
    .wavefront_size: 32
    .workgroup_processor_mode: 1
  - .args:
      - .offset:         0
        .size:           4
        .value_kind:     by_value
      - .actual_access:  read_only
        .address_space:  global
        .offset:         8
        .size:           8
        .value_kind:     global_buffer
      - .actual_access:  read_only
        .address_space:  global
        .offset:         16
        .size:           8
        .value_kind:     global_buffer
      - .offset:         24
        .size:           8
        .value_kind:     by_value
      - .actual_access:  read_only
        .address_space:  global
        .offset:         32
        .size:           8
        .value_kind:     global_buffer
      - .actual_access:  read_only
        .address_space:  global
        .offset:         40
        .size:           8
        .value_kind:     global_buffer
      - .actual_access:  read_only
        .address_space:  global
        .offset:         48
        .size:           8
        .value_kind:     global_buffer
      - .actual_access:  read_only
        .address_space:  global
        .offset:         56
        .size:           8
        .value_kind:     global_buffer
      - .actual_access:  read_only
        .address_space:  global
        .offset:         64
        .size:           8
        .value_kind:     global_buffer
      - .actual_access:  read_only
        .address_space:  global
        .offset:         72
        .size:           8
        .value_kind:     global_buffer
      - .offset:         80
        .size:           8
        .value_kind:     by_value
      - .actual_access:  read_only
        .address_space:  global
        .offset:         88
        .size:           8
        .value_kind:     global_buffer
      - .actual_access:  read_only
        .address_space:  global
        .offset:         96
        .size:           8
        .value_kind:     global_buffer
      - .actual_access:  read_only
        .address_space:  global
        .offset:         104
        .size:           8
        .value_kind:     global_buffer
      - .actual_access:  read_only
        .address_space:  global
        .offset:         112
        .size:           8
        .value_kind:     global_buffer
      - .actual_access:  read_only
        .address_space:  global
        .offset:         120
        .size:           8
        .value_kind:     global_buffer
      - .actual_access:  write_only
        .address_space:  global
        .offset:         128
        .size:           8
        .value_kind:     global_buffer
      - .offset:         136
        .size:           4
        .value_kind:     by_value
      - .offset:         140
        .size:           4
        .value_kind:     by_value
      - .offset:         144
        .size:           4
        .value_kind:     by_value
      - .offset:         148
        .size:           4
        .value_kind:     by_value
      - .offset:         152
        .size:           1
        .value_kind:     by_value
      - .offset:         153
        .size:           1
        .value_kind:     by_value
      - .offset:         154
        .size:           1
        .value_kind:     by_value
    .group_segment_fixed_size: 0
    .kernarg_segment_align: 8
    .kernarg_segment_size: 156
    .language:       OpenCL C
    .language_version:
      - 2
      - 0
    .max_flat_workgroup_size: 256
    .name:           _ZN9rocsparseL41csrgemm_numeric_fill_block_per_row_kernelILj256ELj32ELj512ELj137ELj32EiifEEvT5_PKS1_S3_NS_24const_host_device_scalarIT6_EEPKT4_S3_PKS5_S9_S3_SB_S6_S9_S3_SB_S9_S3_PS5_21rocsparse_index_base_SD_SD_SD_bbb
    .private_segment_fixed_size: 0
    .sgpr_count:     42
    .sgpr_spill_count: 0
    .symbol:         _ZN9rocsparseL41csrgemm_numeric_fill_block_per_row_kernelILj256ELj32ELj512ELj137ELj32EiifEEvT5_PKS1_S3_NS_24const_host_device_scalarIT6_EEPKT4_S3_PKS5_S9_S3_SB_S6_S9_S3_SB_S9_S3_PS5_21rocsparse_index_base_SD_SD_SD_bbb.kd
    .uniform_work_group_size: 1
    .uses_dynamic_stack: false
    .vgpr_count:     16
    .vgpr_spill_count: 0
    .wavefront_size: 32
    .workgroup_processor_mode: 1
  - .args:
      - .offset:         0
        .size:           4
        .value_kind:     by_value
      - .actual_access:  read_only
        .address_space:  global
        .offset:         8
        .size:           8
        .value_kind:     global_buffer
      - .actual_access:  read_only
        .address_space:  global
        .offset:         16
        .size:           8
        .value_kind:     global_buffer
      - .offset:         24
        .size:           8
        .value_kind:     by_value
      - .actual_access:  read_only
        .address_space:  global
        .offset:         32
        .size:           8
        .value_kind:     global_buffer
      - .actual_access:  read_only
        .address_space:  global
        .offset:         40
        .size:           8
        .value_kind:     global_buffer
      - .actual_access:  read_only
        .address_space:  global
        .offset:         48
        .size:           8
        .value_kind:     global_buffer
      - .actual_access:  read_only
        .address_space:  global
        .offset:         56
        .size:           8
        .value_kind:     global_buffer
      - .actual_access:  read_only
        .address_space:  global
        .offset:         64
        .size:           8
        .value_kind:     global_buffer
      - .actual_access:  read_only
        .address_space:  global
        .offset:         72
        .size:           8
        .value_kind:     global_buffer
      - .offset:         80
        .size:           8
        .value_kind:     by_value
      - .actual_access:  read_only
        .address_space:  global
        .offset:         88
        .size:           8
        .value_kind:     global_buffer
      - .actual_access:  read_only
        .address_space:  global
        .offset:         96
        .size:           8
        .value_kind:     global_buffer
      - .actual_access:  read_only
        .address_space:  global
        .offset:         104
        .size:           8
        .value_kind:     global_buffer
      - .actual_access:  read_only
        .address_space:  global
        .offset:         112
        .size:           8
        .value_kind:     global_buffer
      - .actual_access:  read_only
        .address_space:  global
        .offset:         120
        .size:           8
        .value_kind:     global_buffer
      - .actual_access:  write_only
        .address_space:  global
        .offset:         128
        .size:           8
        .value_kind:     global_buffer
      - .offset:         136
        .size:           4
        .value_kind:     by_value
      - .offset:         140
        .size:           4
        .value_kind:     by_value
      - .offset:         144
        .size:           4
        .value_kind:     by_value
      - .offset:         148
        .size:           4
        .value_kind:     by_value
      - .offset:         152
        .size:           1
        .value_kind:     by_value
      - .offset:         153
        .size:           1
        .value_kind:     by_value
      - .offset:         154
        .size:           1
        .value_kind:     by_value
    .group_segment_fixed_size: 0
    .kernarg_segment_align: 8
    .kernarg_segment_size: 156
    .language:       OpenCL C
    .language_version:
      - 2
      - 0
    .max_flat_workgroup_size: 256
    .name:           _ZN9rocsparseL41csrgemm_numeric_fill_block_per_row_kernelILj256ELj32ELj512ELj137ELj64EiifEEvT5_PKS1_S3_NS_24const_host_device_scalarIT6_EEPKT4_S3_PKS5_S9_S3_SB_S6_S9_S3_SB_S9_S3_PS5_21rocsparse_index_base_SD_SD_SD_bbb
    .private_segment_fixed_size: 0
    .sgpr_count:     42
    .sgpr_spill_count: 0
    .symbol:         _ZN9rocsparseL41csrgemm_numeric_fill_block_per_row_kernelILj256ELj32ELj512ELj137ELj64EiifEEvT5_PKS1_S3_NS_24const_host_device_scalarIT6_EEPKT4_S3_PKS5_S9_S3_SB_S6_S9_S3_SB_S9_S3_PS5_21rocsparse_index_base_SD_SD_SD_bbb.kd
    .uniform_work_group_size: 1
    .uses_dynamic_stack: false
    .vgpr_count:     15
    .vgpr_spill_count: 0
    .wavefront_size: 32
    .workgroup_processor_mode: 1
  - .args:
      - .offset:         0
        .size:           4
        .value_kind:     by_value
      - .actual_access:  read_only
        .address_space:  global
        .offset:         8
        .size:           8
        .value_kind:     global_buffer
      - .actual_access:  read_only
        .address_space:  global
        .offset:         16
        .size:           8
        .value_kind:     global_buffer
      - .offset:         24
        .size:           8
        .value_kind:     by_value
      - .actual_access:  read_only
        .address_space:  global
        .offset:         32
        .size:           8
        .value_kind:     global_buffer
      - .actual_access:  read_only
        .address_space:  global
        .offset:         40
        .size:           8
        .value_kind:     global_buffer
      - .actual_access:  read_only
        .address_space:  global
        .offset:         48
        .size:           8
        .value_kind:     global_buffer
      - .actual_access:  read_only
        .address_space:  global
        .offset:         56
        .size:           8
        .value_kind:     global_buffer
      - .actual_access:  read_only
        .address_space:  global
        .offset:         64
        .size:           8
        .value_kind:     global_buffer
      - .actual_access:  read_only
        .address_space:  global
        .offset:         72
        .size:           8
        .value_kind:     global_buffer
      - .offset:         80
        .size:           8
        .value_kind:     by_value
      - .actual_access:  read_only
        .address_space:  global
        .offset:         88
        .size:           8
        .value_kind:     global_buffer
      - .actual_access:  read_only
        .address_space:  global
        .offset:         96
        .size:           8
        .value_kind:     global_buffer
      - .actual_access:  read_only
        .address_space:  global
        .offset:         104
        .size:           8
        .value_kind:     global_buffer
      - .actual_access:  read_only
        .address_space:  global
        .offset:         112
        .size:           8
        .value_kind:     global_buffer
      - .actual_access:  read_only
        .address_space:  global
        .offset:         120
        .size:           8
        .value_kind:     global_buffer
      - .actual_access:  write_only
        .address_space:  global
        .offset:         128
        .size:           8
        .value_kind:     global_buffer
      - .offset:         136
        .size:           4
        .value_kind:     by_value
      - .offset:         140
        .size:           4
        .value_kind:     by_value
      - .offset:         144
        .size:           4
        .value_kind:     by_value
      - .offset:         148
        .size:           4
        .value_kind:     by_value
      - .offset:         152
        .size:           1
        .value_kind:     by_value
      - .offset:         153
        .size:           1
        .value_kind:     by_value
      - .offset:         154
        .size:           1
        .value_kind:     by_value
    .group_segment_fixed_size: 0
    .kernarg_segment_align: 8
    .kernarg_segment_size: 156
    .language:       OpenCL C
    .language_version:
      - 2
      - 0
    .max_flat_workgroup_size: 512
    .name:           _ZN9rocsparseL41csrgemm_numeric_fill_block_per_row_kernelILj512ELj32ELj1024ELj137ELj32EiifEEvT5_PKS1_S3_NS_24const_host_device_scalarIT6_EEPKT4_S3_PKS5_S9_S3_SB_S6_S9_S3_SB_S9_S3_PS5_21rocsparse_index_base_SD_SD_SD_bbb
    .private_segment_fixed_size: 0
    .sgpr_count:     42
    .sgpr_spill_count: 0
    .symbol:         _ZN9rocsparseL41csrgemm_numeric_fill_block_per_row_kernelILj512ELj32ELj1024ELj137ELj32EiifEEvT5_PKS1_S3_NS_24const_host_device_scalarIT6_EEPKT4_S3_PKS5_S9_S3_SB_S6_S9_S3_SB_S9_S3_PS5_21rocsparse_index_base_SD_SD_SD_bbb.kd
    .uniform_work_group_size: 1
    .uses_dynamic_stack: false
    .vgpr_count:     16
    .vgpr_spill_count: 0
    .wavefront_size: 32
    .workgroup_processor_mode: 1
  - .args:
      - .offset:         0
        .size:           4
        .value_kind:     by_value
      - .actual_access:  read_only
        .address_space:  global
        .offset:         8
        .size:           8
        .value_kind:     global_buffer
      - .actual_access:  read_only
        .address_space:  global
        .offset:         16
        .size:           8
        .value_kind:     global_buffer
      - .offset:         24
        .size:           8
        .value_kind:     by_value
      - .actual_access:  read_only
        .address_space:  global
        .offset:         32
        .size:           8
        .value_kind:     global_buffer
      - .actual_access:  read_only
        .address_space:  global
        .offset:         40
        .size:           8
        .value_kind:     global_buffer
      - .actual_access:  read_only
        .address_space:  global
        .offset:         48
        .size:           8
        .value_kind:     global_buffer
      - .actual_access:  read_only
        .address_space:  global
        .offset:         56
        .size:           8
        .value_kind:     global_buffer
      - .actual_access:  read_only
        .address_space:  global
        .offset:         64
        .size:           8
        .value_kind:     global_buffer
      - .actual_access:  read_only
        .address_space:  global
        .offset:         72
        .size:           8
        .value_kind:     global_buffer
      - .offset:         80
        .size:           8
        .value_kind:     by_value
      - .actual_access:  read_only
        .address_space:  global
        .offset:         88
        .size:           8
        .value_kind:     global_buffer
      - .actual_access:  read_only
        .address_space:  global
        .offset:         96
        .size:           8
        .value_kind:     global_buffer
      - .actual_access:  read_only
        .address_space:  global
        .offset:         104
        .size:           8
        .value_kind:     global_buffer
      - .actual_access:  read_only
        .address_space:  global
        .offset:         112
        .size:           8
        .value_kind:     global_buffer
      - .actual_access:  read_only
        .address_space:  global
        .offset:         120
        .size:           8
        .value_kind:     global_buffer
      - .actual_access:  write_only
        .address_space:  global
        .offset:         128
        .size:           8
        .value_kind:     global_buffer
      - .offset:         136
        .size:           4
        .value_kind:     by_value
      - .offset:         140
        .size:           4
        .value_kind:     by_value
      - .offset:         144
        .size:           4
        .value_kind:     by_value
      - .offset:         148
        .size:           4
        .value_kind:     by_value
      - .offset:         152
        .size:           1
        .value_kind:     by_value
      - .offset:         153
        .size:           1
        .value_kind:     by_value
      - .offset:         154
        .size:           1
        .value_kind:     by_value
    .group_segment_fixed_size: 0
    .kernarg_segment_align: 8
    .kernarg_segment_size: 156
    .language:       OpenCL C
    .language_version:
      - 2
      - 0
    .max_flat_workgroup_size: 512
    .name:           _ZN9rocsparseL41csrgemm_numeric_fill_block_per_row_kernelILj512ELj32ELj1024ELj137ELj64EiifEEvT5_PKS1_S3_NS_24const_host_device_scalarIT6_EEPKT4_S3_PKS5_S9_S3_SB_S6_S9_S3_SB_S9_S3_PS5_21rocsparse_index_base_SD_SD_SD_bbb
    .private_segment_fixed_size: 0
    .sgpr_count:     42
    .sgpr_spill_count: 0
    .symbol:         _ZN9rocsparseL41csrgemm_numeric_fill_block_per_row_kernelILj512ELj32ELj1024ELj137ELj64EiifEEvT5_PKS1_S3_NS_24const_host_device_scalarIT6_EEPKT4_S3_PKS5_S9_S3_SB_S6_S9_S3_SB_S9_S3_PS5_21rocsparse_index_base_SD_SD_SD_bbb.kd
    .uniform_work_group_size: 1
    .uses_dynamic_stack: false
    .vgpr_count:     15
    .vgpr_spill_count: 0
    .wavefront_size: 32
    .workgroup_processor_mode: 1
  - .args:
      - .offset:         0
        .size:           4
        .value_kind:     by_value
      - .actual_access:  read_only
        .address_space:  global
        .offset:         8
        .size:           8
        .value_kind:     global_buffer
      - .actual_access:  read_only
        .address_space:  global
        .offset:         16
        .size:           8
        .value_kind:     global_buffer
      - .offset:         24
        .size:           8
        .value_kind:     by_value
      - .actual_access:  read_only
        .address_space:  global
        .offset:         32
        .size:           8
        .value_kind:     global_buffer
      - .actual_access:  read_only
        .address_space:  global
        .offset:         40
        .size:           8
        .value_kind:     global_buffer
      - .actual_access:  read_only
        .address_space:  global
        .offset:         48
        .size:           8
        .value_kind:     global_buffer
      - .actual_access:  read_only
        .address_space:  global
        .offset:         56
        .size:           8
        .value_kind:     global_buffer
      - .actual_access:  read_only
        .address_space:  global
        .offset:         64
        .size:           8
        .value_kind:     global_buffer
      - .actual_access:  read_only
        .address_space:  global
        .offset:         72
        .size:           8
        .value_kind:     global_buffer
      - .offset:         80
        .size:           8
        .value_kind:     by_value
      - .actual_access:  read_only
        .address_space:  global
        .offset:         88
        .size:           8
        .value_kind:     global_buffer
      - .actual_access:  read_only
        .address_space:  global
        .offset:         96
        .size:           8
        .value_kind:     global_buffer
      - .actual_access:  read_only
        .address_space:  global
        .offset:         104
        .size:           8
        .value_kind:     global_buffer
      - .actual_access:  read_only
        .address_space:  global
        .offset:         112
        .size:           8
        .value_kind:     global_buffer
      - .actual_access:  read_only
        .address_space:  global
        .offset:         120
        .size:           8
        .value_kind:     global_buffer
      - .actual_access:  write_only
        .address_space:  global
        .offset:         128
        .size:           8
        .value_kind:     global_buffer
      - .offset:         136
        .size:           4
        .value_kind:     by_value
      - .offset:         140
        .size:           4
        .value_kind:     by_value
      - .offset:         144
        .size:           4
        .value_kind:     by_value
      - .offset:         148
        .size:           4
        .value_kind:     by_value
      - .offset:         152
        .size:           1
        .value_kind:     by_value
      - .offset:         153
        .size:           1
        .value_kind:     by_value
      - .offset:         154
        .size:           1
        .value_kind:     by_value
    .group_segment_fixed_size: 0
    .kernarg_segment_align: 8
    .kernarg_segment_size: 156
    .language:       OpenCL C
    .language_version:
      - 2
      - 0
    .max_flat_workgroup_size: 1024
    .name:           _ZN9rocsparseL41csrgemm_numeric_fill_block_per_row_kernelILj1024ELj32ELj2048ELj137ELj32EiifEEvT5_PKS1_S3_NS_24const_host_device_scalarIT6_EEPKT4_S3_PKS5_S9_S3_SB_S6_S9_S3_SB_S9_S3_PS5_21rocsparse_index_base_SD_SD_SD_bbb
    .private_segment_fixed_size: 0
    .sgpr_count:     52
    .sgpr_spill_count: 0
    .symbol:         _ZN9rocsparseL41csrgemm_numeric_fill_block_per_row_kernelILj1024ELj32ELj2048ELj137ELj32EiifEEvT5_PKS1_S3_NS_24const_host_device_scalarIT6_EEPKT4_S3_PKS5_S9_S3_SB_S6_S9_S3_SB_S9_S3_PS5_21rocsparse_index_base_SD_SD_SD_bbb.kd
    .uniform_work_group_size: 1
    .uses_dynamic_stack: false
    .vgpr_count:     16
    .vgpr_spill_count: 0
    .wavefront_size: 32
    .workgroup_processor_mode: 1
  - .args:
      - .offset:         0
        .size:           4
        .value_kind:     by_value
      - .actual_access:  read_only
        .address_space:  global
        .offset:         8
        .size:           8
        .value_kind:     global_buffer
      - .actual_access:  read_only
        .address_space:  global
        .offset:         16
        .size:           8
        .value_kind:     global_buffer
      - .offset:         24
        .size:           8
        .value_kind:     by_value
      - .actual_access:  read_only
        .address_space:  global
        .offset:         32
        .size:           8
        .value_kind:     global_buffer
      - .actual_access:  read_only
        .address_space:  global
        .offset:         40
        .size:           8
        .value_kind:     global_buffer
      - .actual_access:  read_only
        .address_space:  global
        .offset:         48
        .size:           8
        .value_kind:     global_buffer
      - .actual_access:  read_only
        .address_space:  global
        .offset:         56
        .size:           8
        .value_kind:     global_buffer
      - .actual_access:  read_only
        .address_space:  global
        .offset:         64
        .size:           8
        .value_kind:     global_buffer
      - .actual_access:  read_only
        .address_space:  global
        .offset:         72
        .size:           8
        .value_kind:     global_buffer
      - .offset:         80
        .size:           8
        .value_kind:     by_value
      - .actual_access:  read_only
        .address_space:  global
        .offset:         88
        .size:           8
        .value_kind:     global_buffer
      - .actual_access:  read_only
        .address_space:  global
        .offset:         96
        .size:           8
        .value_kind:     global_buffer
      - .actual_access:  read_only
        .address_space:  global
        .offset:         104
        .size:           8
        .value_kind:     global_buffer
      - .actual_access:  read_only
        .address_space:  global
        .offset:         112
        .size:           8
        .value_kind:     global_buffer
      - .actual_access:  read_only
        .address_space:  global
        .offset:         120
        .size:           8
        .value_kind:     global_buffer
      - .actual_access:  write_only
        .address_space:  global
        .offset:         128
        .size:           8
        .value_kind:     global_buffer
      - .offset:         136
        .size:           4
        .value_kind:     by_value
      - .offset:         140
        .size:           4
        .value_kind:     by_value
      - .offset:         144
        .size:           4
        .value_kind:     by_value
      - .offset:         148
        .size:           4
        .value_kind:     by_value
      - .offset:         152
        .size:           1
        .value_kind:     by_value
      - .offset:         153
        .size:           1
        .value_kind:     by_value
      - .offset:         154
        .size:           1
        .value_kind:     by_value
    .group_segment_fixed_size: 0
    .kernarg_segment_align: 8
    .kernarg_segment_size: 156
    .language:       OpenCL C
    .language_version:
      - 2
      - 0
    .max_flat_workgroup_size: 1024
    .name:           _ZN9rocsparseL41csrgemm_numeric_fill_block_per_row_kernelILj1024ELj32ELj2048ELj137ELj64EiifEEvT5_PKS1_S3_NS_24const_host_device_scalarIT6_EEPKT4_S3_PKS5_S9_S3_SB_S6_S9_S3_SB_S9_S3_PS5_21rocsparse_index_base_SD_SD_SD_bbb
    .private_segment_fixed_size: 0
    .sgpr_count:     42
    .sgpr_spill_count: 0
    .symbol:         _ZN9rocsparseL41csrgemm_numeric_fill_block_per_row_kernelILj1024ELj32ELj2048ELj137ELj64EiifEEvT5_PKS1_S3_NS_24const_host_device_scalarIT6_EEPKT4_S3_PKS5_S9_S3_SB_S6_S9_S3_SB_S9_S3_PS5_21rocsparse_index_base_SD_SD_SD_bbb.kd
    .uniform_work_group_size: 1
    .uses_dynamic_stack: false
    .vgpr_count:     15
    .vgpr_spill_count: 0
    .wavefront_size: 32
    .workgroup_processor_mode: 1
  - .args:
      - .offset:         0
        .size:           4
        .value_kind:     by_value
      - .actual_access:  read_only
        .address_space:  global
        .offset:         8
        .size:           8
        .value_kind:     global_buffer
      - .actual_access:  read_only
        .address_space:  global
        .offset:         16
        .size:           8
        .value_kind:     global_buffer
      - .offset:         24
        .size:           8
        .value_kind:     by_value
      - .actual_access:  read_only
        .address_space:  global
        .offset:         32
        .size:           8
        .value_kind:     global_buffer
      - .actual_access:  read_only
        .address_space:  global
        .offset:         40
        .size:           8
        .value_kind:     global_buffer
      - .actual_access:  read_only
        .address_space:  global
        .offset:         48
        .size:           8
        .value_kind:     global_buffer
      - .actual_access:  read_only
        .address_space:  global
        .offset:         56
        .size:           8
        .value_kind:     global_buffer
      - .actual_access:  read_only
        .address_space:  global
        .offset:         64
        .size:           8
        .value_kind:     global_buffer
      - .actual_access:  read_only
        .address_space:  global
        .offset:         72
        .size:           8
        .value_kind:     global_buffer
      - .offset:         80
        .size:           8
        .value_kind:     by_value
      - .actual_access:  read_only
        .address_space:  global
        .offset:         88
        .size:           8
        .value_kind:     global_buffer
      - .actual_access:  read_only
        .address_space:  global
        .offset:         96
        .size:           8
        .value_kind:     global_buffer
      - .actual_access:  read_only
        .address_space:  global
        .offset:         104
        .size:           8
        .value_kind:     global_buffer
      - .actual_access:  read_only
        .address_space:  global
        .offset:         112
        .size:           8
        .value_kind:     global_buffer
      - .actual_access:  read_only
        .address_space:  global
        .offset:         120
        .size:           8
        .value_kind:     global_buffer
      - .actual_access:  write_only
        .address_space:  global
        .offset:         128
        .size:           8
        .value_kind:     global_buffer
      - .offset:         136
        .size:           4
        .value_kind:     by_value
      - .offset:         140
        .size:           4
        .value_kind:     by_value
      - .offset:         144
        .size:           4
        .value_kind:     by_value
      - .offset:         148
        .size:           4
        .value_kind:     by_value
      - .offset:         152
        .size:           1
        .value_kind:     by_value
      - .offset:         153
        .size:           1
        .value_kind:     by_value
      - .offset:         154
        .size:           1
        .value_kind:     by_value
    .group_segment_fixed_size: 0
    .kernarg_segment_align: 8
    .kernarg_segment_size: 156
    .language:       OpenCL C
    .language_version:
      - 2
      - 0
    .max_flat_workgroup_size: 1024
    .name:           _ZN9rocsparseL41csrgemm_numeric_fill_block_per_row_kernelILj1024ELj64ELj4096ELj137ELj32EiifEEvT5_PKS1_S3_NS_24const_host_device_scalarIT6_EEPKT4_S3_PKS5_S9_S3_SB_S6_S9_S3_SB_S9_S3_PS5_21rocsparse_index_base_SD_SD_SD_bbb
    .private_segment_fixed_size: 0
    .sgpr_count:     52
    .sgpr_spill_count: 0
    .symbol:         _ZN9rocsparseL41csrgemm_numeric_fill_block_per_row_kernelILj1024ELj64ELj4096ELj137ELj32EiifEEvT5_PKS1_S3_NS_24const_host_device_scalarIT6_EEPKT4_S3_PKS5_S9_S3_SB_S6_S9_S3_SB_S9_S3_PS5_21rocsparse_index_base_SD_SD_SD_bbb.kd
    .uniform_work_group_size: 1
    .uses_dynamic_stack: false
    .vgpr_count:     15
    .vgpr_spill_count: 0
    .wavefront_size: 32
    .workgroup_processor_mode: 1
  - .args:
      - .offset:         0
        .size:           4
        .value_kind:     by_value
      - .actual_access:  read_only
        .address_space:  global
        .offset:         8
        .size:           8
        .value_kind:     global_buffer
      - .actual_access:  read_only
        .address_space:  global
        .offset:         16
        .size:           8
        .value_kind:     global_buffer
      - .offset:         24
        .size:           8
        .value_kind:     by_value
      - .actual_access:  read_only
        .address_space:  global
        .offset:         32
        .size:           8
        .value_kind:     global_buffer
      - .actual_access:  read_only
        .address_space:  global
        .offset:         40
        .size:           8
        .value_kind:     global_buffer
      - .actual_access:  read_only
        .address_space:  global
        .offset:         48
        .size:           8
        .value_kind:     global_buffer
      - .actual_access:  read_only
        .address_space:  global
        .offset:         56
        .size:           8
        .value_kind:     global_buffer
      - .actual_access:  read_only
        .address_space:  global
        .offset:         64
        .size:           8
        .value_kind:     global_buffer
      - .actual_access:  read_only
        .address_space:  global
        .offset:         72
        .size:           8
        .value_kind:     global_buffer
      - .offset:         80
        .size:           8
        .value_kind:     by_value
      - .actual_access:  read_only
        .address_space:  global
        .offset:         88
        .size:           8
        .value_kind:     global_buffer
      - .actual_access:  read_only
        .address_space:  global
        .offset:         96
        .size:           8
        .value_kind:     global_buffer
      - .actual_access:  read_only
        .address_space:  global
        .offset:         104
        .size:           8
        .value_kind:     global_buffer
      - .actual_access:  read_only
        .address_space:  global
        .offset:         112
        .size:           8
        .value_kind:     global_buffer
      - .actual_access:  read_only
        .address_space:  global
        .offset:         120
        .size:           8
        .value_kind:     global_buffer
      - .actual_access:  write_only
        .address_space:  global
        .offset:         128
        .size:           8
        .value_kind:     global_buffer
      - .offset:         136
        .size:           4
        .value_kind:     by_value
      - .offset:         140
        .size:           4
        .value_kind:     by_value
      - .offset:         144
        .size:           4
        .value_kind:     by_value
      - .offset:         148
        .size:           4
        .value_kind:     by_value
      - .offset:         152
        .size:           1
        .value_kind:     by_value
      - .offset:         153
        .size:           1
        .value_kind:     by_value
      - .offset:         154
        .size:           1
        .value_kind:     by_value
    .group_segment_fixed_size: 0
    .kernarg_segment_align: 8
    .kernarg_segment_size: 156
    .language:       OpenCL C
    .language_version:
      - 2
      - 0
    .max_flat_workgroup_size: 1024
    .name:           _ZN9rocsparseL41csrgemm_numeric_fill_block_per_row_kernelILj1024ELj64ELj4096ELj137ELj64EiifEEvT5_PKS1_S3_NS_24const_host_device_scalarIT6_EEPKT4_S3_PKS5_S9_S3_SB_S6_S9_S3_SB_S9_S3_PS5_21rocsparse_index_base_SD_SD_SD_bbb
    .private_segment_fixed_size: 0
    .sgpr_count:     42
    .sgpr_spill_count: 0
    .symbol:         _ZN9rocsparseL41csrgemm_numeric_fill_block_per_row_kernelILj1024ELj64ELj4096ELj137ELj64EiifEEvT5_PKS1_S3_NS_24const_host_device_scalarIT6_EEPKT4_S3_PKS5_S9_S3_SB_S6_S9_S3_SB_S9_S3_PS5_21rocsparse_index_base_SD_SD_SD_bbb.kd
    .uniform_work_group_size: 1
    .uses_dynamic_stack: false
    .vgpr_count:     16
    .vgpr_spill_count: 0
    .wavefront_size: 32
    .workgroup_processor_mode: 1
  - .args:
      - .offset:         0
        .size:           4
        .value_kind:     by_value
      - .actual_access:  read_only
        .address_space:  global
        .offset:         8
        .size:           8
        .value_kind:     global_buffer
      - .actual_access:  read_only
        .address_space:  global
        .offset:         16
        .size:           8
        .value_kind:     global_buffer
      - .offset:         24
        .size:           8
        .value_kind:     by_value
      - .actual_access:  read_only
        .address_space:  global
        .offset:         32
        .size:           8
        .value_kind:     global_buffer
      - .actual_access:  read_only
        .address_space:  global
        .offset:         40
        .size:           8
        .value_kind:     global_buffer
      - .actual_access:  read_only
        .address_space:  global
        .offset:         48
        .size:           8
        .value_kind:     global_buffer
      - .actual_access:  read_only
        .address_space:  global
        .offset:         56
        .size:           8
        .value_kind:     global_buffer
      - .actual_access:  read_only
        .address_space:  global
        .offset:         64
        .size:           8
        .value_kind:     global_buffer
      - .actual_access:  read_only
        .address_space:  global
        .offset:         72
        .size:           8
        .value_kind:     global_buffer
      - .offset:         80
        .size:           8
        .value_kind:     by_value
      - .actual_access:  read_only
        .address_space:  global
        .offset:         88
        .size:           8
        .value_kind:     global_buffer
      - .actual_access:  read_only
        .address_space:  global
        .offset:         96
        .size:           8
        .value_kind:     global_buffer
      - .actual_access:  read_only
        .address_space:  global
        .offset:         104
        .size:           8
        .value_kind:     global_buffer
      - .actual_access:  read_only
        .address_space:  global
        .offset:         112
        .size:           8
        .value_kind:     global_buffer
      - .actual_access:  read_only
        .address_space:  global
        .offset:         120
        .size:           8
        .value_kind:     global_buffer
      - .actual_access:  write_only
        .address_space:  global
        .offset:         128
        .size:           8
        .value_kind:     global_buffer
      - .offset:         136
        .size:           4
        .value_kind:     by_value
      - .offset:         140
        .size:           4
        .value_kind:     by_value
      - .offset:         144
        .size:           4
        .value_kind:     by_value
      - .offset:         148
        .size:           4
        .value_kind:     by_value
      - .offset:         152
        .size:           1
        .value_kind:     by_value
      - .offset:         153
        .size:           1
        .value_kind:     by_value
      - .offset:         154
        .size:           1
        .value_kind:     by_value
    .group_segment_fixed_size: 0
    .kernarg_segment_align: 8
    .kernarg_segment_size: 156
    .language:       OpenCL C
    .language_version:
      - 2
      - 0
    .max_flat_workgroup_size: 1024
    .name:           _ZN9rocsparseL41csrgemm_numeric_fill_block_per_row_kernelILj1024ELj64ELj8192ELj137ELj32EiifEEvT5_PKS1_S3_NS_24const_host_device_scalarIT6_EEPKT4_S3_PKS5_S9_S3_SB_S6_S9_S3_SB_S9_S3_PS5_21rocsparse_index_base_SD_SD_SD_bbb
    .private_segment_fixed_size: 0
    .sgpr_count:     76
    .sgpr_spill_count: 0
    .symbol:         _ZN9rocsparseL41csrgemm_numeric_fill_block_per_row_kernelILj1024ELj64ELj8192ELj137ELj32EiifEEvT5_PKS1_S3_NS_24const_host_device_scalarIT6_EEPKT4_S3_PKS5_S9_S3_SB_S6_S9_S3_SB_S9_S3_PS5_21rocsparse_index_base_SD_SD_SD_bbb.kd
    .uniform_work_group_size: 1
    .uses_dynamic_stack: false
    .vgpr_count:     14
    .vgpr_spill_count: 0
    .wavefront_size: 32
    .workgroup_processor_mode: 1
  - .args:
      - .offset:         0
        .size:           4
        .value_kind:     by_value
      - .actual_access:  read_only
        .address_space:  global
        .offset:         8
        .size:           8
        .value_kind:     global_buffer
      - .actual_access:  read_only
        .address_space:  global
        .offset:         16
        .size:           8
        .value_kind:     global_buffer
      - .offset:         24
        .size:           8
        .value_kind:     by_value
      - .actual_access:  read_only
        .address_space:  global
        .offset:         32
        .size:           8
        .value_kind:     global_buffer
      - .actual_access:  read_only
        .address_space:  global
        .offset:         40
        .size:           8
        .value_kind:     global_buffer
      - .actual_access:  read_only
        .address_space:  global
        .offset:         48
        .size:           8
        .value_kind:     global_buffer
      - .actual_access:  read_only
        .address_space:  global
        .offset:         56
        .size:           8
        .value_kind:     global_buffer
      - .actual_access:  read_only
        .address_space:  global
        .offset:         64
        .size:           8
        .value_kind:     global_buffer
      - .actual_access:  read_only
        .address_space:  global
        .offset:         72
        .size:           8
        .value_kind:     global_buffer
      - .offset:         80
        .size:           8
        .value_kind:     by_value
      - .actual_access:  read_only
        .address_space:  global
        .offset:         88
        .size:           8
        .value_kind:     global_buffer
      - .actual_access:  read_only
        .address_space:  global
        .offset:         96
        .size:           8
        .value_kind:     global_buffer
      - .actual_access:  read_only
        .address_space:  global
        .offset:         104
        .size:           8
        .value_kind:     global_buffer
      - .actual_access:  read_only
        .address_space:  global
        .offset:         112
        .size:           8
        .value_kind:     global_buffer
      - .actual_access:  read_only
        .address_space:  global
        .offset:         120
        .size:           8
        .value_kind:     global_buffer
      - .actual_access:  write_only
        .address_space:  global
        .offset:         128
        .size:           8
        .value_kind:     global_buffer
      - .offset:         136
        .size:           4
        .value_kind:     by_value
      - .offset:         140
        .size:           4
        .value_kind:     by_value
      - .offset:         144
        .size:           4
        .value_kind:     by_value
      - .offset:         148
        .size:           4
        .value_kind:     by_value
      - .offset:         152
        .size:           1
        .value_kind:     by_value
      - .offset:         153
        .size:           1
        .value_kind:     by_value
      - .offset:         154
        .size:           1
        .value_kind:     by_value
    .group_segment_fixed_size: 0
    .kernarg_segment_align: 8
    .kernarg_segment_size: 156
    .language:       OpenCL C
    .language_version:
      - 2
      - 0
    .max_flat_workgroup_size: 1024
    .name:           _ZN9rocsparseL41csrgemm_numeric_fill_block_per_row_kernelILj1024ELj64ELj8192ELj137ELj64EiifEEvT5_PKS1_S3_NS_24const_host_device_scalarIT6_EEPKT4_S3_PKS5_S9_S3_SB_S6_S9_S3_SB_S9_S3_PS5_21rocsparse_index_base_SD_SD_SD_bbb
    .private_segment_fixed_size: 0
    .sgpr_count:     44
    .sgpr_spill_count: 0
    .symbol:         _ZN9rocsparseL41csrgemm_numeric_fill_block_per_row_kernelILj1024ELj64ELj8192ELj137ELj64EiifEEvT5_PKS1_S3_NS_24const_host_device_scalarIT6_EEPKT4_S3_PKS5_S9_S3_SB_S6_S9_S3_SB_S9_S3_PS5_21rocsparse_index_base_SD_SD_SD_bbb.kd
    .uniform_work_group_size: 1
    .uses_dynamic_stack: false
    .vgpr_count:     14
    .vgpr_spill_count: 0
    .wavefront_size: 32
    .workgroup_processor_mode: 1
  - .args:
      - .offset:         0
        .size:           4
        .value_kind:     by_value
      - .actual_access:  read_only
        .address_space:  global
        .offset:         8
        .size:           8
        .value_kind:     global_buffer
      - .actual_access:  read_only
        .address_space:  global
        .offset:         16
        .size:           8
        .value_kind:     global_buffer
      - .offset:         24
        .size:           8
        .value_kind:     by_value
      - .actual_access:  read_only
        .address_space:  global
        .offset:         32
        .size:           8
        .value_kind:     global_buffer
      - .actual_access:  read_only
        .address_space:  global
        .offset:         40
        .size:           8
        .value_kind:     global_buffer
      - .actual_access:  read_only
        .address_space:  global
        .offset:         48
        .size:           8
        .value_kind:     global_buffer
      - .actual_access:  read_only
        .address_space:  global
        .offset:         56
        .size:           8
        .value_kind:     global_buffer
      - .actual_access:  read_only
        .address_space:  global
        .offset:         64
        .size:           8
        .value_kind:     global_buffer
      - .actual_access:  read_only
        .address_space:  global
        .offset:         72
        .size:           8
        .value_kind:     global_buffer
      - .offset:         80
        .size:           8
        .value_kind:     by_value
      - .actual_access:  read_only
        .address_space:  global
        .offset:         88
        .size:           8
        .value_kind:     global_buffer
      - .actual_access:  read_only
        .address_space:  global
        .offset:         96
        .size:           8
        .value_kind:     global_buffer
      - .actual_access:  read_only
        .address_space:  global
        .offset:         104
        .size:           8
        .value_kind:     global_buffer
      - .actual_access:  read_only
        .address_space:  global
        .offset:         112
        .size:           8
        .value_kind:     global_buffer
      - .actual_access:  read_only
        .address_space:  global
        .offset:         120
        .size:           8
        .value_kind:     global_buffer
      - .actual_access:  write_only
        .address_space:  global
        .offset:         128
        .size:           8
        .value_kind:     global_buffer
      - .offset:         136
        .size:           4
        .value_kind:     by_value
      - .offset:         140
        .size:           4
        .value_kind:     by_value
      - .offset:         144
        .size:           4
        .value_kind:     by_value
      - .offset:         148
        .size:           4
        .value_kind:     by_value
      - .offset:         152
        .size:           1
        .value_kind:     by_value
      - .offset:         153
        .size:           1
        .value_kind:     by_value
      - .offset:         154
        .size:           1
        .value_kind:     by_value
    .group_segment_fixed_size: 0
    .kernarg_segment_align: 8
    .kernarg_segment_size: 156
    .language:       OpenCL C
    .language_version:
      - 2
      - 0
    .max_flat_workgroup_size: 1024
    .name:           _ZN9rocsparseL41csrgemm_numeric_fill_block_per_row_kernelILj1024ELj64ELj16384ELj137ELj32EiifEEvT5_PKS1_S3_NS_24const_host_device_scalarIT6_EEPKT4_S3_PKS5_S9_S3_SB_S6_S9_S3_SB_S9_S3_PS5_21rocsparse_index_base_SD_SD_SD_bbb
    .private_segment_fixed_size: 0
    .sgpr_count:     76
    .sgpr_spill_count: 0
    .symbol:         _ZN9rocsparseL41csrgemm_numeric_fill_block_per_row_kernelILj1024ELj64ELj16384ELj137ELj32EiifEEvT5_PKS1_S3_NS_24const_host_device_scalarIT6_EEPKT4_S3_PKS5_S9_S3_SB_S6_S9_S3_SB_S9_S3_PS5_21rocsparse_index_base_SD_SD_SD_bbb.kd
    .uniform_work_group_size: 1
    .uses_dynamic_stack: false
    .vgpr_count:     15
    .vgpr_spill_count: 0
    .wavefront_size: 32
    .workgroup_processor_mode: 1
  - .args:
      - .offset:         0
        .size:           4
        .value_kind:     by_value
      - .actual_access:  read_only
        .address_space:  global
        .offset:         8
        .size:           8
        .value_kind:     global_buffer
      - .actual_access:  read_only
        .address_space:  global
        .offset:         16
        .size:           8
        .value_kind:     global_buffer
      - .offset:         24
        .size:           8
        .value_kind:     by_value
      - .actual_access:  read_only
        .address_space:  global
        .offset:         32
        .size:           8
        .value_kind:     global_buffer
      - .actual_access:  read_only
        .address_space:  global
        .offset:         40
        .size:           8
        .value_kind:     global_buffer
      - .actual_access:  read_only
        .address_space:  global
        .offset:         48
        .size:           8
        .value_kind:     global_buffer
      - .actual_access:  read_only
        .address_space:  global
        .offset:         56
        .size:           8
        .value_kind:     global_buffer
      - .actual_access:  read_only
        .address_space:  global
        .offset:         64
        .size:           8
        .value_kind:     global_buffer
      - .actual_access:  read_only
        .address_space:  global
        .offset:         72
        .size:           8
        .value_kind:     global_buffer
      - .offset:         80
        .size:           8
        .value_kind:     by_value
      - .actual_access:  read_only
        .address_space:  global
        .offset:         88
        .size:           8
        .value_kind:     global_buffer
      - .actual_access:  read_only
        .address_space:  global
        .offset:         96
        .size:           8
        .value_kind:     global_buffer
      - .actual_access:  read_only
        .address_space:  global
        .offset:         104
        .size:           8
        .value_kind:     global_buffer
      - .actual_access:  read_only
        .address_space:  global
        .offset:         112
        .size:           8
        .value_kind:     global_buffer
      - .actual_access:  read_only
        .address_space:  global
        .offset:         120
        .size:           8
        .value_kind:     global_buffer
      - .actual_access:  write_only
        .address_space:  global
        .offset:         128
        .size:           8
        .value_kind:     global_buffer
      - .offset:         136
        .size:           4
        .value_kind:     by_value
      - .offset:         140
        .size:           4
        .value_kind:     by_value
      - .offset:         144
        .size:           4
        .value_kind:     by_value
      - .offset:         148
        .size:           4
        .value_kind:     by_value
      - .offset:         152
        .size:           1
        .value_kind:     by_value
      - .offset:         153
        .size:           1
        .value_kind:     by_value
      - .offset:         154
        .size:           1
        .value_kind:     by_value
    .group_segment_fixed_size: 0
    .kernarg_segment_align: 8
    .kernarg_segment_size: 156
    .language:       OpenCL C
    .language_version:
      - 2
      - 0
    .max_flat_workgroup_size: 1024
    .name:           _ZN9rocsparseL41csrgemm_numeric_fill_block_per_row_kernelILj1024ELj64ELj16384ELj137ELj64EiifEEvT5_PKS1_S3_NS_24const_host_device_scalarIT6_EEPKT4_S3_PKS5_S9_S3_SB_S6_S9_S3_SB_S9_S3_PS5_21rocsparse_index_base_SD_SD_SD_bbb
    .private_segment_fixed_size: 0
    .sgpr_count:     44
    .sgpr_spill_count: 0
    .symbol:         _ZN9rocsparseL41csrgemm_numeric_fill_block_per_row_kernelILj1024ELj64ELj16384ELj137ELj64EiifEEvT5_PKS1_S3_NS_24const_host_device_scalarIT6_EEPKT4_S3_PKS5_S9_S3_SB_S6_S9_S3_SB_S9_S3_PS5_21rocsparse_index_base_SD_SD_SD_bbb.kd
    .uniform_work_group_size: 1
    .uses_dynamic_stack: false
    .vgpr_count:     16
    .vgpr_spill_count: 0
    .wavefront_size: 32
    .workgroup_processor_mode: 1
  - .args:
      - .offset:         0
        .size:           4
        .value_kind:     by_value
      - .actual_access:  read_only
        .address_space:  global
        .offset:         8
        .size:           8
        .value_kind:     global_buffer
      - .actual_access:  read_only
        .address_space:  global
        .offset:         16
        .size:           8
        .value_kind:     global_buffer
      - .offset:         24
        .size:           8
        .value_kind:     by_value
      - .actual_access:  read_only
        .address_space:  global
        .offset:         32
        .size:           8
        .value_kind:     global_buffer
      - .actual_access:  read_only
        .address_space:  global
        .offset:         40
        .size:           8
        .value_kind:     global_buffer
      - .actual_access:  read_only
        .address_space:  global
        .offset:         48
        .size:           8
        .value_kind:     global_buffer
      - .actual_access:  read_only
        .address_space:  global
        .offset:         56
        .size:           8
        .value_kind:     global_buffer
      - .actual_access:  read_only
        .address_space:  global
        .offset:         64
        .size:           8
        .value_kind:     global_buffer
      - .actual_access:  read_only
        .address_space:  global
        .offset:         72
        .size:           8
        .value_kind:     global_buffer
      - .offset:         80
        .size:           8
        .value_kind:     by_value
      - .actual_access:  read_only
        .address_space:  global
        .offset:         88
        .size:           8
        .value_kind:     global_buffer
      - .actual_access:  read_only
        .address_space:  global
        .offset:         96
        .size:           8
        .value_kind:     global_buffer
      - .actual_access:  read_only
        .address_space:  global
        .offset:         104
        .size:           8
        .value_kind:     global_buffer
      - .actual_access:  read_only
        .address_space:  global
        .offset:         112
        .size:           8
        .value_kind:     global_buffer
      - .actual_access:  read_only
        .address_space:  global
        .offset:         120
        .size:           8
        .value_kind:     global_buffer
      - .actual_access:  write_only
        .address_space:  global
        .offset:         128
        .size:           8
        .value_kind:     global_buffer
      - .offset:         136
        .size:           4
        .value_kind:     by_value
      - .offset:         140
        .size:           4
        .value_kind:     by_value
      - .offset:         144
        .size:           4
        .value_kind:     by_value
      - .offset:         148
        .size:           4
        .value_kind:     by_value
      - .offset:         152
        .size:           1
        .value_kind:     by_value
      - .offset:         153
        .size:           1
        .value_kind:     by_value
      - .offset:         154
        .size:           1
        .value_kind:     by_value
    .group_segment_fixed_size: 0
    .kernarg_segment_align: 8
    .kernarg_segment_size: 156
    .language:       OpenCL C
    .language_version:
      - 2
      - 0
    .max_flat_workgroup_size: 1024
    .name:           _ZN9rocsparseL41csrgemm_numeric_fill_block_per_row_kernelILj1024ELj64ELj32768ELj137ELj32EiifEEvT5_PKS1_S3_NS_24const_host_device_scalarIT6_EEPKT4_S3_PKS5_S9_S3_SB_S6_S9_S3_SB_S9_S3_PS5_21rocsparse_index_base_SD_SD_SD_bbb
    .private_segment_fixed_size: 0
    .sgpr_count:     76
    .sgpr_spill_count: 0
    .symbol:         _ZN9rocsparseL41csrgemm_numeric_fill_block_per_row_kernelILj1024ELj64ELj32768ELj137ELj32EiifEEvT5_PKS1_S3_NS_24const_host_device_scalarIT6_EEPKT4_S3_PKS5_S9_S3_SB_S6_S9_S3_SB_S9_S3_PS5_21rocsparse_index_base_SD_SD_SD_bbb.kd
    .uniform_work_group_size: 1
    .uses_dynamic_stack: false
    .vgpr_count:     15
    .vgpr_spill_count: 0
    .wavefront_size: 32
    .workgroup_processor_mode: 1
  - .args:
      - .offset:         0
        .size:           4
        .value_kind:     by_value
      - .actual_access:  read_only
        .address_space:  global
        .offset:         8
        .size:           8
        .value_kind:     global_buffer
      - .actual_access:  read_only
        .address_space:  global
        .offset:         16
        .size:           8
        .value_kind:     global_buffer
      - .offset:         24
        .size:           8
        .value_kind:     by_value
      - .actual_access:  read_only
        .address_space:  global
        .offset:         32
        .size:           8
        .value_kind:     global_buffer
      - .actual_access:  read_only
        .address_space:  global
        .offset:         40
        .size:           8
        .value_kind:     global_buffer
      - .actual_access:  read_only
        .address_space:  global
        .offset:         48
        .size:           8
        .value_kind:     global_buffer
      - .actual_access:  read_only
        .address_space:  global
        .offset:         56
        .size:           8
        .value_kind:     global_buffer
      - .actual_access:  read_only
        .address_space:  global
        .offset:         64
        .size:           8
        .value_kind:     global_buffer
      - .actual_access:  read_only
        .address_space:  global
        .offset:         72
        .size:           8
        .value_kind:     global_buffer
      - .offset:         80
        .size:           8
        .value_kind:     by_value
      - .actual_access:  read_only
        .address_space:  global
        .offset:         88
        .size:           8
        .value_kind:     global_buffer
      - .actual_access:  read_only
        .address_space:  global
        .offset:         96
        .size:           8
        .value_kind:     global_buffer
      - .actual_access:  read_only
        .address_space:  global
        .offset:         104
        .size:           8
        .value_kind:     global_buffer
      - .actual_access:  read_only
        .address_space:  global
        .offset:         112
        .size:           8
        .value_kind:     global_buffer
      - .actual_access:  read_only
        .address_space:  global
        .offset:         120
        .size:           8
        .value_kind:     global_buffer
      - .actual_access:  write_only
        .address_space:  global
        .offset:         128
        .size:           8
        .value_kind:     global_buffer
      - .offset:         136
        .size:           4
        .value_kind:     by_value
      - .offset:         140
        .size:           4
        .value_kind:     by_value
      - .offset:         144
        .size:           4
        .value_kind:     by_value
      - .offset:         148
        .size:           4
        .value_kind:     by_value
      - .offset:         152
        .size:           1
        .value_kind:     by_value
      - .offset:         153
        .size:           1
        .value_kind:     by_value
      - .offset:         154
        .size:           1
        .value_kind:     by_value
    .group_segment_fixed_size: 0
    .kernarg_segment_align: 8
    .kernarg_segment_size: 156
    .language:       OpenCL C
    .language_version:
      - 2
      - 0
    .max_flat_workgroup_size: 1024
    .name:           _ZN9rocsparseL41csrgemm_numeric_fill_block_per_row_kernelILj1024ELj64ELj32768ELj137ELj64EiifEEvT5_PKS1_S3_NS_24const_host_device_scalarIT6_EEPKT4_S3_PKS5_S9_S3_SB_S6_S9_S3_SB_S9_S3_PS5_21rocsparse_index_base_SD_SD_SD_bbb
    .private_segment_fixed_size: 0
    .sgpr_count:     44
    .sgpr_spill_count: 0
    .symbol:         _ZN9rocsparseL41csrgemm_numeric_fill_block_per_row_kernelILj1024ELj64ELj32768ELj137ELj64EiifEEvT5_PKS1_S3_NS_24const_host_device_scalarIT6_EEPKT4_S3_PKS5_S9_S3_SB_S6_S9_S3_SB_S9_S3_PS5_21rocsparse_index_base_SD_SD_SD_bbb.kd
    .uniform_work_group_size: 1
    .uses_dynamic_stack: false
    .vgpr_count:     16
    .vgpr_spill_count: 0
    .wavefront_size: 32
    .workgroup_processor_mode: 1
  - .args:
      - .offset:         0
        .size:           4
        .value_kind:     by_value
      - .actual_access:  read_only
        .address_space:  global
        .offset:         8
        .size:           8
        .value_kind:     global_buffer
      - .actual_access:  read_only
        .address_space:  global
        .offset:         16
        .size:           8
        .value_kind:     global_buffer
      - .offset:         24
        .size:           8
        .value_kind:     by_value
      - .actual_access:  read_only
        .address_space:  global
        .offset:         32
        .size:           8
        .value_kind:     global_buffer
      - .actual_access:  read_only
        .address_space:  global
        .offset:         40
        .size:           8
        .value_kind:     global_buffer
      - .actual_access:  read_only
        .address_space:  global
        .offset:         48
        .size:           8
        .value_kind:     global_buffer
      - .actual_access:  read_only
        .address_space:  global
        .offset:         56
        .size:           8
        .value_kind:     global_buffer
      - .actual_access:  read_only
        .address_space:  global
        .offset:         64
        .size:           8
        .value_kind:     global_buffer
      - .actual_access:  read_only
        .address_space:  global
        .offset:         72
        .size:           8
        .value_kind:     global_buffer
      - .offset:         80
        .size:           8
        .value_kind:     by_value
      - .actual_access:  read_only
        .address_space:  global
        .offset:         88
        .size:           8
        .value_kind:     global_buffer
      - .actual_access:  read_only
        .address_space:  global
        .offset:         96
        .size:           8
        .value_kind:     global_buffer
      - .actual_access:  read_only
        .address_space:  global
        .offset:         104
        .size:           8
        .value_kind:     global_buffer
      - .actual_access:  read_only
        .address_space:  global
        .offset:         112
        .size:           8
        .value_kind:     global_buffer
      - .actual_access:  read_only
        .address_space:  global
        .offset:         120
        .size:           8
        .value_kind:     global_buffer
      - .actual_access:  write_only
        .address_space:  global
        .offset:         128
        .size:           8
        .value_kind:     global_buffer
      - .address_space:  global
        .offset:         136
        .size:           8
        .value_kind:     global_buffer
      - .offset:         144
        .size:           4
        .value_kind:     by_value
      - .offset:         148
        .size:           4
        .value_kind:     by_value
      - .offset:         152
        .size:           4
        .value_kind:     by_value
      - .offset:         156
        .size:           4
        .value_kind:     by_value
      - .offset:         160
        .size:           1
        .value_kind:     by_value
      - .offset:         161
        .size:           1
        .value_kind:     by_value
      - .offset:         162
        .size:           1
        .value_kind:     by_value
    .group_segment_fixed_size: 10244
    .kernarg_segment_align: 8
    .kernarg_segment_size: 164
    .language:       OpenCL C
    .language_version:
      - 2
      - 0
    .max_flat_workgroup_size: 512
    .name:           _ZN9rocsparseL51csrgemm_numeric_fill_block_per_row_multipass_kernelILj512ELj16ELj2048ELj32EiifEEvT4_PKS1_S3_NS_24const_host_device_scalarIT5_EEPKT3_S3_PKS5_S9_S3_SB_S6_S9_S3_SB_S9_S3_PS5_PS7_21rocsparse_index_base_SE_SE_SE_bbb
    .private_segment_fixed_size: 0
    .sgpr_count:     61
    .sgpr_spill_count: 0
    .symbol:         _ZN9rocsparseL51csrgemm_numeric_fill_block_per_row_multipass_kernelILj512ELj16ELj2048ELj32EiifEEvT4_PKS1_S3_NS_24const_host_device_scalarIT5_EEPKT3_S3_PKS5_S9_S3_SB_S6_S9_S3_SB_S9_S3_PS5_PS7_21rocsparse_index_base_SE_SE_SE_bbb.kd
    .uniform_work_group_size: 1
    .uses_dynamic_stack: false
    .vgpr_count:     36
    .vgpr_spill_count: 0
    .wavefront_size: 32
    .workgroup_processor_mode: 1
  - .args:
      - .offset:         0
        .size:           4
        .value_kind:     by_value
      - .actual_access:  read_only
        .address_space:  global
        .offset:         8
        .size:           8
        .value_kind:     global_buffer
      - .actual_access:  read_only
        .address_space:  global
        .offset:         16
        .size:           8
        .value_kind:     global_buffer
      - .offset:         24
        .size:           8
        .value_kind:     by_value
      - .actual_access:  read_only
        .address_space:  global
        .offset:         32
        .size:           8
        .value_kind:     global_buffer
      - .actual_access:  read_only
        .address_space:  global
        .offset:         40
        .size:           8
        .value_kind:     global_buffer
      - .actual_access:  read_only
        .address_space:  global
        .offset:         48
        .size:           8
        .value_kind:     global_buffer
      - .actual_access:  read_only
        .address_space:  global
        .offset:         56
        .size:           8
        .value_kind:     global_buffer
      - .actual_access:  read_only
        .address_space:  global
        .offset:         64
        .size:           8
        .value_kind:     global_buffer
      - .actual_access:  read_only
        .address_space:  global
        .offset:         72
        .size:           8
        .value_kind:     global_buffer
      - .offset:         80
        .size:           8
        .value_kind:     by_value
      - .actual_access:  read_only
        .address_space:  global
        .offset:         88
        .size:           8
        .value_kind:     global_buffer
      - .actual_access:  read_only
        .address_space:  global
        .offset:         96
        .size:           8
        .value_kind:     global_buffer
      - .actual_access:  read_only
        .address_space:  global
        .offset:         104
        .size:           8
        .value_kind:     global_buffer
      - .actual_access:  read_only
        .address_space:  global
        .offset:         112
        .size:           8
        .value_kind:     global_buffer
      - .actual_access:  read_only
        .address_space:  global
        .offset:         120
        .size:           8
        .value_kind:     global_buffer
      - .actual_access:  write_only
        .address_space:  global
        .offset:         128
        .size:           8
        .value_kind:     global_buffer
      - .address_space:  global
        .offset:         136
        .size:           8
        .value_kind:     global_buffer
      - .offset:         144
        .size:           4
        .value_kind:     by_value
      - .offset:         148
        .size:           4
        .value_kind:     by_value
      - .offset:         152
        .size:           4
        .value_kind:     by_value
      - .offset:         156
        .size:           4
        .value_kind:     by_value
      - .offset:         160
        .size:           1
        .value_kind:     by_value
      - .offset:         161
        .size:           1
        .value_kind:     by_value
      - .offset:         162
        .size:           1
        .value_kind:     by_value
    .group_segment_fixed_size: 10244
    .kernarg_segment_align: 8
    .kernarg_segment_size: 164
    .language:       OpenCL C
    .language_version:
      - 2
      - 0
    .max_flat_workgroup_size: 512
    .name:           _ZN9rocsparseL51csrgemm_numeric_fill_block_per_row_multipass_kernelILj512ELj16ELj2048ELj64EiifEEvT4_PKS1_S3_NS_24const_host_device_scalarIT5_EEPKT3_S3_PKS5_S9_S3_SB_S6_S9_S3_SB_S9_S3_PS5_PS7_21rocsparse_index_base_SE_SE_SE_bbb
    .private_segment_fixed_size: 0
    .sgpr_count:     53
    .sgpr_spill_count: 0
    .symbol:         _ZN9rocsparseL51csrgemm_numeric_fill_block_per_row_multipass_kernelILj512ELj16ELj2048ELj64EiifEEvT4_PKS1_S3_NS_24const_host_device_scalarIT5_EEPKT3_S3_PKS5_S9_S3_SB_S6_S9_S3_SB_S9_S3_PS5_PS7_21rocsparse_index_base_SE_SE_SE_bbb.kd
    .uniform_work_group_size: 1
    .uses_dynamic_stack: false
    .vgpr_count:     31
    .vgpr_spill_count: 0
    .wavefront_size: 32
    .workgroup_processor_mode: 1
  - .args:
      - .offset:         0
        .size:           4
        .value_kind:     by_value
      - .offset:         4
        .size:           4
        .value_kind:     by_value
      - .actual_access:  read_only
        .address_space:  global
        .offset:         8
        .size:           8
        .value_kind:     global_buffer
      - .actual_access:  read_only
        .address_space:  global
        .offset:         16
        .size:           8
        .value_kind:     global_buffer
      - .offset:         24
        .size:           8
        .value_kind:     by_value
      - .actual_access:  read_only
        .address_space:  global
        .offset:         32
        .size:           8
        .value_kind:     global_buffer
      - .actual_access:  read_only
        .address_space:  global
        .offset:         40
        .size:           8
        .value_kind:     global_buffer
      - .actual_access:  read_only
        .address_space:  global
        .offset:         48
        .size:           8
        .value_kind:     global_buffer
      - .actual_access:  read_only
        .address_space:  global
        .offset:         56
        .size:           8
        .value_kind:     global_buffer
      - .actual_access:  read_only
        .address_space:  global
        .offset:         64
        .size:           8
        .value_kind:     global_buffer
      - .actual_access:  read_only
        .address_space:  global
        .offset:         72
        .size:           8
        .value_kind:     global_buffer
      - .offset:         80
        .size:           8
        .value_kind:     by_value
      - .actual_access:  read_only
        .address_space:  global
        .offset:         88
        .size:           8
        .value_kind:     global_buffer
      - .actual_access:  read_only
        .address_space:  global
        .offset:         96
        .size:           8
        .value_kind:     global_buffer
      - .actual_access:  read_only
        .address_space:  global
        .offset:         104
        .size:           8
        .value_kind:     global_buffer
      - .actual_access:  read_only
        .address_space:  global
        .offset:         112
        .size:           8
        .value_kind:     global_buffer
      - .actual_access:  read_only
        .address_space:  global
        .offset:         120
        .size:           8
        .value_kind:     global_buffer
      - .actual_access:  write_only
        .address_space:  global
        .offset:         128
        .size:           8
        .value_kind:     global_buffer
      - .offset:         136
        .size:           4
        .value_kind:     by_value
      - .offset:         140
        .size:           4
        .value_kind:     by_value
      - .offset:         144
        .size:           4
        .value_kind:     by_value
      - .offset:         148
        .size:           4
        .value_kind:     by_value
      - .offset:         152
        .size:           1
        .value_kind:     by_value
      - .offset:         153
        .size:           1
        .value_kind:     by_value
      - .offset:         154
        .size:           1
        .value_kind:     by_value
    .group_segment_fixed_size: 6144
    .kernarg_segment_align: 8
    .kernarg_segment_size: 156
    .language:       OpenCL C
    .language_version:
      - 2
      - 0
    .max_flat_workgroup_size: 256
    .name:           _ZN9rocsparseL38csrgemm_numeric_fill_wf_per_row_kernelILj256ELj8ELj16ELj137EiidEEvT4_S1_PKS1_S3_NS_24const_host_device_scalarIT5_EEPKT3_S3_PKS5_S9_S3_SB_S6_S9_S3_SB_S9_S3_PS5_21rocsparse_index_base_SD_SD_SD_bbb
    .private_segment_fixed_size: 0
    .sgpr_count:     44
    .sgpr_spill_count: 0
    .symbol:         _ZN9rocsparseL38csrgemm_numeric_fill_wf_per_row_kernelILj256ELj8ELj16ELj137EiidEEvT4_S1_PKS1_S3_NS_24const_host_device_scalarIT5_EEPKT3_S3_PKS5_S9_S3_SB_S6_S9_S3_SB_S9_S3_PS5_21rocsparse_index_base_SD_SD_SD_bbb.kd
    .uniform_work_group_size: 1
    .uses_dynamic_stack: false
    .vgpr_count:     27
    .vgpr_spill_count: 0
    .wavefront_size: 32
    .workgroup_processor_mode: 1
  - .args:
      - .offset:         0
        .size:           4
        .value_kind:     by_value
      - .offset:         4
        .size:           4
        .value_kind:     by_value
      - .actual_access:  read_only
        .address_space:  global
        .offset:         8
        .size:           8
        .value_kind:     global_buffer
      - .actual_access:  read_only
        .address_space:  global
        .offset:         16
        .size:           8
        .value_kind:     global_buffer
      - .offset:         24
        .size:           8
        .value_kind:     by_value
      - .actual_access:  read_only
        .address_space:  global
        .offset:         32
        .size:           8
        .value_kind:     global_buffer
      - .actual_access:  read_only
        .address_space:  global
        .offset:         40
        .size:           8
        .value_kind:     global_buffer
      - .actual_access:  read_only
        .address_space:  global
        .offset:         48
        .size:           8
        .value_kind:     global_buffer
      - .actual_access:  read_only
        .address_space:  global
        .offset:         56
        .size:           8
        .value_kind:     global_buffer
      - .actual_access:  read_only
        .address_space:  global
        .offset:         64
        .size:           8
        .value_kind:     global_buffer
      - .actual_access:  read_only
        .address_space:  global
        .offset:         72
        .size:           8
        .value_kind:     global_buffer
      - .offset:         80
        .size:           8
        .value_kind:     by_value
      - .actual_access:  read_only
        .address_space:  global
        .offset:         88
        .size:           8
        .value_kind:     global_buffer
      - .actual_access:  read_only
        .address_space:  global
        .offset:         96
        .size:           8
        .value_kind:     global_buffer
      - .actual_access:  read_only
        .address_space:  global
        .offset:         104
        .size:           8
        .value_kind:     global_buffer
      - .actual_access:  read_only
        .address_space:  global
        .offset:         112
        .size:           8
        .value_kind:     global_buffer
      - .actual_access:  read_only
        .address_space:  global
        .offset:         120
        .size:           8
        .value_kind:     global_buffer
      - .actual_access:  write_only
        .address_space:  global
        .offset:         128
        .size:           8
        .value_kind:     global_buffer
      - .offset:         136
        .size:           4
        .value_kind:     by_value
      - .offset:         140
        .size:           4
        .value_kind:     by_value
      - .offset:         144
        .size:           4
        .value_kind:     by_value
      - .offset:         148
        .size:           4
        .value_kind:     by_value
      - .offset:         152
        .size:           1
        .value_kind:     by_value
      - .offset:         153
        .size:           1
        .value_kind:     by_value
      - .offset:         154
        .size:           1
        .value_kind:     by_value
    .group_segment_fixed_size: 6144
    .kernarg_segment_align: 8
    .kernarg_segment_size: 156
    .language:       OpenCL C
    .language_version:
      - 2
      - 0
    .max_flat_workgroup_size: 256
    .name:           _ZN9rocsparseL38csrgemm_numeric_fill_wf_per_row_kernelILj256ELj16ELj32ELj137EiidEEvT4_S1_PKS1_S3_NS_24const_host_device_scalarIT5_EEPKT3_S3_PKS5_S9_S3_SB_S6_S9_S3_SB_S9_S3_PS5_21rocsparse_index_base_SD_SD_SD_bbb
    .private_segment_fixed_size: 0
    .sgpr_count:     44
    .sgpr_spill_count: 0
    .symbol:         _ZN9rocsparseL38csrgemm_numeric_fill_wf_per_row_kernelILj256ELj16ELj32ELj137EiidEEvT4_S1_PKS1_S3_NS_24const_host_device_scalarIT5_EEPKT3_S3_PKS5_S9_S3_SB_S6_S9_S3_SB_S9_S3_PS5_21rocsparse_index_base_SD_SD_SD_bbb.kd
    .uniform_work_group_size: 1
    .uses_dynamic_stack: false
    .vgpr_count:     38
    .vgpr_spill_count: 0
    .wavefront_size: 32
    .workgroup_processor_mode: 1
  - .args:
      - .offset:         0
        .size:           4
        .value_kind:     by_value
      - .actual_access:  read_only
        .address_space:  global
        .offset:         8
        .size:           8
        .value_kind:     global_buffer
      - .actual_access:  read_only
        .address_space:  global
        .offset:         16
        .size:           8
        .value_kind:     global_buffer
      - .offset:         24
        .size:           8
        .value_kind:     by_value
      - .actual_access:  read_only
        .address_space:  global
        .offset:         32
        .size:           8
        .value_kind:     global_buffer
      - .actual_access:  read_only
        .address_space:  global
        .offset:         40
        .size:           8
        .value_kind:     global_buffer
      - .actual_access:  read_only
        .address_space:  global
        .offset:         48
        .size:           8
        .value_kind:     global_buffer
      - .actual_access:  read_only
        .address_space:  global
        .offset:         56
        .size:           8
        .value_kind:     global_buffer
      - .actual_access:  read_only
        .address_space:  global
        .offset:         64
        .size:           8
        .value_kind:     global_buffer
      - .actual_access:  read_only
        .address_space:  global
        .offset:         72
        .size:           8
        .value_kind:     global_buffer
      - .offset:         80
        .size:           8
        .value_kind:     by_value
      - .actual_access:  read_only
        .address_space:  global
        .offset:         88
        .size:           8
        .value_kind:     global_buffer
      - .actual_access:  read_only
        .address_space:  global
        .offset:         96
        .size:           8
        .value_kind:     global_buffer
      - .actual_access:  read_only
        .address_space:  global
        .offset:         104
        .size:           8
        .value_kind:     global_buffer
      - .actual_access:  read_only
        .address_space:  global
        .offset:         112
        .size:           8
        .value_kind:     global_buffer
      - .actual_access:  read_only
        .address_space:  global
        .offset:         120
        .size:           8
        .value_kind:     global_buffer
      - .actual_access:  write_only
        .address_space:  global
        .offset:         128
        .size:           8
        .value_kind:     global_buffer
      - .offset:         136
        .size:           4
        .value_kind:     by_value
      - .offset:         140
        .size:           4
        .value_kind:     by_value
      - .offset:         144
        .size:           4
        .value_kind:     by_value
      - .offset:         148
        .size:           4
        .value_kind:     by_value
      - .offset:         152
        .size:           1
        .value_kind:     by_value
      - .offset:         153
        .size:           1
        .value_kind:     by_value
      - .offset:         154
        .size:           1
        .value_kind:     by_value
    .group_segment_fixed_size: 0
    .kernarg_segment_align: 8
    .kernarg_segment_size: 156
    .language:       OpenCL C
    .language_version:
      - 2
      - 0
    .max_flat_workgroup_size: 128
    .name:           _ZN9rocsparseL41csrgemm_numeric_fill_block_per_row_kernelILj128ELj16ELj256ELj137ELj32EiidEEvT5_PKS1_S3_NS_24const_host_device_scalarIT6_EEPKT4_S3_PKS5_S9_S3_SB_S6_S9_S3_SB_S9_S3_PS5_21rocsparse_index_base_SD_SD_SD_bbb
    .private_segment_fixed_size: 0
    .sgpr_count:     42
    .sgpr_spill_count: 0
    .symbol:         _ZN9rocsparseL41csrgemm_numeric_fill_block_per_row_kernelILj128ELj16ELj256ELj137ELj32EiidEEvT5_PKS1_S3_NS_24const_host_device_scalarIT6_EEPKT4_S3_PKS5_S9_S3_SB_S6_S9_S3_SB_S9_S3_PS5_21rocsparse_index_base_SD_SD_SD_bbb.kd
    .uniform_work_group_size: 1
    .uses_dynamic_stack: false
    .vgpr_count:     23
    .vgpr_spill_count: 0
    .wavefront_size: 32
    .workgroup_processor_mode: 1
  - .args:
      - .offset:         0
        .size:           4
        .value_kind:     by_value
      - .actual_access:  read_only
        .address_space:  global
        .offset:         8
        .size:           8
        .value_kind:     global_buffer
      - .actual_access:  read_only
        .address_space:  global
        .offset:         16
        .size:           8
        .value_kind:     global_buffer
      - .offset:         24
        .size:           8
        .value_kind:     by_value
      - .actual_access:  read_only
        .address_space:  global
        .offset:         32
        .size:           8
        .value_kind:     global_buffer
      - .actual_access:  read_only
        .address_space:  global
        .offset:         40
        .size:           8
        .value_kind:     global_buffer
      - .actual_access:  read_only
        .address_space:  global
        .offset:         48
        .size:           8
        .value_kind:     global_buffer
      - .actual_access:  read_only
        .address_space:  global
        .offset:         56
        .size:           8
        .value_kind:     global_buffer
      - .actual_access:  read_only
        .address_space:  global
        .offset:         64
        .size:           8
        .value_kind:     global_buffer
      - .actual_access:  read_only
        .address_space:  global
        .offset:         72
        .size:           8
        .value_kind:     global_buffer
      - .offset:         80
        .size:           8
        .value_kind:     by_value
      - .actual_access:  read_only
        .address_space:  global
        .offset:         88
        .size:           8
        .value_kind:     global_buffer
      - .actual_access:  read_only
        .address_space:  global
        .offset:         96
        .size:           8
        .value_kind:     global_buffer
      - .actual_access:  read_only
        .address_space:  global
        .offset:         104
        .size:           8
        .value_kind:     global_buffer
      - .actual_access:  read_only
        .address_space:  global
        .offset:         112
        .size:           8
        .value_kind:     global_buffer
      - .actual_access:  read_only
        .address_space:  global
        .offset:         120
        .size:           8
        .value_kind:     global_buffer
      - .actual_access:  write_only
        .address_space:  global
        .offset:         128
        .size:           8
        .value_kind:     global_buffer
      - .offset:         136
        .size:           4
        .value_kind:     by_value
      - .offset:         140
        .size:           4
        .value_kind:     by_value
      - .offset:         144
        .size:           4
        .value_kind:     by_value
      - .offset:         148
        .size:           4
        .value_kind:     by_value
      - .offset:         152
        .size:           1
        .value_kind:     by_value
      - .offset:         153
        .size:           1
        .value_kind:     by_value
      - .offset:         154
        .size:           1
        .value_kind:     by_value
    .group_segment_fixed_size: 0
    .kernarg_segment_align: 8
    .kernarg_segment_size: 156
    .language:       OpenCL C
    .language_version:
      - 2
      - 0
    .max_flat_workgroup_size: 128
    .name:           _ZN9rocsparseL41csrgemm_numeric_fill_block_per_row_kernelILj128ELj16ELj256ELj137ELj64EiidEEvT5_PKS1_S3_NS_24const_host_device_scalarIT6_EEPKT4_S3_PKS5_S9_S3_SB_S6_S9_S3_SB_S9_S3_PS5_21rocsparse_index_base_SD_SD_SD_bbb
    .private_segment_fixed_size: 0
    .sgpr_count:     42
    .sgpr_spill_count: 0
    .symbol:         _ZN9rocsparseL41csrgemm_numeric_fill_block_per_row_kernelILj128ELj16ELj256ELj137ELj64EiidEEvT5_PKS1_S3_NS_24const_host_device_scalarIT6_EEPKT4_S3_PKS5_S9_S3_SB_S6_S9_S3_SB_S9_S3_PS5_21rocsparse_index_base_SD_SD_SD_bbb.kd
    .uniform_work_group_size: 1
    .uses_dynamic_stack: false
    .vgpr_count:     24
    .vgpr_spill_count: 0
    .wavefront_size: 32
    .workgroup_processor_mode: 1
  - .args:
      - .offset:         0
        .size:           4
        .value_kind:     by_value
      - .actual_access:  read_only
        .address_space:  global
        .offset:         8
        .size:           8
        .value_kind:     global_buffer
      - .actual_access:  read_only
        .address_space:  global
        .offset:         16
        .size:           8
        .value_kind:     global_buffer
      - .offset:         24
        .size:           8
        .value_kind:     by_value
      - .actual_access:  read_only
        .address_space:  global
        .offset:         32
        .size:           8
        .value_kind:     global_buffer
      - .actual_access:  read_only
        .address_space:  global
        .offset:         40
        .size:           8
        .value_kind:     global_buffer
      - .actual_access:  read_only
        .address_space:  global
        .offset:         48
        .size:           8
        .value_kind:     global_buffer
      - .actual_access:  read_only
        .address_space:  global
        .offset:         56
        .size:           8
        .value_kind:     global_buffer
      - .actual_access:  read_only
        .address_space:  global
        .offset:         64
        .size:           8
        .value_kind:     global_buffer
      - .actual_access:  read_only
        .address_space:  global
        .offset:         72
        .size:           8
        .value_kind:     global_buffer
      - .offset:         80
        .size:           8
        .value_kind:     by_value
      - .actual_access:  read_only
        .address_space:  global
        .offset:         88
        .size:           8
        .value_kind:     global_buffer
      - .actual_access:  read_only
        .address_space:  global
        .offset:         96
        .size:           8
        .value_kind:     global_buffer
      - .actual_access:  read_only
        .address_space:  global
        .offset:         104
        .size:           8
        .value_kind:     global_buffer
      - .actual_access:  read_only
        .address_space:  global
        .offset:         112
        .size:           8
        .value_kind:     global_buffer
      - .actual_access:  read_only
        .address_space:  global
        .offset:         120
        .size:           8
        .value_kind:     global_buffer
      - .actual_access:  write_only
        .address_space:  global
        .offset:         128
        .size:           8
        .value_kind:     global_buffer
      - .offset:         136
        .size:           4
        .value_kind:     by_value
      - .offset:         140
        .size:           4
        .value_kind:     by_value
      - .offset:         144
        .size:           4
        .value_kind:     by_value
      - .offset:         148
        .size:           4
        .value_kind:     by_value
      - .offset:         152
        .size:           1
        .value_kind:     by_value
      - .offset:         153
        .size:           1
        .value_kind:     by_value
      - .offset:         154
        .size:           1
        .value_kind:     by_value
    .group_segment_fixed_size: 0
    .kernarg_segment_align: 8
    .kernarg_segment_size: 156
    .language:       OpenCL C
    .language_version:
      - 2
      - 0
    .max_flat_workgroup_size: 256
    .name:           _ZN9rocsparseL41csrgemm_numeric_fill_block_per_row_kernelILj256ELj32ELj512ELj137ELj32EiidEEvT5_PKS1_S3_NS_24const_host_device_scalarIT6_EEPKT4_S3_PKS5_S9_S3_SB_S6_S9_S3_SB_S9_S3_PS5_21rocsparse_index_base_SD_SD_SD_bbb
    .private_segment_fixed_size: 0
    .sgpr_count:     42
    .sgpr_spill_count: 0
    .symbol:         _ZN9rocsparseL41csrgemm_numeric_fill_block_per_row_kernelILj256ELj32ELj512ELj137ELj32EiidEEvT5_PKS1_S3_NS_24const_host_device_scalarIT6_EEPKT4_S3_PKS5_S9_S3_SB_S6_S9_S3_SB_S9_S3_PS5_21rocsparse_index_base_SD_SD_SD_bbb.kd
    .uniform_work_group_size: 1
    .uses_dynamic_stack: false
    .vgpr_count:     24
    .vgpr_spill_count: 0
    .wavefront_size: 32
    .workgroup_processor_mode: 1
  - .args:
      - .offset:         0
        .size:           4
        .value_kind:     by_value
      - .actual_access:  read_only
        .address_space:  global
        .offset:         8
        .size:           8
        .value_kind:     global_buffer
      - .actual_access:  read_only
        .address_space:  global
        .offset:         16
        .size:           8
        .value_kind:     global_buffer
      - .offset:         24
        .size:           8
        .value_kind:     by_value
      - .actual_access:  read_only
        .address_space:  global
        .offset:         32
        .size:           8
        .value_kind:     global_buffer
      - .actual_access:  read_only
        .address_space:  global
        .offset:         40
        .size:           8
        .value_kind:     global_buffer
      - .actual_access:  read_only
        .address_space:  global
        .offset:         48
        .size:           8
        .value_kind:     global_buffer
      - .actual_access:  read_only
        .address_space:  global
        .offset:         56
        .size:           8
        .value_kind:     global_buffer
      - .actual_access:  read_only
        .address_space:  global
        .offset:         64
        .size:           8
        .value_kind:     global_buffer
      - .actual_access:  read_only
        .address_space:  global
        .offset:         72
        .size:           8
        .value_kind:     global_buffer
      - .offset:         80
        .size:           8
        .value_kind:     by_value
      - .actual_access:  read_only
        .address_space:  global
        .offset:         88
        .size:           8
        .value_kind:     global_buffer
      - .actual_access:  read_only
        .address_space:  global
        .offset:         96
        .size:           8
        .value_kind:     global_buffer
      - .actual_access:  read_only
        .address_space:  global
        .offset:         104
        .size:           8
        .value_kind:     global_buffer
      - .actual_access:  read_only
        .address_space:  global
        .offset:         112
        .size:           8
        .value_kind:     global_buffer
      - .actual_access:  read_only
        .address_space:  global
        .offset:         120
        .size:           8
        .value_kind:     global_buffer
      - .actual_access:  write_only
        .address_space:  global
        .offset:         128
        .size:           8
        .value_kind:     global_buffer
      - .offset:         136
        .size:           4
        .value_kind:     by_value
      - .offset:         140
        .size:           4
        .value_kind:     by_value
      - .offset:         144
        .size:           4
        .value_kind:     by_value
      - .offset:         148
        .size:           4
        .value_kind:     by_value
      - .offset:         152
        .size:           1
        .value_kind:     by_value
      - .offset:         153
        .size:           1
        .value_kind:     by_value
      - .offset:         154
        .size:           1
        .value_kind:     by_value
    .group_segment_fixed_size: 0
    .kernarg_segment_align: 8
    .kernarg_segment_size: 156
    .language:       OpenCL C
    .language_version:
      - 2
      - 0
    .max_flat_workgroup_size: 256
    .name:           _ZN9rocsparseL41csrgemm_numeric_fill_block_per_row_kernelILj256ELj32ELj512ELj137ELj64EiidEEvT5_PKS1_S3_NS_24const_host_device_scalarIT6_EEPKT4_S3_PKS5_S9_S3_SB_S6_S9_S3_SB_S9_S3_PS5_21rocsparse_index_base_SD_SD_SD_bbb
    .private_segment_fixed_size: 0
    .sgpr_count:     42
    .sgpr_spill_count: 0
    .symbol:         _ZN9rocsparseL41csrgemm_numeric_fill_block_per_row_kernelILj256ELj32ELj512ELj137ELj64EiidEEvT5_PKS1_S3_NS_24const_host_device_scalarIT6_EEPKT4_S3_PKS5_S9_S3_SB_S6_S9_S3_SB_S9_S3_PS5_21rocsparse_index_base_SD_SD_SD_bbb.kd
    .uniform_work_group_size: 1
    .uses_dynamic_stack: false
    .vgpr_count:     23
    .vgpr_spill_count: 0
    .wavefront_size: 32
    .workgroup_processor_mode: 1
  - .args:
      - .offset:         0
        .size:           4
        .value_kind:     by_value
      - .actual_access:  read_only
        .address_space:  global
        .offset:         8
        .size:           8
        .value_kind:     global_buffer
      - .actual_access:  read_only
        .address_space:  global
        .offset:         16
        .size:           8
        .value_kind:     global_buffer
      - .offset:         24
        .size:           8
        .value_kind:     by_value
      - .actual_access:  read_only
        .address_space:  global
        .offset:         32
        .size:           8
        .value_kind:     global_buffer
      - .actual_access:  read_only
        .address_space:  global
        .offset:         40
        .size:           8
        .value_kind:     global_buffer
      - .actual_access:  read_only
        .address_space:  global
        .offset:         48
        .size:           8
        .value_kind:     global_buffer
      - .actual_access:  read_only
        .address_space:  global
        .offset:         56
        .size:           8
        .value_kind:     global_buffer
      - .actual_access:  read_only
        .address_space:  global
        .offset:         64
        .size:           8
        .value_kind:     global_buffer
      - .actual_access:  read_only
        .address_space:  global
        .offset:         72
        .size:           8
        .value_kind:     global_buffer
      - .offset:         80
        .size:           8
        .value_kind:     by_value
      - .actual_access:  read_only
        .address_space:  global
        .offset:         88
        .size:           8
        .value_kind:     global_buffer
      - .actual_access:  read_only
        .address_space:  global
        .offset:         96
        .size:           8
        .value_kind:     global_buffer
      - .actual_access:  read_only
        .address_space:  global
        .offset:         104
        .size:           8
        .value_kind:     global_buffer
      - .actual_access:  read_only
        .address_space:  global
        .offset:         112
        .size:           8
        .value_kind:     global_buffer
      - .actual_access:  read_only
        .address_space:  global
        .offset:         120
        .size:           8
        .value_kind:     global_buffer
      - .actual_access:  write_only
        .address_space:  global
        .offset:         128
        .size:           8
        .value_kind:     global_buffer
      - .offset:         136
        .size:           4
        .value_kind:     by_value
      - .offset:         140
        .size:           4
        .value_kind:     by_value
      - .offset:         144
        .size:           4
        .value_kind:     by_value
      - .offset:         148
        .size:           4
        .value_kind:     by_value
      - .offset:         152
        .size:           1
        .value_kind:     by_value
      - .offset:         153
        .size:           1
        .value_kind:     by_value
      - .offset:         154
        .size:           1
        .value_kind:     by_value
    .group_segment_fixed_size: 0
    .kernarg_segment_align: 8
    .kernarg_segment_size: 156
    .language:       OpenCL C
    .language_version:
      - 2
      - 0
    .max_flat_workgroup_size: 512
    .name:           _ZN9rocsparseL41csrgemm_numeric_fill_block_per_row_kernelILj512ELj32ELj1024ELj137ELj32EiidEEvT5_PKS1_S3_NS_24const_host_device_scalarIT6_EEPKT4_S3_PKS5_S9_S3_SB_S6_S9_S3_SB_S9_S3_PS5_21rocsparse_index_base_SD_SD_SD_bbb
    .private_segment_fixed_size: 0
    .sgpr_count:     44
    .sgpr_spill_count: 0
    .symbol:         _ZN9rocsparseL41csrgemm_numeric_fill_block_per_row_kernelILj512ELj32ELj1024ELj137ELj32EiidEEvT5_PKS1_S3_NS_24const_host_device_scalarIT6_EEPKT4_S3_PKS5_S9_S3_SB_S6_S9_S3_SB_S9_S3_PS5_21rocsparse_index_base_SD_SD_SD_bbb.kd
    .uniform_work_group_size: 1
    .uses_dynamic_stack: false
    .vgpr_count:     24
    .vgpr_spill_count: 0
    .wavefront_size: 32
    .workgroup_processor_mode: 1
  - .args:
      - .offset:         0
        .size:           4
        .value_kind:     by_value
      - .actual_access:  read_only
        .address_space:  global
        .offset:         8
        .size:           8
        .value_kind:     global_buffer
      - .actual_access:  read_only
        .address_space:  global
        .offset:         16
        .size:           8
        .value_kind:     global_buffer
      - .offset:         24
        .size:           8
        .value_kind:     by_value
      - .actual_access:  read_only
        .address_space:  global
        .offset:         32
        .size:           8
        .value_kind:     global_buffer
      - .actual_access:  read_only
        .address_space:  global
        .offset:         40
        .size:           8
        .value_kind:     global_buffer
      - .actual_access:  read_only
        .address_space:  global
        .offset:         48
        .size:           8
        .value_kind:     global_buffer
      - .actual_access:  read_only
        .address_space:  global
        .offset:         56
        .size:           8
        .value_kind:     global_buffer
      - .actual_access:  read_only
        .address_space:  global
        .offset:         64
        .size:           8
        .value_kind:     global_buffer
      - .actual_access:  read_only
        .address_space:  global
        .offset:         72
        .size:           8
        .value_kind:     global_buffer
      - .offset:         80
        .size:           8
        .value_kind:     by_value
      - .actual_access:  read_only
        .address_space:  global
        .offset:         88
        .size:           8
        .value_kind:     global_buffer
      - .actual_access:  read_only
        .address_space:  global
        .offset:         96
        .size:           8
        .value_kind:     global_buffer
      - .actual_access:  read_only
        .address_space:  global
        .offset:         104
        .size:           8
        .value_kind:     global_buffer
      - .actual_access:  read_only
        .address_space:  global
        .offset:         112
        .size:           8
        .value_kind:     global_buffer
      - .actual_access:  read_only
        .address_space:  global
        .offset:         120
        .size:           8
        .value_kind:     global_buffer
      - .actual_access:  write_only
        .address_space:  global
        .offset:         128
        .size:           8
        .value_kind:     global_buffer
      - .offset:         136
        .size:           4
        .value_kind:     by_value
      - .offset:         140
        .size:           4
        .value_kind:     by_value
      - .offset:         144
        .size:           4
        .value_kind:     by_value
      - .offset:         148
        .size:           4
        .value_kind:     by_value
      - .offset:         152
        .size:           1
        .value_kind:     by_value
      - .offset:         153
        .size:           1
        .value_kind:     by_value
      - .offset:         154
        .size:           1
        .value_kind:     by_value
    .group_segment_fixed_size: 0
    .kernarg_segment_align: 8
    .kernarg_segment_size: 156
    .language:       OpenCL C
    .language_version:
      - 2
      - 0
    .max_flat_workgroup_size: 512
    .name:           _ZN9rocsparseL41csrgemm_numeric_fill_block_per_row_kernelILj512ELj32ELj1024ELj137ELj64EiidEEvT5_PKS1_S3_NS_24const_host_device_scalarIT6_EEPKT4_S3_PKS5_S9_S3_SB_S6_S9_S3_SB_S9_S3_PS5_21rocsparse_index_base_SD_SD_SD_bbb
    .private_segment_fixed_size: 0
    .sgpr_count:     44
    .sgpr_spill_count: 0
    .symbol:         _ZN9rocsparseL41csrgemm_numeric_fill_block_per_row_kernelILj512ELj32ELj1024ELj137ELj64EiidEEvT5_PKS1_S3_NS_24const_host_device_scalarIT6_EEPKT4_S3_PKS5_S9_S3_SB_S6_S9_S3_SB_S9_S3_PS5_21rocsparse_index_base_SD_SD_SD_bbb.kd
    .uniform_work_group_size: 1
    .uses_dynamic_stack: false
    .vgpr_count:     23
    .vgpr_spill_count: 0
    .wavefront_size: 32
    .workgroup_processor_mode: 1
  - .args:
      - .offset:         0
        .size:           4
        .value_kind:     by_value
      - .actual_access:  read_only
        .address_space:  global
        .offset:         8
        .size:           8
        .value_kind:     global_buffer
      - .actual_access:  read_only
        .address_space:  global
        .offset:         16
        .size:           8
        .value_kind:     global_buffer
      - .offset:         24
        .size:           8
        .value_kind:     by_value
      - .actual_access:  read_only
        .address_space:  global
        .offset:         32
        .size:           8
        .value_kind:     global_buffer
      - .actual_access:  read_only
        .address_space:  global
        .offset:         40
        .size:           8
        .value_kind:     global_buffer
      - .actual_access:  read_only
        .address_space:  global
        .offset:         48
        .size:           8
        .value_kind:     global_buffer
      - .actual_access:  read_only
        .address_space:  global
        .offset:         56
        .size:           8
        .value_kind:     global_buffer
      - .actual_access:  read_only
        .address_space:  global
        .offset:         64
        .size:           8
        .value_kind:     global_buffer
      - .actual_access:  read_only
        .address_space:  global
        .offset:         72
        .size:           8
        .value_kind:     global_buffer
      - .offset:         80
        .size:           8
        .value_kind:     by_value
      - .actual_access:  read_only
        .address_space:  global
        .offset:         88
        .size:           8
        .value_kind:     global_buffer
      - .actual_access:  read_only
        .address_space:  global
        .offset:         96
        .size:           8
        .value_kind:     global_buffer
      - .actual_access:  read_only
        .address_space:  global
        .offset:         104
        .size:           8
        .value_kind:     global_buffer
      - .actual_access:  read_only
        .address_space:  global
        .offset:         112
        .size:           8
        .value_kind:     global_buffer
      - .actual_access:  read_only
        .address_space:  global
        .offset:         120
        .size:           8
        .value_kind:     global_buffer
      - .actual_access:  write_only
        .address_space:  global
        .offset:         128
        .size:           8
        .value_kind:     global_buffer
      - .offset:         136
        .size:           4
        .value_kind:     by_value
      - .offset:         140
        .size:           4
        .value_kind:     by_value
      - .offset:         144
        .size:           4
        .value_kind:     by_value
      - .offset:         148
        .size:           4
        .value_kind:     by_value
      - .offset:         152
        .size:           1
        .value_kind:     by_value
      - .offset:         153
        .size:           1
        .value_kind:     by_value
      - .offset:         154
        .size:           1
        .value_kind:     by_value
    .group_segment_fixed_size: 0
    .kernarg_segment_align: 8
    .kernarg_segment_size: 156
    .language:       OpenCL C
    .language_version:
      - 2
      - 0
    .max_flat_workgroup_size: 1024
    .name:           _ZN9rocsparseL41csrgemm_numeric_fill_block_per_row_kernelILj1024ELj32ELj2048ELj137ELj32EiidEEvT5_PKS1_S3_NS_24const_host_device_scalarIT6_EEPKT4_S3_PKS5_S9_S3_SB_S6_S9_S3_SB_S9_S3_PS5_21rocsparse_index_base_SD_SD_SD_bbb
    .private_segment_fixed_size: 0
    .sgpr_count:     52
    .sgpr_spill_count: 0
    .symbol:         _ZN9rocsparseL41csrgemm_numeric_fill_block_per_row_kernelILj1024ELj32ELj2048ELj137ELj32EiidEEvT5_PKS1_S3_NS_24const_host_device_scalarIT6_EEPKT4_S3_PKS5_S9_S3_SB_S6_S9_S3_SB_S9_S3_PS5_21rocsparse_index_base_SD_SD_SD_bbb.kd
    .uniform_work_group_size: 1
    .uses_dynamic_stack: false
    .vgpr_count:     24
    .vgpr_spill_count: 0
    .wavefront_size: 32
    .workgroup_processor_mode: 1
  - .args:
      - .offset:         0
        .size:           4
        .value_kind:     by_value
      - .actual_access:  read_only
        .address_space:  global
        .offset:         8
        .size:           8
        .value_kind:     global_buffer
      - .actual_access:  read_only
        .address_space:  global
        .offset:         16
        .size:           8
        .value_kind:     global_buffer
      - .offset:         24
        .size:           8
        .value_kind:     by_value
      - .actual_access:  read_only
        .address_space:  global
        .offset:         32
        .size:           8
        .value_kind:     global_buffer
      - .actual_access:  read_only
        .address_space:  global
        .offset:         40
        .size:           8
        .value_kind:     global_buffer
      - .actual_access:  read_only
        .address_space:  global
        .offset:         48
        .size:           8
        .value_kind:     global_buffer
      - .actual_access:  read_only
        .address_space:  global
        .offset:         56
        .size:           8
        .value_kind:     global_buffer
      - .actual_access:  read_only
        .address_space:  global
        .offset:         64
        .size:           8
        .value_kind:     global_buffer
      - .actual_access:  read_only
        .address_space:  global
        .offset:         72
        .size:           8
        .value_kind:     global_buffer
      - .offset:         80
        .size:           8
        .value_kind:     by_value
      - .actual_access:  read_only
        .address_space:  global
        .offset:         88
        .size:           8
        .value_kind:     global_buffer
      - .actual_access:  read_only
        .address_space:  global
        .offset:         96
        .size:           8
        .value_kind:     global_buffer
      - .actual_access:  read_only
        .address_space:  global
        .offset:         104
        .size:           8
        .value_kind:     global_buffer
      - .actual_access:  read_only
        .address_space:  global
        .offset:         112
        .size:           8
        .value_kind:     global_buffer
      - .actual_access:  read_only
        .address_space:  global
        .offset:         120
        .size:           8
        .value_kind:     global_buffer
      - .actual_access:  write_only
        .address_space:  global
        .offset:         128
        .size:           8
        .value_kind:     global_buffer
      - .offset:         136
        .size:           4
        .value_kind:     by_value
      - .offset:         140
        .size:           4
        .value_kind:     by_value
      - .offset:         144
        .size:           4
        .value_kind:     by_value
      - .offset:         148
        .size:           4
        .value_kind:     by_value
      - .offset:         152
        .size:           1
        .value_kind:     by_value
      - .offset:         153
        .size:           1
        .value_kind:     by_value
      - .offset:         154
        .size:           1
        .value_kind:     by_value
    .group_segment_fixed_size: 0
    .kernarg_segment_align: 8
    .kernarg_segment_size: 156
    .language:       OpenCL C
    .language_version:
      - 2
      - 0
    .max_flat_workgroup_size: 1024
    .name:           _ZN9rocsparseL41csrgemm_numeric_fill_block_per_row_kernelILj1024ELj32ELj2048ELj137ELj64EiidEEvT5_PKS1_S3_NS_24const_host_device_scalarIT6_EEPKT4_S3_PKS5_S9_S3_SB_S6_S9_S3_SB_S9_S3_PS5_21rocsparse_index_base_SD_SD_SD_bbb
    .private_segment_fixed_size: 0
    .sgpr_count:     44
    .sgpr_spill_count: 0
    .symbol:         _ZN9rocsparseL41csrgemm_numeric_fill_block_per_row_kernelILj1024ELj32ELj2048ELj137ELj64EiidEEvT5_PKS1_S3_NS_24const_host_device_scalarIT6_EEPKT4_S3_PKS5_S9_S3_SB_S6_S9_S3_SB_S9_S3_PS5_21rocsparse_index_base_SD_SD_SD_bbb.kd
    .uniform_work_group_size: 1
    .uses_dynamic_stack: false
    .vgpr_count:     23
    .vgpr_spill_count: 0
    .wavefront_size: 32
    .workgroup_processor_mode: 1
  - .args:
      - .offset:         0
        .size:           4
        .value_kind:     by_value
      - .actual_access:  read_only
        .address_space:  global
        .offset:         8
        .size:           8
        .value_kind:     global_buffer
      - .actual_access:  read_only
        .address_space:  global
        .offset:         16
        .size:           8
        .value_kind:     global_buffer
      - .offset:         24
        .size:           8
        .value_kind:     by_value
      - .actual_access:  read_only
        .address_space:  global
        .offset:         32
        .size:           8
        .value_kind:     global_buffer
      - .actual_access:  read_only
        .address_space:  global
        .offset:         40
        .size:           8
        .value_kind:     global_buffer
      - .actual_access:  read_only
        .address_space:  global
        .offset:         48
        .size:           8
        .value_kind:     global_buffer
      - .actual_access:  read_only
        .address_space:  global
        .offset:         56
        .size:           8
        .value_kind:     global_buffer
      - .actual_access:  read_only
        .address_space:  global
        .offset:         64
        .size:           8
        .value_kind:     global_buffer
      - .actual_access:  read_only
        .address_space:  global
        .offset:         72
        .size:           8
        .value_kind:     global_buffer
      - .offset:         80
        .size:           8
        .value_kind:     by_value
      - .actual_access:  read_only
        .address_space:  global
        .offset:         88
        .size:           8
        .value_kind:     global_buffer
      - .actual_access:  read_only
        .address_space:  global
        .offset:         96
        .size:           8
        .value_kind:     global_buffer
      - .actual_access:  read_only
        .address_space:  global
        .offset:         104
        .size:           8
        .value_kind:     global_buffer
      - .actual_access:  read_only
        .address_space:  global
        .offset:         112
        .size:           8
        .value_kind:     global_buffer
      - .actual_access:  read_only
        .address_space:  global
        .offset:         120
        .size:           8
        .value_kind:     global_buffer
      - .actual_access:  write_only
        .address_space:  global
        .offset:         128
        .size:           8
        .value_kind:     global_buffer
      - .offset:         136
        .size:           4
        .value_kind:     by_value
      - .offset:         140
        .size:           4
        .value_kind:     by_value
      - .offset:         144
        .size:           4
        .value_kind:     by_value
      - .offset:         148
        .size:           4
        .value_kind:     by_value
      - .offset:         152
        .size:           1
        .value_kind:     by_value
      - .offset:         153
        .size:           1
        .value_kind:     by_value
      - .offset:         154
        .size:           1
        .value_kind:     by_value
    .group_segment_fixed_size: 0
    .kernarg_segment_align: 8
    .kernarg_segment_size: 156
    .language:       OpenCL C
    .language_version:
      - 2
      - 0
    .max_flat_workgroup_size: 1024
    .name:           _ZN9rocsparseL41csrgemm_numeric_fill_block_per_row_kernelILj1024ELj64ELj4096ELj137ELj32EiidEEvT5_PKS1_S3_NS_24const_host_device_scalarIT6_EEPKT4_S3_PKS5_S9_S3_SB_S6_S9_S3_SB_S9_S3_PS5_21rocsparse_index_base_SD_SD_SD_bbb
    .private_segment_fixed_size: 0
    .sgpr_count:     52
    .sgpr_spill_count: 0
    .symbol:         _ZN9rocsparseL41csrgemm_numeric_fill_block_per_row_kernelILj1024ELj64ELj4096ELj137ELj32EiidEEvT5_PKS1_S3_NS_24const_host_device_scalarIT6_EEPKT4_S3_PKS5_S9_S3_SB_S6_S9_S3_SB_S9_S3_PS5_21rocsparse_index_base_SD_SD_SD_bbb.kd
    .uniform_work_group_size: 1
    .uses_dynamic_stack: false
    .vgpr_count:     23
    .vgpr_spill_count: 0
    .wavefront_size: 32
    .workgroup_processor_mode: 1
  - .args:
      - .offset:         0
        .size:           4
        .value_kind:     by_value
      - .actual_access:  read_only
        .address_space:  global
        .offset:         8
        .size:           8
        .value_kind:     global_buffer
      - .actual_access:  read_only
        .address_space:  global
        .offset:         16
        .size:           8
        .value_kind:     global_buffer
      - .offset:         24
        .size:           8
        .value_kind:     by_value
      - .actual_access:  read_only
        .address_space:  global
        .offset:         32
        .size:           8
        .value_kind:     global_buffer
      - .actual_access:  read_only
        .address_space:  global
        .offset:         40
        .size:           8
        .value_kind:     global_buffer
      - .actual_access:  read_only
        .address_space:  global
        .offset:         48
        .size:           8
        .value_kind:     global_buffer
      - .actual_access:  read_only
        .address_space:  global
        .offset:         56
        .size:           8
        .value_kind:     global_buffer
      - .actual_access:  read_only
        .address_space:  global
        .offset:         64
        .size:           8
        .value_kind:     global_buffer
      - .actual_access:  read_only
        .address_space:  global
        .offset:         72
        .size:           8
        .value_kind:     global_buffer
      - .offset:         80
        .size:           8
        .value_kind:     by_value
      - .actual_access:  read_only
        .address_space:  global
        .offset:         88
        .size:           8
        .value_kind:     global_buffer
      - .actual_access:  read_only
        .address_space:  global
        .offset:         96
        .size:           8
        .value_kind:     global_buffer
      - .actual_access:  read_only
        .address_space:  global
        .offset:         104
        .size:           8
        .value_kind:     global_buffer
      - .actual_access:  read_only
        .address_space:  global
        .offset:         112
        .size:           8
        .value_kind:     global_buffer
      - .actual_access:  read_only
        .address_space:  global
        .offset:         120
        .size:           8
        .value_kind:     global_buffer
      - .actual_access:  write_only
        .address_space:  global
        .offset:         128
        .size:           8
        .value_kind:     global_buffer
      - .offset:         136
        .size:           4
        .value_kind:     by_value
      - .offset:         140
        .size:           4
        .value_kind:     by_value
      - .offset:         144
        .size:           4
        .value_kind:     by_value
      - .offset:         148
        .size:           4
        .value_kind:     by_value
      - .offset:         152
        .size:           1
        .value_kind:     by_value
      - .offset:         153
        .size:           1
        .value_kind:     by_value
      - .offset:         154
        .size:           1
        .value_kind:     by_value
    .group_segment_fixed_size: 0
    .kernarg_segment_align: 8
    .kernarg_segment_size: 156
    .language:       OpenCL C
    .language_version:
      - 2
      - 0
    .max_flat_workgroup_size: 1024
    .name:           _ZN9rocsparseL41csrgemm_numeric_fill_block_per_row_kernelILj1024ELj64ELj4096ELj137ELj64EiidEEvT5_PKS1_S3_NS_24const_host_device_scalarIT6_EEPKT4_S3_PKS5_S9_S3_SB_S6_S9_S3_SB_S9_S3_PS5_21rocsparse_index_base_SD_SD_SD_bbb
    .private_segment_fixed_size: 0
    .sgpr_count:     44
    .sgpr_spill_count: 0
    .symbol:         _ZN9rocsparseL41csrgemm_numeric_fill_block_per_row_kernelILj1024ELj64ELj4096ELj137ELj64EiidEEvT5_PKS1_S3_NS_24const_host_device_scalarIT6_EEPKT4_S3_PKS5_S9_S3_SB_S6_S9_S3_SB_S9_S3_PS5_21rocsparse_index_base_SD_SD_SD_bbb.kd
    .uniform_work_group_size: 1
    .uses_dynamic_stack: false
    .vgpr_count:     24
    .vgpr_spill_count: 0
    .wavefront_size: 32
    .workgroup_processor_mode: 1
  - .args:
      - .offset:         0
        .size:           4
        .value_kind:     by_value
      - .actual_access:  read_only
        .address_space:  global
        .offset:         8
        .size:           8
        .value_kind:     global_buffer
      - .actual_access:  read_only
        .address_space:  global
        .offset:         16
        .size:           8
        .value_kind:     global_buffer
      - .offset:         24
        .size:           8
        .value_kind:     by_value
      - .actual_access:  read_only
        .address_space:  global
        .offset:         32
        .size:           8
        .value_kind:     global_buffer
      - .actual_access:  read_only
        .address_space:  global
        .offset:         40
        .size:           8
        .value_kind:     global_buffer
      - .actual_access:  read_only
        .address_space:  global
        .offset:         48
        .size:           8
        .value_kind:     global_buffer
      - .actual_access:  read_only
        .address_space:  global
        .offset:         56
        .size:           8
        .value_kind:     global_buffer
      - .actual_access:  read_only
        .address_space:  global
        .offset:         64
        .size:           8
        .value_kind:     global_buffer
      - .actual_access:  read_only
        .address_space:  global
        .offset:         72
        .size:           8
        .value_kind:     global_buffer
      - .offset:         80
        .size:           8
        .value_kind:     by_value
      - .actual_access:  read_only
        .address_space:  global
        .offset:         88
        .size:           8
        .value_kind:     global_buffer
      - .actual_access:  read_only
        .address_space:  global
        .offset:         96
        .size:           8
        .value_kind:     global_buffer
      - .actual_access:  read_only
        .address_space:  global
        .offset:         104
        .size:           8
        .value_kind:     global_buffer
      - .actual_access:  read_only
        .address_space:  global
        .offset:         112
        .size:           8
        .value_kind:     global_buffer
      - .actual_access:  read_only
        .address_space:  global
        .offset:         120
        .size:           8
        .value_kind:     global_buffer
      - .actual_access:  write_only
        .address_space:  global
        .offset:         128
        .size:           8
        .value_kind:     global_buffer
      - .offset:         136
        .size:           4
        .value_kind:     by_value
      - .offset:         140
        .size:           4
        .value_kind:     by_value
      - .offset:         144
        .size:           4
        .value_kind:     by_value
      - .offset:         148
        .size:           4
        .value_kind:     by_value
      - .offset:         152
        .size:           1
        .value_kind:     by_value
      - .offset:         153
        .size:           1
        .value_kind:     by_value
      - .offset:         154
        .size:           1
        .value_kind:     by_value
    .group_segment_fixed_size: 0
    .kernarg_segment_align: 8
    .kernarg_segment_size: 156
    .language:       OpenCL C
    .language_version:
      - 2
      - 0
    .max_flat_workgroup_size: 1024
    .name:           _ZN9rocsparseL41csrgemm_numeric_fill_block_per_row_kernelILj1024ELj64ELj8192ELj137ELj32EiidEEvT5_PKS1_S3_NS_24const_host_device_scalarIT6_EEPKT4_S3_PKS5_S9_S3_SB_S6_S9_S3_SB_S9_S3_PS5_21rocsparse_index_base_SD_SD_SD_bbb
    .private_segment_fixed_size: 0
    .sgpr_count:     76
    .sgpr_spill_count: 0
    .symbol:         _ZN9rocsparseL41csrgemm_numeric_fill_block_per_row_kernelILj1024ELj64ELj8192ELj137ELj32EiidEEvT5_PKS1_S3_NS_24const_host_device_scalarIT6_EEPKT4_S3_PKS5_S9_S3_SB_S6_S9_S3_SB_S9_S3_PS5_21rocsparse_index_base_SD_SD_SD_bbb.kd
    .uniform_work_group_size: 1
    .uses_dynamic_stack: false
    .vgpr_count:     22
    .vgpr_spill_count: 0
    .wavefront_size: 32
    .workgroup_processor_mode: 1
  - .args:
      - .offset:         0
        .size:           4
        .value_kind:     by_value
      - .actual_access:  read_only
        .address_space:  global
        .offset:         8
        .size:           8
        .value_kind:     global_buffer
      - .actual_access:  read_only
        .address_space:  global
        .offset:         16
        .size:           8
        .value_kind:     global_buffer
      - .offset:         24
        .size:           8
        .value_kind:     by_value
      - .actual_access:  read_only
        .address_space:  global
        .offset:         32
        .size:           8
        .value_kind:     global_buffer
      - .actual_access:  read_only
        .address_space:  global
        .offset:         40
        .size:           8
        .value_kind:     global_buffer
      - .actual_access:  read_only
        .address_space:  global
        .offset:         48
        .size:           8
        .value_kind:     global_buffer
      - .actual_access:  read_only
        .address_space:  global
        .offset:         56
        .size:           8
        .value_kind:     global_buffer
      - .actual_access:  read_only
        .address_space:  global
        .offset:         64
        .size:           8
        .value_kind:     global_buffer
      - .actual_access:  read_only
        .address_space:  global
        .offset:         72
        .size:           8
        .value_kind:     global_buffer
      - .offset:         80
        .size:           8
        .value_kind:     by_value
      - .actual_access:  read_only
        .address_space:  global
        .offset:         88
        .size:           8
        .value_kind:     global_buffer
      - .actual_access:  read_only
        .address_space:  global
        .offset:         96
        .size:           8
        .value_kind:     global_buffer
      - .actual_access:  read_only
        .address_space:  global
        .offset:         104
        .size:           8
        .value_kind:     global_buffer
      - .actual_access:  read_only
        .address_space:  global
        .offset:         112
        .size:           8
        .value_kind:     global_buffer
      - .actual_access:  read_only
        .address_space:  global
        .offset:         120
        .size:           8
        .value_kind:     global_buffer
      - .actual_access:  write_only
        .address_space:  global
        .offset:         128
        .size:           8
        .value_kind:     global_buffer
      - .offset:         136
        .size:           4
        .value_kind:     by_value
      - .offset:         140
        .size:           4
        .value_kind:     by_value
      - .offset:         144
        .size:           4
        .value_kind:     by_value
      - .offset:         148
        .size:           4
        .value_kind:     by_value
      - .offset:         152
        .size:           1
        .value_kind:     by_value
      - .offset:         153
        .size:           1
        .value_kind:     by_value
      - .offset:         154
        .size:           1
        .value_kind:     by_value
    .group_segment_fixed_size: 0
    .kernarg_segment_align: 8
    .kernarg_segment_size: 156
    .language:       OpenCL C
    .language_version:
      - 2
      - 0
    .max_flat_workgroup_size: 1024
    .name:           _ZN9rocsparseL41csrgemm_numeric_fill_block_per_row_kernelILj1024ELj64ELj8192ELj137ELj64EiidEEvT5_PKS1_S3_NS_24const_host_device_scalarIT6_EEPKT4_S3_PKS5_S9_S3_SB_S6_S9_S3_SB_S9_S3_PS5_21rocsparse_index_base_SD_SD_SD_bbb
    .private_segment_fixed_size: 0
    .sgpr_count:     44
    .sgpr_spill_count: 0
    .symbol:         _ZN9rocsparseL41csrgemm_numeric_fill_block_per_row_kernelILj1024ELj64ELj8192ELj137ELj64EiidEEvT5_PKS1_S3_NS_24const_host_device_scalarIT6_EEPKT4_S3_PKS5_S9_S3_SB_S6_S9_S3_SB_S9_S3_PS5_21rocsparse_index_base_SD_SD_SD_bbb.kd
    .uniform_work_group_size: 1
    .uses_dynamic_stack: false
    .vgpr_count:     23
    .vgpr_spill_count: 0
    .wavefront_size: 32
    .workgroup_processor_mode: 1
  - .args:
      - .offset:         0
        .size:           4
        .value_kind:     by_value
      - .actual_access:  read_only
        .address_space:  global
        .offset:         8
        .size:           8
        .value_kind:     global_buffer
      - .actual_access:  read_only
        .address_space:  global
        .offset:         16
        .size:           8
        .value_kind:     global_buffer
      - .offset:         24
        .size:           8
        .value_kind:     by_value
      - .actual_access:  read_only
        .address_space:  global
        .offset:         32
        .size:           8
        .value_kind:     global_buffer
      - .actual_access:  read_only
        .address_space:  global
        .offset:         40
        .size:           8
        .value_kind:     global_buffer
      - .actual_access:  read_only
        .address_space:  global
        .offset:         48
        .size:           8
        .value_kind:     global_buffer
      - .actual_access:  read_only
        .address_space:  global
        .offset:         56
        .size:           8
        .value_kind:     global_buffer
      - .actual_access:  read_only
        .address_space:  global
        .offset:         64
        .size:           8
        .value_kind:     global_buffer
      - .actual_access:  read_only
        .address_space:  global
        .offset:         72
        .size:           8
        .value_kind:     global_buffer
      - .offset:         80
        .size:           8
        .value_kind:     by_value
      - .actual_access:  read_only
        .address_space:  global
        .offset:         88
        .size:           8
        .value_kind:     global_buffer
      - .actual_access:  read_only
        .address_space:  global
        .offset:         96
        .size:           8
        .value_kind:     global_buffer
      - .actual_access:  read_only
        .address_space:  global
        .offset:         104
        .size:           8
        .value_kind:     global_buffer
      - .actual_access:  read_only
        .address_space:  global
        .offset:         112
        .size:           8
        .value_kind:     global_buffer
      - .actual_access:  read_only
        .address_space:  global
        .offset:         120
        .size:           8
        .value_kind:     global_buffer
      - .actual_access:  write_only
        .address_space:  global
        .offset:         128
        .size:           8
        .value_kind:     global_buffer
      - .offset:         136
        .size:           4
        .value_kind:     by_value
      - .offset:         140
        .size:           4
        .value_kind:     by_value
      - .offset:         144
        .size:           4
        .value_kind:     by_value
      - .offset:         148
        .size:           4
        .value_kind:     by_value
      - .offset:         152
        .size:           1
        .value_kind:     by_value
      - .offset:         153
        .size:           1
        .value_kind:     by_value
      - .offset:         154
        .size:           1
        .value_kind:     by_value
    .group_segment_fixed_size: 0
    .kernarg_segment_align: 8
    .kernarg_segment_size: 156
    .language:       OpenCL C
    .language_version:
      - 2
      - 0
    .max_flat_workgroup_size: 1024
    .name:           _ZN9rocsparseL41csrgemm_numeric_fill_block_per_row_kernelILj1024ELj64ELj16384ELj137ELj32EiidEEvT5_PKS1_S3_NS_24const_host_device_scalarIT6_EEPKT4_S3_PKS5_S9_S3_SB_S6_S9_S3_SB_S9_S3_PS5_21rocsparse_index_base_SD_SD_SD_bbb
    .private_segment_fixed_size: 0
    .sgpr_count:     76
    .sgpr_spill_count: 0
    .symbol:         _ZN9rocsparseL41csrgemm_numeric_fill_block_per_row_kernelILj1024ELj64ELj16384ELj137ELj32EiidEEvT5_PKS1_S3_NS_24const_host_device_scalarIT6_EEPKT4_S3_PKS5_S9_S3_SB_S6_S9_S3_SB_S9_S3_PS5_21rocsparse_index_base_SD_SD_SD_bbb.kd
    .uniform_work_group_size: 1
    .uses_dynamic_stack: false
    .vgpr_count:     23
    .vgpr_spill_count: 0
    .wavefront_size: 32
    .workgroup_processor_mode: 1
  - .args:
      - .offset:         0
        .size:           4
        .value_kind:     by_value
      - .actual_access:  read_only
        .address_space:  global
        .offset:         8
        .size:           8
        .value_kind:     global_buffer
      - .actual_access:  read_only
        .address_space:  global
        .offset:         16
        .size:           8
        .value_kind:     global_buffer
      - .offset:         24
        .size:           8
        .value_kind:     by_value
      - .actual_access:  read_only
        .address_space:  global
        .offset:         32
        .size:           8
        .value_kind:     global_buffer
      - .actual_access:  read_only
        .address_space:  global
        .offset:         40
        .size:           8
        .value_kind:     global_buffer
      - .actual_access:  read_only
        .address_space:  global
        .offset:         48
        .size:           8
        .value_kind:     global_buffer
      - .actual_access:  read_only
        .address_space:  global
        .offset:         56
        .size:           8
        .value_kind:     global_buffer
      - .actual_access:  read_only
        .address_space:  global
        .offset:         64
        .size:           8
        .value_kind:     global_buffer
      - .actual_access:  read_only
        .address_space:  global
        .offset:         72
        .size:           8
        .value_kind:     global_buffer
      - .offset:         80
        .size:           8
        .value_kind:     by_value
      - .actual_access:  read_only
        .address_space:  global
        .offset:         88
        .size:           8
        .value_kind:     global_buffer
      - .actual_access:  read_only
        .address_space:  global
        .offset:         96
        .size:           8
        .value_kind:     global_buffer
      - .actual_access:  read_only
        .address_space:  global
        .offset:         104
        .size:           8
        .value_kind:     global_buffer
      - .actual_access:  read_only
        .address_space:  global
        .offset:         112
        .size:           8
        .value_kind:     global_buffer
      - .actual_access:  read_only
        .address_space:  global
        .offset:         120
        .size:           8
        .value_kind:     global_buffer
      - .actual_access:  write_only
        .address_space:  global
        .offset:         128
        .size:           8
        .value_kind:     global_buffer
      - .offset:         136
        .size:           4
        .value_kind:     by_value
      - .offset:         140
        .size:           4
        .value_kind:     by_value
      - .offset:         144
        .size:           4
        .value_kind:     by_value
      - .offset:         148
        .size:           4
        .value_kind:     by_value
      - .offset:         152
        .size:           1
        .value_kind:     by_value
      - .offset:         153
        .size:           1
        .value_kind:     by_value
      - .offset:         154
        .size:           1
        .value_kind:     by_value
    .group_segment_fixed_size: 0
    .kernarg_segment_align: 8
    .kernarg_segment_size: 156
    .language:       OpenCL C
    .language_version:
      - 2
      - 0
    .max_flat_workgroup_size: 1024
    .name:           _ZN9rocsparseL41csrgemm_numeric_fill_block_per_row_kernelILj1024ELj64ELj16384ELj137ELj64EiidEEvT5_PKS1_S3_NS_24const_host_device_scalarIT6_EEPKT4_S3_PKS5_S9_S3_SB_S6_S9_S3_SB_S9_S3_PS5_21rocsparse_index_base_SD_SD_SD_bbb
    .private_segment_fixed_size: 0
    .sgpr_count:     44
    .sgpr_spill_count: 0
    .symbol:         _ZN9rocsparseL41csrgemm_numeric_fill_block_per_row_kernelILj1024ELj64ELj16384ELj137ELj64EiidEEvT5_PKS1_S3_NS_24const_host_device_scalarIT6_EEPKT4_S3_PKS5_S9_S3_SB_S6_S9_S3_SB_S9_S3_PS5_21rocsparse_index_base_SD_SD_SD_bbb.kd
    .uniform_work_group_size: 1
    .uses_dynamic_stack: false
    .vgpr_count:     24
    .vgpr_spill_count: 0
    .wavefront_size: 32
    .workgroup_processor_mode: 1
  - .args:
      - .offset:         0
        .size:           4
        .value_kind:     by_value
      - .actual_access:  read_only
        .address_space:  global
        .offset:         8
        .size:           8
        .value_kind:     global_buffer
      - .actual_access:  read_only
        .address_space:  global
        .offset:         16
        .size:           8
        .value_kind:     global_buffer
      - .offset:         24
        .size:           8
        .value_kind:     by_value
      - .actual_access:  read_only
        .address_space:  global
        .offset:         32
        .size:           8
        .value_kind:     global_buffer
      - .actual_access:  read_only
        .address_space:  global
        .offset:         40
        .size:           8
        .value_kind:     global_buffer
      - .actual_access:  read_only
        .address_space:  global
        .offset:         48
        .size:           8
        .value_kind:     global_buffer
      - .actual_access:  read_only
        .address_space:  global
        .offset:         56
        .size:           8
        .value_kind:     global_buffer
      - .actual_access:  read_only
        .address_space:  global
        .offset:         64
        .size:           8
        .value_kind:     global_buffer
      - .actual_access:  read_only
        .address_space:  global
        .offset:         72
        .size:           8
        .value_kind:     global_buffer
      - .offset:         80
        .size:           8
        .value_kind:     by_value
      - .actual_access:  read_only
        .address_space:  global
        .offset:         88
        .size:           8
        .value_kind:     global_buffer
      - .actual_access:  read_only
        .address_space:  global
        .offset:         96
        .size:           8
        .value_kind:     global_buffer
      - .actual_access:  read_only
        .address_space:  global
        .offset:         104
        .size:           8
        .value_kind:     global_buffer
      - .actual_access:  read_only
        .address_space:  global
        .offset:         112
        .size:           8
        .value_kind:     global_buffer
      - .actual_access:  read_only
        .address_space:  global
        .offset:         120
        .size:           8
        .value_kind:     global_buffer
      - .actual_access:  write_only
        .address_space:  global
        .offset:         128
        .size:           8
        .value_kind:     global_buffer
      - .offset:         136
        .size:           4
        .value_kind:     by_value
      - .offset:         140
        .size:           4
        .value_kind:     by_value
      - .offset:         144
        .size:           4
        .value_kind:     by_value
      - .offset:         148
        .size:           4
        .value_kind:     by_value
      - .offset:         152
        .size:           1
        .value_kind:     by_value
      - .offset:         153
        .size:           1
        .value_kind:     by_value
      - .offset:         154
        .size:           1
        .value_kind:     by_value
    .group_segment_fixed_size: 0
    .kernarg_segment_align: 8
    .kernarg_segment_size: 156
    .language:       OpenCL C
    .language_version:
      - 2
      - 0
    .max_flat_workgroup_size: 1024
    .name:           _ZN9rocsparseL41csrgemm_numeric_fill_block_per_row_kernelILj1024ELj64ELj32768ELj137ELj32EiidEEvT5_PKS1_S3_NS_24const_host_device_scalarIT6_EEPKT4_S3_PKS5_S9_S3_SB_S6_S9_S3_SB_S9_S3_PS5_21rocsparse_index_base_SD_SD_SD_bbb
    .private_segment_fixed_size: 0
    .sgpr_count:     76
    .sgpr_spill_count: 0
    .symbol:         _ZN9rocsparseL41csrgemm_numeric_fill_block_per_row_kernelILj1024ELj64ELj32768ELj137ELj32EiidEEvT5_PKS1_S3_NS_24const_host_device_scalarIT6_EEPKT4_S3_PKS5_S9_S3_SB_S6_S9_S3_SB_S9_S3_PS5_21rocsparse_index_base_SD_SD_SD_bbb.kd
    .uniform_work_group_size: 1
    .uses_dynamic_stack: false
    .vgpr_count:     23
    .vgpr_spill_count: 0
    .wavefront_size: 32
    .workgroup_processor_mode: 1
  - .args:
      - .offset:         0
        .size:           4
        .value_kind:     by_value
      - .actual_access:  read_only
        .address_space:  global
        .offset:         8
        .size:           8
        .value_kind:     global_buffer
      - .actual_access:  read_only
        .address_space:  global
        .offset:         16
        .size:           8
        .value_kind:     global_buffer
      - .offset:         24
        .size:           8
        .value_kind:     by_value
      - .actual_access:  read_only
        .address_space:  global
        .offset:         32
        .size:           8
        .value_kind:     global_buffer
      - .actual_access:  read_only
        .address_space:  global
        .offset:         40
        .size:           8
        .value_kind:     global_buffer
      - .actual_access:  read_only
        .address_space:  global
        .offset:         48
        .size:           8
        .value_kind:     global_buffer
      - .actual_access:  read_only
        .address_space:  global
        .offset:         56
        .size:           8
        .value_kind:     global_buffer
      - .actual_access:  read_only
        .address_space:  global
        .offset:         64
        .size:           8
        .value_kind:     global_buffer
      - .actual_access:  read_only
        .address_space:  global
        .offset:         72
        .size:           8
        .value_kind:     global_buffer
      - .offset:         80
        .size:           8
        .value_kind:     by_value
      - .actual_access:  read_only
        .address_space:  global
        .offset:         88
        .size:           8
        .value_kind:     global_buffer
      - .actual_access:  read_only
        .address_space:  global
        .offset:         96
        .size:           8
        .value_kind:     global_buffer
      - .actual_access:  read_only
        .address_space:  global
        .offset:         104
        .size:           8
        .value_kind:     global_buffer
      - .actual_access:  read_only
        .address_space:  global
        .offset:         112
        .size:           8
        .value_kind:     global_buffer
      - .actual_access:  read_only
        .address_space:  global
        .offset:         120
        .size:           8
        .value_kind:     global_buffer
      - .actual_access:  write_only
        .address_space:  global
        .offset:         128
        .size:           8
        .value_kind:     global_buffer
      - .offset:         136
        .size:           4
        .value_kind:     by_value
      - .offset:         140
        .size:           4
        .value_kind:     by_value
      - .offset:         144
        .size:           4
        .value_kind:     by_value
      - .offset:         148
        .size:           4
        .value_kind:     by_value
      - .offset:         152
        .size:           1
        .value_kind:     by_value
      - .offset:         153
        .size:           1
        .value_kind:     by_value
      - .offset:         154
        .size:           1
        .value_kind:     by_value
    .group_segment_fixed_size: 0
    .kernarg_segment_align: 8
    .kernarg_segment_size: 156
    .language:       OpenCL C
    .language_version:
      - 2
      - 0
    .max_flat_workgroup_size: 1024
    .name:           _ZN9rocsparseL41csrgemm_numeric_fill_block_per_row_kernelILj1024ELj64ELj32768ELj137ELj64EiidEEvT5_PKS1_S3_NS_24const_host_device_scalarIT6_EEPKT4_S3_PKS5_S9_S3_SB_S6_S9_S3_SB_S9_S3_PS5_21rocsparse_index_base_SD_SD_SD_bbb
    .private_segment_fixed_size: 0
    .sgpr_count:     44
    .sgpr_spill_count: 0
    .symbol:         _ZN9rocsparseL41csrgemm_numeric_fill_block_per_row_kernelILj1024ELj64ELj32768ELj137ELj64EiidEEvT5_PKS1_S3_NS_24const_host_device_scalarIT6_EEPKT4_S3_PKS5_S9_S3_SB_S6_S9_S3_SB_S9_S3_PS5_21rocsparse_index_base_SD_SD_SD_bbb.kd
    .uniform_work_group_size: 1
    .uses_dynamic_stack: false
    .vgpr_count:     24
    .vgpr_spill_count: 0
    .wavefront_size: 32
    .workgroup_processor_mode: 1
  - .args:
      - .offset:         0
        .size:           4
        .value_kind:     by_value
      - .actual_access:  read_only
        .address_space:  global
        .offset:         8
        .size:           8
        .value_kind:     global_buffer
      - .actual_access:  read_only
        .address_space:  global
        .offset:         16
        .size:           8
        .value_kind:     global_buffer
      - .offset:         24
        .size:           8
        .value_kind:     by_value
      - .actual_access:  read_only
        .address_space:  global
        .offset:         32
        .size:           8
        .value_kind:     global_buffer
      - .actual_access:  read_only
        .address_space:  global
        .offset:         40
        .size:           8
        .value_kind:     global_buffer
      - .actual_access:  read_only
        .address_space:  global
        .offset:         48
        .size:           8
        .value_kind:     global_buffer
      - .actual_access:  read_only
        .address_space:  global
        .offset:         56
        .size:           8
        .value_kind:     global_buffer
      - .actual_access:  read_only
        .address_space:  global
        .offset:         64
        .size:           8
        .value_kind:     global_buffer
      - .actual_access:  read_only
        .address_space:  global
        .offset:         72
        .size:           8
        .value_kind:     global_buffer
      - .offset:         80
        .size:           8
        .value_kind:     by_value
      - .actual_access:  read_only
        .address_space:  global
        .offset:         88
        .size:           8
        .value_kind:     global_buffer
      - .actual_access:  read_only
        .address_space:  global
        .offset:         96
        .size:           8
        .value_kind:     global_buffer
      - .actual_access:  read_only
        .address_space:  global
        .offset:         104
        .size:           8
        .value_kind:     global_buffer
      - .actual_access:  read_only
        .address_space:  global
        .offset:         112
        .size:           8
        .value_kind:     global_buffer
      - .actual_access:  read_only
        .address_space:  global
        .offset:         120
        .size:           8
        .value_kind:     global_buffer
      - .actual_access:  write_only
        .address_space:  global
        .offset:         128
        .size:           8
        .value_kind:     global_buffer
      - .address_space:  global
        .offset:         136
        .size:           8
        .value_kind:     global_buffer
      - .offset:         144
        .size:           4
        .value_kind:     by_value
      - .offset:         148
        .size:           4
        .value_kind:     by_value
      - .offset:         152
        .size:           4
        .value_kind:     by_value
      - .offset:         156
        .size:           4
        .value_kind:     by_value
      - .offset:         160
        .size:           1
        .value_kind:     by_value
      - .offset:         161
        .size:           1
        .value_kind:     by_value
      - .offset:         162
        .size:           1
        .value_kind:     by_value
    .group_segment_fixed_size: 18440
    .kernarg_segment_align: 8
    .kernarg_segment_size: 164
    .language:       OpenCL C
    .language_version:
      - 2
      - 0
    .max_flat_workgroup_size: 512
    .name:           _ZN9rocsparseL51csrgemm_numeric_fill_block_per_row_multipass_kernelILj512ELj16ELj2048ELj32EiidEEvT4_PKS1_S3_NS_24const_host_device_scalarIT5_EEPKT3_S3_PKS5_S9_S3_SB_S6_S9_S3_SB_S9_S3_PS5_PS7_21rocsparse_index_base_SE_SE_SE_bbb
    .private_segment_fixed_size: 0
    .sgpr_count:     61
    .sgpr_spill_count: 0
    .symbol:         _ZN9rocsparseL51csrgemm_numeric_fill_block_per_row_multipass_kernelILj512ELj16ELj2048ELj32EiidEEvT4_PKS1_S3_NS_24const_host_device_scalarIT5_EEPKT3_S3_PKS5_S9_S3_SB_S6_S9_S3_SB_S9_S3_PS5_PS7_21rocsparse_index_base_SE_SE_SE_bbb.kd
    .uniform_work_group_size: 1
    .uses_dynamic_stack: false
    .vgpr_count:     39
    .vgpr_spill_count: 0
    .wavefront_size: 32
    .workgroup_processor_mode: 1
  - .args:
      - .offset:         0
        .size:           4
        .value_kind:     by_value
      - .actual_access:  read_only
        .address_space:  global
        .offset:         8
        .size:           8
        .value_kind:     global_buffer
      - .actual_access:  read_only
        .address_space:  global
        .offset:         16
        .size:           8
        .value_kind:     global_buffer
      - .offset:         24
        .size:           8
        .value_kind:     by_value
      - .actual_access:  read_only
        .address_space:  global
        .offset:         32
        .size:           8
        .value_kind:     global_buffer
      - .actual_access:  read_only
        .address_space:  global
        .offset:         40
        .size:           8
        .value_kind:     global_buffer
      - .actual_access:  read_only
        .address_space:  global
        .offset:         48
        .size:           8
        .value_kind:     global_buffer
      - .actual_access:  read_only
        .address_space:  global
        .offset:         56
        .size:           8
        .value_kind:     global_buffer
      - .actual_access:  read_only
        .address_space:  global
        .offset:         64
        .size:           8
        .value_kind:     global_buffer
      - .actual_access:  read_only
        .address_space:  global
        .offset:         72
        .size:           8
        .value_kind:     global_buffer
      - .offset:         80
        .size:           8
        .value_kind:     by_value
      - .actual_access:  read_only
        .address_space:  global
        .offset:         88
        .size:           8
        .value_kind:     global_buffer
      - .actual_access:  read_only
        .address_space:  global
        .offset:         96
        .size:           8
        .value_kind:     global_buffer
      - .actual_access:  read_only
        .address_space:  global
        .offset:         104
        .size:           8
        .value_kind:     global_buffer
      - .actual_access:  read_only
        .address_space:  global
        .offset:         112
        .size:           8
        .value_kind:     global_buffer
      - .actual_access:  read_only
        .address_space:  global
        .offset:         120
        .size:           8
        .value_kind:     global_buffer
      - .actual_access:  write_only
        .address_space:  global
        .offset:         128
        .size:           8
        .value_kind:     global_buffer
      - .address_space:  global
        .offset:         136
        .size:           8
        .value_kind:     global_buffer
      - .offset:         144
        .size:           4
        .value_kind:     by_value
      - .offset:         148
        .size:           4
        .value_kind:     by_value
      - .offset:         152
        .size:           4
        .value_kind:     by_value
      - .offset:         156
        .size:           4
        .value_kind:     by_value
      - .offset:         160
        .size:           1
        .value_kind:     by_value
      - .offset:         161
        .size:           1
        .value_kind:     by_value
      - .offset:         162
        .size:           1
        .value_kind:     by_value
    .group_segment_fixed_size: 18440
    .kernarg_segment_align: 8
    .kernarg_segment_size: 164
    .language:       OpenCL C
    .language_version:
      - 2
      - 0
    .max_flat_workgroup_size: 512
    .name:           _ZN9rocsparseL51csrgemm_numeric_fill_block_per_row_multipass_kernelILj512ELj16ELj2048ELj64EiidEEvT4_PKS1_S3_NS_24const_host_device_scalarIT5_EEPKT3_S3_PKS5_S9_S3_SB_S6_S9_S3_SB_S9_S3_PS5_PS7_21rocsparse_index_base_SE_SE_SE_bbb
    .private_segment_fixed_size: 0
    .sgpr_count:     53
    .sgpr_spill_count: 0
    .symbol:         _ZN9rocsparseL51csrgemm_numeric_fill_block_per_row_multipass_kernelILj512ELj16ELj2048ELj64EiidEEvT4_PKS1_S3_NS_24const_host_device_scalarIT5_EEPKT3_S3_PKS5_S9_S3_SB_S6_S9_S3_SB_S9_S3_PS5_PS7_21rocsparse_index_base_SE_SE_SE_bbb.kd
    .uniform_work_group_size: 1
    .uses_dynamic_stack: false
    .vgpr_count:     38
    .vgpr_spill_count: 0
    .wavefront_size: 32
    .workgroup_processor_mode: 1
  - .args:
      - .offset:         0
        .size:           4
        .value_kind:     by_value
      - .offset:         4
        .size:           4
        .value_kind:     by_value
      - .actual_access:  read_only
        .address_space:  global
        .offset:         8
        .size:           8
        .value_kind:     global_buffer
      - .actual_access:  read_only
        .address_space:  global
        .offset:         16
        .size:           8
        .value_kind:     global_buffer
      - .offset:         24
        .size:           8
        .value_kind:     by_value
      - .actual_access:  read_only
        .address_space:  global
        .offset:         32
        .size:           8
        .value_kind:     global_buffer
      - .actual_access:  read_only
        .address_space:  global
        .offset:         40
        .size:           8
        .value_kind:     global_buffer
      - .actual_access:  read_only
        .address_space:  global
        .offset:         48
        .size:           8
        .value_kind:     global_buffer
      - .actual_access:  read_only
        .address_space:  global
        .offset:         56
        .size:           8
        .value_kind:     global_buffer
      - .actual_access:  read_only
        .address_space:  global
        .offset:         64
        .size:           8
        .value_kind:     global_buffer
      - .actual_access:  read_only
        .address_space:  global
        .offset:         72
        .size:           8
        .value_kind:     global_buffer
      - .offset:         80
        .size:           8
        .value_kind:     by_value
      - .actual_access:  read_only
        .address_space:  global
        .offset:         88
        .size:           8
        .value_kind:     global_buffer
      - .actual_access:  read_only
        .address_space:  global
        .offset:         96
        .size:           8
        .value_kind:     global_buffer
      - .actual_access:  read_only
        .address_space:  global
        .offset:         104
        .size:           8
        .value_kind:     global_buffer
      - .actual_access:  read_only
        .address_space:  global
        .offset:         112
        .size:           8
        .value_kind:     global_buffer
      - .actual_access:  read_only
        .address_space:  global
        .offset:         120
        .size:           8
        .value_kind:     global_buffer
      - .actual_access:  write_only
        .address_space:  global
        .offset:         128
        .size:           8
        .value_kind:     global_buffer
      - .offset:         136
        .size:           4
        .value_kind:     by_value
      - .offset:         140
        .size:           4
        .value_kind:     by_value
      - .offset:         144
        .size:           4
        .value_kind:     by_value
      - .offset:         148
        .size:           4
        .value_kind:     by_value
      - .offset:         152
        .size:           1
        .value_kind:     by_value
      - .offset:         153
        .size:           1
        .value_kind:     by_value
      - .offset:         154
        .size:           1
        .value_kind:     by_value
    .group_segment_fixed_size: 6144
    .kernarg_segment_align: 8
    .kernarg_segment_size: 156
    .language:       OpenCL C
    .language_version:
      - 2
      - 0
    .max_flat_workgroup_size: 256
    .name:           _ZN9rocsparseL38csrgemm_numeric_fill_wf_per_row_kernelILj256ELj8ELj16ELj137Eii21rocsparse_complex_numIfEEEvT4_S3_PKS3_S5_NS_24const_host_device_scalarIT5_EEPKT3_S5_PKS7_SB_S5_SD_S8_SB_S5_SD_SB_S5_PS7_21rocsparse_index_base_SF_SF_SF_bbb
    .private_segment_fixed_size: 0
    .sgpr_count:     44
    .sgpr_spill_count: 0
    .symbol:         _ZN9rocsparseL38csrgemm_numeric_fill_wf_per_row_kernelILj256ELj8ELj16ELj137Eii21rocsparse_complex_numIfEEEvT4_S3_PKS3_S5_NS_24const_host_device_scalarIT5_EEPKT3_S5_PKS7_SB_S5_SD_S8_SB_S5_SD_SB_S5_PS7_21rocsparse_index_base_SF_SF_SF_bbb.kd
    .uniform_work_group_size: 1
    .uses_dynamic_stack: false
    .vgpr_count:     22
    .vgpr_spill_count: 0
    .wavefront_size: 32
    .workgroup_processor_mode: 1
  - .args:
      - .offset:         0
        .size:           4
        .value_kind:     by_value
      - .offset:         4
        .size:           4
        .value_kind:     by_value
      - .actual_access:  read_only
        .address_space:  global
        .offset:         8
        .size:           8
        .value_kind:     global_buffer
      - .actual_access:  read_only
        .address_space:  global
        .offset:         16
        .size:           8
        .value_kind:     global_buffer
      - .offset:         24
        .size:           8
        .value_kind:     by_value
      - .actual_access:  read_only
        .address_space:  global
        .offset:         32
        .size:           8
        .value_kind:     global_buffer
      - .actual_access:  read_only
        .address_space:  global
        .offset:         40
        .size:           8
        .value_kind:     global_buffer
      - .actual_access:  read_only
        .address_space:  global
        .offset:         48
        .size:           8
        .value_kind:     global_buffer
      - .actual_access:  read_only
        .address_space:  global
        .offset:         56
        .size:           8
        .value_kind:     global_buffer
      - .actual_access:  read_only
        .address_space:  global
        .offset:         64
        .size:           8
        .value_kind:     global_buffer
      - .actual_access:  read_only
        .address_space:  global
        .offset:         72
        .size:           8
        .value_kind:     global_buffer
      - .offset:         80
        .size:           8
        .value_kind:     by_value
      - .actual_access:  read_only
        .address_space:  global
        .offset:         88
        .size:           8
        .value_kind:     global_buffer
      - .actual_access:  read_only
        .address_space:  global
        .offset:         96
        .size:           8
        .value_kind:     global_buffer
      - .actual_access:  read_only
        .address_space:  global
        .offset:         104
        .size:           8
        .value_kind:     global_buffer
      - .actual_access:  read_only
        .address_space:  global
        .offset:         112
        .size:           8
        .value_kind:     global_buffer
      - .actual_access:  read_only
        .address_space:  global
        .offset:         120
        .size:           8
        .value_kind:     global_buffer
      - .actual_access:  write_only
        .address_space:  global
        .offset:         128
        .size:           8
        .value_kind:     global_buffer
      - .offset:         136
        .size:           4
        .value_kind:     by_value
      - .offset:         140
        .size:           4
        .value_kind:     by_value
      - .offset:         144
        .size:           4
        .value_kind:     by_value
      - .offset:         148
        .size:           4
        .value_kind:     by_value
      - .offset:         152
        .size:           1
        .value_kind:     by_value
      - .offset:         153
        .size:           1
        .value_kind:     by_value
      - .offset:         154
        .size:           1
        .value_kind:     by_value
    .group_segment_fixed_size: 6144
    .kernarg_segment_align: 8
    .kernarg_segment_size: 156
    .language:       OpenCL C
    .language_version:
      - 2
      - 0
    .max_flat_workgroup_size: 256
    .name:           _ZN9rocsparseL38csrgemm_numeric_fill_wf_per_row_kernelILj256ELj16ELj32ELj137Eii21rocsparse_complex_numIfEEEvT4_S3_PKS3_S5_NS_24const_host_device_scalarIT5_EEPKT3_S5_PKS7_SB_S5_SD_S8_SB_S5_SD_SB_S5_PS7_21rocsparse_index_base_SF_SF_SF_bbb
    .private_segment_fixed_size: 0
    .sgpr_count:     44
    .sgpr_spill_count: 0
    .symbol:         _ZN9rocsparseL38csrgemm_numeric_fill_wf_per_row_kernelILj256ELj16ELj32ELj137Eii21rocsparse_complex_numIfEEEvT4_S3_PKS3_S5_NS_24const_host_device_scalarIT5_EEPKT3_S5_PKS7_SB_S5_SD_S8_SB_S5_SD_SB_S5_PS7_21rocsparse_index_base_SF_SF_SF_bbb.kd
    .uniform_work_group_size: 1
    .uses_dynamic_stack: false
    .vgpr_count:     38
    .vgpr_spill_count: 0
    .wavefront_size: 32
    .workgroup_processor_mode: 1
  - .args:
      - .offset:         0
        .size:           4
        .value_kind:     by_value
      - .actual_access:  read_only
        .address_space:  global
        .offset:         8
        .size:           8
        .value_kind:     global_buffer
      - .actual_access:  read_only
        .address_space:  global
        .offset:         16
        .size:           8
        .value_kind:     global_buffer
      - .offset:         24
        .size:           8
        .value_kind:     by_value
      - .actual_access:  read_only
        .address_space:  global
        .offset:         32
        .size:           8
        .value_kind:     global_buffer
      - .actual_access:  read_only
        .address_space:  global
        .offset:         40
        .size:           8
        .value_kind:     global_buffer
      - .actual_access:  read_only
        .address_space:  global
        .offset:         48
        .size:           8
        .value_kind:     global_buffer
      - .actual_access:  read_only
        .address_space:  global
        .offset:         56
        .size:           8
        .value_kind:     global_buffer
      - .actual_access:  read_only
        .address_space:  global
        .offset:         64
        .size:           8
        .value_kind:     global_buffer
      - .actual_access:  read_only
        .address_space:  global
        .offset:         72
        .size:           8
        .value_kind:     global_buffer
      - .offset:         80
        .size:           8
        .value_kind:     by_value
      - .actual_access:  read_only
        .address_space:  global
        .offset:         88
        .size:           8
        .value_kind:     global_buffer
      - .actual_access:  read_only
        .address_space:  global
        .offset:         96
        .size:           8
        .value_kind:     global_buffer
      - .actual_access:  read_only
        .address_space:  global
        .offset:         104
        .size:           8
        .value_kind:     global_buffer
      - .actual_access:  read_only
        .address_space:  global
        .offset:         112
        .size:           8
        .value_kind:     global_buffer
      - .actual_access:  read_only
        .address_space:  global
        .offset:         120
        .size:           8
        .value_kind:     global_buffer
      - .actual_access:  write_only
        .address_space:  global
        .offset:         128
        .size:           8
        .value_kind:     global_buffer
      - .offset:         136
        .size:           4
        .value_kind:     by_value
      - .offset:         140
        .size:           4
        .value_kind:     by_value
      - .offset:         144
        .size:           4
        .value_kind:     by_value
      - .offset:         148
        .size:           4
        .value_kind:     by_value
      - .offset:         152
        .size:           1
        .value_kind:     by_value
      - .offset:         153
        .size:           1
        .value_kind:     by_value
      - .offset:         154
        .size:           1
        .value_kind:     by_value
    .group_segment_fixed_size: 0
    .kernarg_segment_align: 8
    .kernarg_segment_size: 156
    .language:       OpenCL C
    .language_version:
      - 2
      - 0
    .max_flat_workgroup_size: 128
    .name:           _ZN9rocsparseL41csrgemm_numeric_fill_block_per_row_kernelILj128ELj16ELj256ELj137ELj32Eii21rocsparse_complex_numIfEEEvT5_PKS3_S5_NS_24const_host_device_scalarIT6_EEPKT4_S5_PKS7_SB_S5_SD_S8_SB_S5_SD_SB_S5_PS7_21rocsparse_index_base_SF_SF_SF_bbb
    .private_segment_fixed_size: 0
    .sgpr_count:     46
    .sgpr_spill_count: 0
    .symbol:         _ZN9rocsparseL41csrgemm_numeric_fill_block_per_row_kernelILj128ELj16ELj256ELj137ELj32Eii21rocsparse_complex_numIfEEEvT5_PKS3_S5_NS_24const_host_device_scalarIT6_EEPKT4_S5_PKS7_SB_S5_SD_S8_SB_S5_SD_SB_S5_PS7_21rocsparse_index_base_SF_SF_SF_bbb.kd
    .uniform_work_group_size: 1
    .uses_dynamic_stack: false
    .vgpr_count:     16
    .vgpr_spill_count: 0
    .wavefront_size: 32
    .workgroup_processor_mode: 1
  - .args:
      - .offset:         0
        .size:           4
        .value_kind:     by_value
      - .actual_access:  read_only
        .address_space:  global
        .offset:         8
        .size:           8
        .value_kind:     global_buffer
      - .actual_access:  read_only
        .address_space:  global
        .offset:         16
        .size:           8
        .value_kind:     global_buffer
      - .offset:         24
        .size:           8
        .value_kind:     by_value
      - .actual_access:  read_only
        .address_space:  global
        .offset:         32
        .size:           8
        .value_kind:     global_buffer
      - .actual_access:  read_only
        .address_space:  global
        .offset:         40
        .size:           8
        .value_kind:     global_buffer
      - .actual_access:  read_only
        .address_space:  global
        .offset:         48
        .size:           8
        .value_kind:     global_buffer
      - .actual_access:  read_only
        .address_space:  global
        .offset:         56
        .size:           8
        .value_kind:     global_buffer
      - .actual_access:  read_only
        .address_space:  global
        .offset:         64
        .size:           8
        .value_kind:     global_buffer
      - .actual_access:  read_only
        .address_space:  global
        .offset:         72
        .size:           8
        .value_kind:     global_buffer
      - .offset:         80
        .size:           8
        .value_kind:     by_value
      - .actual_access:  read_only
        .address_space:  global
        .offset:         88
        .size:           8
        .value_kind:     global_buffer
      - .actual_access:  read_only
        .address_space:  global
        .offset:         96
        .size:           8
        .value_kind:     global_buffer
      - .actual_access:  read_only
        .address_space:  global
        .offset:         104
        .size:           8
        .value_kind:     global_buffer
      - .actual_access:  read_only
        .address_space:  global
        .offset:         112
        .size:           8
        .value_kind:     global_buffer
      - .actual_access:  read_only
        .address_space:  global
        .offset:         120
        .size:           8
        .value_kind:     global_buffer
      - .actual_access:  write_only
        .address_space:  global
        .offset:         128
        .size:           8
        .value_kind:     global_buffer
      - .offset:         136
        .size:           4
        .value_kind:     by_value
      - .offset:         140
        .size:           4
        .value_kind:     by_value
      - .offset:         144
        .size:           4
        .value_kind:     by_value
      - .offset:         148
        .size:           4
        .value_kind:     by_value
      - .offset:         152
        .size:           1
        .value_kind:     by_value
      - .offset:         153
        .size:           1
        .value_kind:     by_value
      - .offset:         154
        .size:           1
        .value_kind:     by_value
    .group_segment_fixed_size: 0
    .kernarg_segment_align: 8
    .kernarg_segment_size: 156
    .language:       OpenCL C
    .language_version:
      - 2
      - 0
    .max_flat_workgroup_size: 128
    .name:           _ZN9rocsparseL41csrgemm_numeric_fill_block_per_row_kernelILj128ELj16ELj256ELj137ELj64Eii21rocsparse_complex_numIfEEEvT5_PKS3_S5_NS_24const_host_device_scalarIT6_EEPKT4_S5_PKS7_SB_S5_SD_S8_SB_S5_SD_SB_S5_PS7_21rocsparse_index_base_SF_SF_SF_bbb
    .private_segment_fixed_size: 0
    .sgpr_count:     46
    .sgpr_spill_count: 0
    .symbol:         _ZN9rocsparseL41csrgemm_numeric_fill_block_per_row_kernelILj128ELj16ELj256ELj137ELj64Eii21rocsparse_complex_numIfEEEvT5_PKS3_S5_NS_24const_host_device_scalarIT6_EEPKT4_S5_PKS7_SB_S5_SD_S8_SB_S5_SD_SB_S5_PS7_21rocsparse_index_base_SF_SF_SF_bbb.kd
    .uniform_work_group_size: 1
    .uses_dynamic_stack: false
    .vgpr_count:     17
    .vgpr_spill_count: 0
    .wavefront_size: 32
    .workgroup_processor_mode: 1
  - .args:
      - .offset:         0
        .size:           4
        .value_kind:     by_value
      - .actual_access:  read_only
        .address_space:  global
        .offset:         8
        .size:           8
        .value_kind:     global_buffer
      - .actual_access:  read_only
        .address_space:  global
        .offset:         16
        .size:           8
        .value_kind:     global_buffer
      - .offset:         24
        .size:           8
        .value_kind:     by_value
      - .actual_access:  read_only
        .address_space:  global
        .offset:         32
        .size:           8
        .value_kind:     global_buffer
      - .actual_access:  read_only
        .address_space:  global
        .offset:         40
        .size:           8
        .value_kind:     global_buffer
      - .actual_access:  read_only
        .address_space:  global
        .offset:         48
        .size:           8
        .value_kind:     global_buffer
      - .actual_access:  read_only
        .address_space:  global
        .offset:         56
        .size:           8
        .value_kind:     global_buffer
      - .actual_access:  read_only
        .address_space:  global
        .offset:         64
        .size:           8
        .value_kind:     global_buffer
      - .actual_access:  read_only
        .address_space:  global
        .offset:         72
        .size:           8
        .value_kind:     global_buffer
      - .offset:         80
        .size:           8
        .value_kind:     by_value
      - .actual_access:  read_only
        .address_space:  global
        .offset:         88
        .size:           8
        .value_kind:     global_buffer
      - .actual_access:  read_only
        .address_space:  global
        .offset:         96
        .size:           8
        .value_kind:     global_buffer
      - .actual_access:  read_only
        .address_space:  global
        .offset:         104
        .size:           8
        .value_kind:     global_buffer
      - .actual_access:  read_only
        .address_space:  global
        .offset:         112
        .size:           8
        .value_kind:     global_buffer
      - .actual_access:  read_only
        .address_space:  global
        .offset:         120
        .size:           8
        .value_kind:     global_buffer
      - .actual_access:  write_only
        .address_space:  global
        .offset:         128
        .size:           8
        .value_kind:     global_buffer
      - .offset:         136
        .size:           4
        .value_kind:     by_value
      - .offset:         140
        .size:           4
        .value_kind:     by_value
      - .offset:         144
        .size:           4
        .value_kind:     by_value
      - .offset:         148
        .size:           4
        .value_kind:     by_value
      - .offset:         152
        .size:           1
        .value_kind:     by_value
      - .offset:         153
        .size:           1
        .value_kind:     by_value
      - .offset:         154
        .size:           1
        .value_kind:     by_value
    .group_segment_fixed_size: 0
    .kernarg_segment_align: 8
    .kernarg_segment_size: 156
    .language:       OpenCL C
    .language_version:
      - 2
      - 0
    .max_flat_workgroup_size: 256
    .name:           _ZN9rocsparseL41csrgemm_numeric_fill_block_per_row_kernelILj256ELj32ELj512ELj137ELj32Eii21rocsparse_complex_numIfEEEvT5_PKS3_S5_NS_24const_host_device_scalarIT6_EEPKT4_S5_PKS7_SB_S5_SD_S8_SB_S5_SD_SB_S5_PS7_21rocsparse_index_base_SF_SF_SF_bbb
    .private_segment_fixed_size: 0
    .sgpr_count:     46
    .sgpr_spill_count: 0
    .symbol:         _ZN9rocsparseL41csrgemm_numeric_fill_block_per_row_kernelILj256ELj32ELj512ELj137ELj32Eii21rocsparse_complex_numIfEEEvT5_PKS3_S5_NS_24const_host_device_scalarIT6_EEPKT4_S5_PKS7_SB_S5_SD_S8_SB_S5_SD_SB_S5_PS7_21rocsparse_index_base_SF_SF_SF_bbb.kd
    .uniform_work_group_size: 1
    .uses_dynamic_stack: false
    .vgpr_count:     17
    .vgpr_spill_count: 0
    .wavefront_size: 32
    .workgroup_processor_mode: 1
  - .args:
      - .offset:         0
        .size:           4
        .value_kind:     by_value
      - .actual_access:  read_only
        .address_space:  global
        .offset:         8
        .size:           8
        .value_kind:     global_buffer
      - .actual_access:  read_only
        .address_space:  global
        .offset:         16
        .size:           8
        .value_kind:     global_buffer
      - .offset:         24
        .size:           8
        .value_kind:     by_value
      - .actual_access:  read_only
        .address_space:  global
        .offset:         32
        .size:           8
        .value_kind:     global_buffer
      - .actual_access:  read_only
        .address_space:  global
        .offset:         40
        .size:           8
        .value_kind:     global_buffer
      - .actual_access:  read_only
        .address_space:  global
        .offset:         48
        .size:           8
        .value_kind:     global_buffer
      - .actual_access:  read_only
        .address_space:  global
        .offset:         56
        .size:           8
        .value_kind:     global_buffer
      - .actual_access:  read_only
        .address_space:  global
        .offset:         64
        .size:           8
        .value_kind:     global_buffer
      - .actual_access:  read_only
        .address_space:  global
        .offset:         72
        .size:           8
        .value_kind:     global_buffer
      - .offset:         80
        .size:           8
        .value_kind:     by_value
      - .actual_access:  read_only
        .address_space:  global
        .offset:         88
        .size:           8
        .value_kind:     global_buffer
      - .actual_access:  read_only
        .address_space:  global
        .offset:         96
        .size:           8
        .value_kind:     global_buffer
      - .actual_access:  read_only
        .address_space:  global
        .offset:         104
        .size:           8
        .value_kind:     global_buffer
      - .actual_access:  read_only
        .address_space:  global
        .offset:         112
        .size:           8
        .value_kind:     global_buffer
      - .actual_access:  read_only
        .address_space:  global
        .offset:         120
        .size:           8
        .value_kind:     global_buffer
      - .actual_access:  write_only
        .address_space:  global
        .offset:         128
        .size:           8
        .value_kind:     global_buffer
      - .offset:         136
        .size:           4
        .value_kind:     by_value
      - .offset:         140
        .size:           4
        .value_kind:     by_value
      - .offset:         144
        .size:           4
        .value_kind:     by_value
      - .offset:         148
        .size:           4
        .value_kind:     by_value
      - .offset:         152
        .size:           1
        .value_kind:     by_value
      - .offset:         153
        .size:           1
        .value_kind:     by_value
      - .offset:         154
        .size:           1
        .value_kind:     by_value
    .group_segment_fixed_size: 0
    .kernarg_segment_align: 8
    .kernarg_segment_size: 156
    .language:       OpenCL C
    .language_version:
      - 2
      - 0
    .max_flat_workgroup_size: 256
    .name:           _ZN9rocsparseL41csrgemm_numeric_fill_block_per_row_kernelILj256ELj32ELj512ELj137ELj64Eii21rocsparse_complex_numIfEEEvT5_PKS3_S5_NS_24const_host_device_scalarIT6_EEPKT4_S5_PKS7_SB_S5_SD_S8_SB_S5_SD_SB_S5_PS7_21rocsparse_index_base_SF_SF_SF_bbb
    .private_segment_fixed_size: 0
    .sgpr_count:     46
    .sgpr_spill_count: 0
    .symbol:         _ZN9rocsparseL41csrgemm_numeric_fill_block_per_row_kernelILj256ELj32ELj512ELj137ELj64Eii21rocsparse_complex_numIfEEEvT5_PKS3_S5_NS_24const_host_device_scalarIT6_EEPKT4_S5_PKS7_SB_S5_SD_S8_SB_S5_SD_SB_S5_PS7_21rocsparse_index_base_SF_SF_SF_bbb.kd
    .uniform_work_group_size: 1
    .uses_dynamic_stack: false
    .vgpr_count:     16
    .vgpr_spill_count: 0
    .wavefront_size: 32
    .workgroup_processor_mode: 1
  - .args:
      - .offset:         0
        .size:           4
        .value_kind:     by_value
      - .actual_access:  read_only
        .address_space:  global
        .offset:         8
        .size:           8
        .value_kind:     global_buffer
      - .actual_access:  read_only
        .address_space:  global
        .offset:         16
        .size:           8
        .value_kind:     global_buffer
      - .offset:         24
        .size:           8
        .value_kind:     by_value
      - .actual_access:  read_only
        .address_space:  global
        .offset:         32
        .size:           8
        .value_kind:     global_buffer
      - .actual_access:  read_only
        .address_space:  global
        .offset:         40
        .size:           8
        .value_kind:     global_buffer
      - .actual_access:  read_only
        .address_space:  global
        .offset:         48
        .size:           8
        .value_kind:     global_buffer
      - .actual_access:  read_only
        .address_space:  global
        .offset:         56
        .size:           8
        .value_kind:     global_buffer
      - .actual_access:  read_only
        .address_space:  global
        .offset:         64
        .size:           8
        .value_kind:     global_buffer
      - .actual_access:  read_only
        .address_space:  global
        .offset:         72
        .size:           8
        .value_kind:     global_buffer
      - .offset:         80
        .size:           8
        .value_kind:     by_value
      - .actual_access:  read_only
        .address_space:  global
        .offset:         88
        .size:           8
        .value_kind:     global_buffer
      - .actual_access:  read_only
        .address_space:  global
        .offset:         96
        .size:           8
        .value_kind:     global_buffer
      - .actual_access:  read_only
        .address_space:  global
        .offset:         104
        .size:           8
        .value_kind:     global_buffer
      - .actual_access:  read_only
        .address_space:  global
        .offset:         112
        .size:           8
        .value_kind:     global_buffer
      - .actual_access:  read_only
        .address_space:  global
        .offset:         120
        .size:           8
        .value_kind:     global_buffer
      - .actual_access:  write_only
        .address_space:  global
        .offset:         128
        .size:           8
        .value_kind:     global_buffer
      - .offset:         136
        .size:           4
        .value_kind:     by_value
      - .offset:         140
        .size:           4
        .value_kind:     by_value
      - .offset:         144
        .size:           4
        .value_kind:     by_value
      - .offset:         148
        .size:           4
        .value_kind:     by_value
      - .offset:         152
        .size:           1
        .value_kind:     by_value
      - .offset:         153
        .size:           1
        .value_kind:     by_value
      - .offset:         154
        .size:           1
        .value_kind:     by_value
    .group_segment_fixed_size: 0
    .kernarg_segment_align: 8
    .kernarg_segment_size: 156
    .language:       OpenCL C
    .language_version:
      - 2
      - 0
    .max_flat_workgroup_size: 512
    .name:           _ZN9rocsparseL41csrgemm_numeric_fill_block_per_row_kernelILj512ELj32ELj1024ELj137ELj32Eii21rocsparse_complex_numIfEEEvT5_PKS3_S5_NS_24const_host_device_scalarIT6_EEPKT4_S5_PKS7_SB_S5_SD_S8_SB_S5_SD_SB_S5_PS7_21rocsparse_index_base_SF_SF_SF_bbb
    .private_segment_fixed_size: 0
    .sgpr_count:     45
    .sgpr_spill_count: 0
    .symbol:         _ZN9rocsparseL41csrgemm_numeric_fill_block_per_row_kernelILj512ELj32ELj1024ELj137ELj32Eii21rocsparse_complex_numIfEEEvT5_PKS3_S5_NS_24const_host_device_scalarIT6_EEPKT4_S5_PKS7_SB_S5_SD_S8_SB_S5_SD_SB_S5_PS7_21rocsparse_index_base_SF_SF_SF_bbb.kd
    .uniform_work_group_size: 1
    .uses_dynamic_stack: false
    .vgpr_count:     17
    .vgpr_spill_count: 0
    .wavefront_size: 32
    .workgroup_processor_mode: 1
  - .args:
      - .offset:         0
        .size:           4
        .value_kind:     by_value
      - .actual_access:  read_only
        .address_space:  global
        .offset:         8
        .size:           8
        .value_kind:     global_buffer
      - .actual_access:  read_only
        .address_space:  global
        .offset:         16
        .size:           8
        .value_kind:     global_buffer
      - .offset:         24
        .size:           8
        .value_kind:     by_value
      - .actual_access:  read_only
        .address_space:  global
        .offset:         32
        .size:           8
        .value_kind:     global_buffer
      - .actual_access:  read_only
        .address_space:  global
        .offset:         40
        .size:           8
        .value_kind:     global_buffer
      - .actual_access:  read_only
        .address_space:  global
        .offset:         48
        .size:           8
        .value_kind:     global_buffer
      - .actual_access:  read_only
        .address_space:  global
        .offset:         56
        .size:           8
        .value_kind:     global_buffer
      - .actual_access:  read_only
        .address_space:  global
        .offset:         64
        .size:           8
        .value_kind:     global_buffer
      - .actual_access:  read_only
        .address_space:  global
        .offset:         72
        .size:           8
        .value_kind:     global_buffer
      - .offset:         80
        .size:           8
        .value_kind:     by_value
      - .actual_access:  read_only
        .address_space:  global
        .offset:         88
        .size:           8
        .value_kind:     global_buffer
      - .actual_access:  read_only
        .address_space:  global
        .offset:         96
        .size:           8
        .value_kind:     global_buffer
      - .actual_access:  read_only
        .address_space:  global
        .offset:         104
        .size:           8
        .value_kind:     global_buffer
      - .actual_access:  read_only
        .address_space:  global
        .offset:         112
        .size:           8
        .value_kind:     global_buffer
      - .actual_access:  read_only
        .address_space:  global
        .offset:         120
        .size:           8
        .value_kind:     global_buffer
      - .actual_access:  write_only
        .address_space:  global
        .offset:         128
        .size:           8
        .value_kind:     global_buffer
      - .offset:         136
        .size:           4
        .value_kind:     by_value
      - .offset:         140
        .size:           4
        .value_kind:     by_value
      - .offset:         144
        .size:           4
        .value_kind:     by_value
      - .offset:         148
        .size:           4
        .value_kind:     by_value
      - .offset:         152
        .size:           1
        .value_kind:     by_value
      - .offset:         153
        .size:           1
        .value_kind:     by_value
      - .offset:         154
        .size:           1
        .value_kind:     by_value
    .group_segment_fixed_size: 0
    .kernarg_segment_align: 8
    .kernarg_segment_size: 156
    .language:       OpenCL C
    .language_version:
      - 2
      - 0
    .max_flat_workgroup_size: 512
    .name:           _ZN9rocsparseL41csrgemm_numeric_fill_block_per_row_kernelILj512ELj32ELj1024ELj137ELj64Eii21rocsparse_complex_numIfEEEvT5_PKS3_S5_NS_24const_host_device_scalarIT6_EEPKT4_S5_PKS7_SB_S5_SD_S8_SB_S5_SD_SB_S5_PS7_21rocsparse_index_base_SF_SF_SF_bbb
    .private_segment_fixed_size: 0
    .sgpr_count:     45
    .sgpr_spill_count: 0
    .symbol:         _ZN9rocsparseL41csrgemm_numeric_fill_block_per_row_kernelILj512ELj32ELj1024ELj137ELj64Eii21rocsparse_complex_numIfEEEvT5_PKS3_S5_NS_24const_host_device_scalarIT6_EEPKT4_S5_PKS7_SB_S5_SD_S8_SB_S5_SD_SB_S5_PS7_21rocsparse_index_base_SF_SF_SF_bbb.kd
    .uniform_work_group_size: 1
    .uses_dynamic_stack: false
    .vgpr_count:     16
    .vgpr_spill_count: 0
    .wavefront_size: 32
    .workgroup_processor_mode: 1
  - .args:
      - .offset:         0
        .size:           4
        .value_kind:     by_value
      - .actual_access:  read_only
        .address_space:  global
        .offset:         8
        .size:           8
        .value_kind:     global_buffer
      - .actual_access:  read_only
        .address_space:  global
        .offset:         16
        .size:           8
        .value_kind:     global_buffer
      - .offset:         24
        .size:           8
        .value_kind:     by_value
      - .actual_access:  read_only
        .address_space:  global
        .offset:         32
        .size:           8
        .value_kind:     global_buffer
      - .actual_access:  read_only
        .address_space:  global
        .offset:         40
        .size:           8
        .value_kind:     global_buffer
      - .actual_access:  read_only
        .address_space:  global
        .offset:         48
        .size:           8
        .value_kind:     global_buffer
      - .actual_access:  read_only
        .address_space:  global
        .offset:         56
        .size:           8
        .value_kind:     global_buffer
      - .actual_access:  read_only
        .address_space:  global
        .offset:         64
        .size:           8
        .value_kind:     global_buffer
      - .actual_access:  read_only
        .address_space:  global
        .offset:         72
        .size:           8
        .value_kind:     global_buffer
      - .offset:         80
        .size:           8
        .value_kind:     by_value
      - .actual_access:  read_only
        .address_space:  global
        .offset:         88
        .size:           8
        .value_kind:     global_buffer
      - .actual_access:  read_only
        .address_space:  global
        .offset:         96
        .size:           8
        .value_kind:     global_buffer
      - .actual_access:  read_only
        .address_space:  global
        .offset:         104
        .size:           8
        .value_kind:     global_buffer
      - .actual_access:  read_only
        .address_space:  global
        .offset:         112
        .size:           8
        .value_kind:     global_buffer
      - .actual_access:  read_only
        .address_space:  global
        .offset:         120
        .size:           8
        .value_kind:     global_buffer
      - .actual_access:  write_only
        .address_space:  global
        .offset:         128
        .size:           8
        .value_kind:     global_buffer
      - .offset:         136
        .size:           4
        .value_kind:     by_value
      - .offset:         140
        .size:           4
        .value_kind:     by_value
      - .offset:         144
        .size:           4
        .value_kind:     by_value
      - .offset:         148
        .size:           4
        .value_kind:     by_value
      - .offset:         152
        .size:           1
        .value_kind:     by_value
      - .offset:         153
        .size:           1
        .value_kind:     by_value
      - .offset:         154
        .size:           1
        .value_kind:     by_value
    .group_segment_fixed_size: 0
    .kernarg_segment_align: 8
    .kernarg_segment_size: 156
    .language:       OpenCL C
    .language_version:
      - 2
      - 0
    .max_flat_workgroup_size: 1024
    .name:           _ZN9rocsparseL41csrgemm_numeric_fill_block_per_row_kernelILj1024ELj32ELj2048ELj137ELj32Eii21rocsparse_complex_numIfEEEvT5_PKS3_S5_NS_24const_host_device_scalarIT6_EEPKT4_S5_PKS7_SB_S5_SD_S8_SB_S5_SD_SB_S5_PS7_21rocsparse_index_base_SF_SF_SF_bbb
    .private_segment_fixed_size: 0
    .sgpr_count:     46
    .sgpr_spill_count: 0
    .symbol:         _ZN9rocsparseL41csrgemm_numeric_fill_block_per_row_kernelILj1024ELj32ELj2048ELj137ELj32Eii21rocsparse_complex_numIfEEEvT5_PKS3_S5_NS_24const_host_device_scalarIT6_EEPKT4_S5_PKS7_SB_S5_SD_S8_SB_S5_SD_SB_S5_PS7_21rocsparse_index_base_SF_SF_SF_bbb.kd
    .uniform_work_group_size: 1
    .uses_dynamic_stack: false
    .vgpr_count:     17
    .vgpr_spill_count: 0
    .wavefront_size: 32
    .workgroup_processor_mode: 1
  - .args:
      - .offset:         0
        .size:           4
        .value_kind:     by_value
      - .actual_access:  read_only
        .address_space:  global
        .offset:         8
        .size:           8
        .value_kind:     global_buffer
      - .actual_access:  read_only
        .address_space:  global
        .offset:         16
        .size:           8
        .value_kind:     global_buffer
      - .offset:         24
        .size:           8
        .value_kind:     by_value
      - .actual_access:  read_only
        .address_space:  global
        .offset:         32
        .size:           8
        .value_kind:     global_buffer
      - .actual_access:  read_only
        .address_space:  global
        .offset:         40
        .size:           8
        .value_kind:     global_buffer
      - .actual_access:  read_only
        .address_space:  global
        .offset:         48
        .size:           8
        .value_kind:     global_buffer
      - .actual_access:  read_only
        .address_space:  global
        .offset:         56
        .size:           8
        .value_kind:     global_buffer
      - .actual_access:  read_only
        .address_space:  global
        .offset:         64
        .size:           8
        .value_kind:     global_buffer
      - .actual_access:  read_only
        .address_space:  global
        .offset:         72
        .size:           8
        .value_kind:     global_buffer
      - .offset:         80
        .size:           8
        .value_kind:     by_value
      - .actual_access:  read_only
        .address_space:  global
        .offset:         88
        .size:           8
        .value_kind:     global_buffer
      - .actual_access:  read_only
        .address_space:  global
        .offset:         96
        .size:           8
        .value_kind:     global_buffer
      - .actual_access:  read_only
        .address_space:  global
        .offset:         104
        .size:           8
        .value_kind:     global_buffer
      - .actual_access:  read_only
        .address_space:  global
        .offset:         112
        .size:           8
        .value_kind:     global_buffer
      - .actual_access:  read_only
        .address_space:  global
        .offset:         120
        .size:           8
        .value_kind:     global_buffer
      - .actual_access:  write_only
        .address_space:  global
        .offset:         128
        .size:           8
        .value_kind:     global_buffer
      - .offset:         136
        .size:           4
        .value_kind:     by_value
      - .offset:         140
        .size:           4
        .value_kind:     by_value
      - .offset:         144
        .size:           4
        .value_kind:     by_value
      - .offset:         148
        .size:           4
        .value_kind:     by_value
      - .offset:         152
        .size:           1
        .value_kind:     by_value
      - .offset:         153
        .size:           1
        .value_kind:     by_value
      - .offset:         154
        .size:           1
        .value_kind:     by_value
    .group_segment_fixed_size: 0
    .kernarg_segment_align: 8
    .kernarg_segment_size: 156
    .language:       OpenCL C
    .language_version:
      - 2
      - 0
    .max_flat_workgroup_size: 1024
    .name:           _ZN9rocsparseL41csrgemm_numeric_fill_block_per_row_kernelILj1024ELj32ELj2048ELj137ELj64Eii21rocsparse_complex_numIfEEEvT5_PKS3_S5_NS_24const_host_device_scalarIT6_EEPKT4_S5_PKS7_SB_S5_SD_S8_SB_S5_SD_SB_S5_PS7_21rocsparse_index_base_SF_SF_SF_bbb
    .private_segment_fixed_size: 0
    .sgpr_count:     45
    .sgpr_spill_count: 0
    .symbol:         _ZN9rocsparseL41csrgemm_numeric_fill_block_per_row_kernelILj1024ELj32ELj2048ELj137ELj64Eii21rocsparse_complex_numIfEEEvT5_PKS3_S5_NS_24const_host_device_scalarIT6_EEPKT4_S5_PKS7_SB_S5_SD_S8_SB_S5_SD_SB_S5_PS7_21rocsparse_index_base_SF_SF_SF_bbb.kd
    .uniform_work_group_size: 1
    .uses_dynamic_stack: false
    .vgpr_count:     16
    .vgpr_spill_count: 0
    .wavefront_size: 32
    .workgroup_processor_mode: 1
  - .args:
      - .offset:         0
        .size:           4
        .value_kind:     by_value
      - .actual_access:  read_only
        .address_space:  global
        .offset:         8
        .size:           8
        .value_kind:     global_buffer
      - .actual_access:  read_only
        .address_space:  global
        .offset:         16
        .size:           8
        .value_kind:     global_buffer
      - .offset:         24
        .size:           8
        .value_kind:     by_value
      - .actual_access:  read_only
        .address_space:  global
        .offset:         32
        .size:           8
        .value_kind:     global_buffer
      - .actual_access:  read_only
        .address_space:  global
        .offset:         40
        .size:           8
        .value_kind:     global_buffer
      - .actual_access:  read_only
        .address_space:  global
        .offset:         48
        .size:           8
        .value_kind:     global_buffer
      - .actual_access:  read_only
        .address_space:  global
        .offset:         56
        .size:           8
        .value_kind:     global_buffer
      - .actual_access:  read_only
        .address_space:  global
        .offset:         64
        .size:           8
        .value_kind:     global_buffer
      - .actual_access:  read_only
        .address_space:  global
        .offset:         72
        .size:           8
        .value_kind:     global_buffer
      - .offset:         80
        .size:           8
        .value_kind:     by_value
      - .actual_access:  read_only
        .address_space:  global
        .offset:         88
        .size:           8
        .value_kind:     global_buffer
      - .actual_access:  read_only
        .address_space:  global
        .offset:         96
        .size:           8
        .value_kind:     global_buffer
      - .actual_access:  read_only
        .address_space:  global
        .offset:         104
        .size:           8
        .value_kind:     global_buffer
      - .actual_access:  read_only
        .address_space:  global
        .offset:         112
        .size:           8
        .value_kind:     global_buffer
      - .actual_access:  read_only
        .address_space:  global
        .offset:         120
        .size:           8
        .value_kind:     global_buffer
      - .actual_access:  write_only
        .address_space:  global
        .offset:         128
        .size:           8
        .value_kind:     global_buffer
      - .offset:         136
        .size:           4
        .value_kind:     by_value
      - .offset:         140
        .size:           4
        .value_kind:     by_value
      - .offset:         144
        .size:           4
        .value_kind:     by_value
      - .offset:         148
        .size:           4
        .value_kind:     by_value
      - .offset:         152
        .size:           1
        .value_kind:     by_value
      - .offset:         153
        .size:           1
        .value_kind:     by_value
      - .offset:         154
        .size:           1
        .value_kind:     by_value
    .group_segment_fixed_size: 0
    .kernarg_segment_align: 8
    .kernarg_segment_size: 156
    .language:       OpenCL C
    .language_version:
      - 2
      - 0
    .max_flat_workgroup_size: 1024
    .name:           _ZN9rocsparseL41csrgemm_numeric_fill_block_per_row_kernelILj1024ELj64ELj4096ELj137ELj32Eii21rocsparse_complex_numIfEEEvT5_PKS3_S5_NS_24const_host_device_scalarIT6_EEPKT4_S5_PKS7_SB_S5_SD_S8_SB_S5_SD_SB_S5_PS7_21rocsparse_index_base_SF_SF_SF_bbb
    .private_segment_fixed_size: 0
    .sgpr_count:     46
    .sgpr_spill_count: 0
    .symbol:         _ZN9rocsparseL41csrgemm_numeric_fill_block_per_row_kernelILj1024ELj64ELj4096ELj137ELj32Eii21rocsparse_complex_numIfEEEvT5_PKS3_S5_NS_24const_host_device_scalarIT6_EEPKT4_S5_PKS7_SB_S5_SD_S8_SB_S5_SD_SB_S5_PS7_21rocsparse_index_base_SF_SF_SF_bbb.kd
    .uniform_work_group_size: 1
    .uses_dynamic_stack: false
    .vgpr_count:     16
    .vgpr_spill_count: 0
    .wavefront_size: 32
    .workgroup_processor_mode: 1
  - .args:
      - .offset:         0
        .size:           4
        .value_kind:     by_value
      - .actual_access:  read_only
        .address_space:  global
        .offset:         8
        .size:           8
        .value_kind:     global_buffer
      - .actual_access:  read_only
        .address_space:  global
        .offset:         16
        .size:           8
        .value_kind:     global_buffer
      - .offset:         24
        .size:           8
        .value_kind:     by_value
      - .actual_access:  read_only
        .address_space:  global
        .offset:         32
        .size:           8
        .value_kind:     global_buffer
      - .actual_access:  read_only
        .address_space:  global
        .offset:         40
        .size:           8
        .value_kind:     global_buffer
      - .actual_access:  read_only
        .address_space:  global
        .offset:         48
        .size:           8
        .value_kind:     global_buffer
      - .actual_access:  read_only
        .address_space:  global
        .offset:         56
        .size:           8
        .value_kind:     global_buffer
      - .actual_access:  read_only
        .address_space:  global
        .offset:         64
        .size:           8
        .value_kind:     global_buffer
      - .actual_access:  read_only
        .address_space:  global
        .offset:         72
        .size:           8
        .value_kind:     global_buffer
      - .offset:         80
        .size:           8
        .value_kind:     by_value
      - .actual_access:  read_only
        .address_space:  global
        .offset:         88
        .size:           8
        .value_kind:     global_buffer
      - .actual_access:  read_only
        .address_space:  global
        .offset:         96
        .size:           8
        .value_kind:     global_buffer
      - .actual_access:  read_only
        .address_space:  global
        .offset:         104
        .size:           8
        .value_kind:     global_buffer
      - .actual_access:  read_only
        .address_space:  global
        .offset:         112
        .size:           8
        .value_kind:     global_buffer
      - .actual_access:  read_only
        .address_space:  global
        .offset:         120
        .size:           8
        .value_kind:     global_buffer
      - .actual_access:  write_only
        .address_space:  global
        .offset:         128
        .size:           8
        .value_kind:     global_buffer
      - .offset:         136
        .size:           4
        .value_kind:     by_value
      - .offset:         140
        .size:           4
        .value_kind:     by_value
      - .offset:         144
        .size:           4
        .value_kind:     by_value
      - .offset:         148
        .size:           4
        .value_kind:     by_value
      - .offset:         152
        .size:           1
        .value_kind:     by_value
      - .offset:         153
        .size:           1
        .value_kind:     by_value
      - .offset:         154
        .size:           1
        .value_kind:     by_value
    .group_segment_fixed_size: 0
    .kernarg_segment_align: 8
    .kernarg_segment_size: 156
    .language:       OpenCL C
    .language_version:
      - 2
      - 0
    .max_flat_workgroup_size: 1024
    .name:           _ZN9rocsparseL41csrgemm_numeric_fill_block_per_row_kernelILj1024ELj64ELj4096ELj137ELj64Eii21rocsparse_complex_numIfEEEvT5_PKS3_S5_NS_24const_host_device_scalarIT6_EEPKT4_S5_PKS7_SB_S5_SD_S8_SB_S5_SD_SB_S5_PS7_21rocsparse_index_base_SF_SF_SF_bbb
    .private_segment_fixed_size: 0
    .sgpr_count:     45
    .sgpr_spill_count: 0
    .symbol:         _ZN9rocsparseL41csrgemm_numeric_fill_block_per_row_kernelILj1024ELj64ELj4096ELj137ELj64Eii21rocsparse_complex_numIfEEEvT5_PKS3_S5_NS_24const_host_device_scalarIT6_EEPKT4_S5_PKS7_SB_S5_SD_S8_SB_S5_SD_SB_S5_PS7_21rocsparse_index_base_SF_SF_SF_bbb.kd
    .uniform_work_group_size: 1
    .uses_dynamic_stack: false
    .vgpr_count:     17
    .vgpr_spill_count: 0
    .wavefront_size: 32
    .workgroup_processor_mode: 1
  - .args:
      - .offset:         0
        .size:           4
        .value_kind:     by_value
      - .actual_access:  read_only
        .address_space:  global
        .offset:         8
        .size:           8
        .value_kind:     global_buffer
      - .actual_access:  read_only
        .address_space:  global
        .offset:         16
        .size:           8
        .value_kind:     global_buffer
      - .offset:         24
        .size:           8
        .value_kind:     by_value
      - .actual_access:  read_only
        .address_space:  global
        .offset:         32
        .size:           8
        .value_kind:     global_buffer
      - .actual_access:  read_only
        .address_space:  global
        .offset:         40
        .size:           8
        .value_kind:     global_buffer
      - .actual_access:  read_only
        .address_space:  global
        .offset:         48
        .size:           8
        .value_kind:     global_buffer
      - .actual_access:  read_only
        .address_space:  global
        .offset:         56
        .size:           8
        .value_kind:     global_buffer
      - .actual_access:  read_only
        .address_space:  global
        .offset:         64
        .size:           8
        .value_kind:     global_buffer
      - .actual_access:  read_only
        .address_space:  global
        .offset:         72
        .size:           8
        .value_kind:     global_buffer
      - .offset:         80
        .size:           8
        .value_kind:     by_value
      - .actual_access:  read_only
        .address_space:  global
        .offset:         88
        .size:           8
        .value_kind:     global_buffer
      - .actual_access:  read_only
        .address_space:  global
        .offset:         96
        .size:           8
        .value_kind:     global_buffer
      - .actual_access:  read_only
        .address_space:  global
        .offset:         104
        .size:           8
        .value_kind:     global_buffer
      - .actual_access:  read_only
        .address_space:  global
        .offset:         112
        .size:           8
        .value_kind:     global_buffer
      - .actual_access:  read_only
        .address_space:  global
        .offset:         120
        .size:           8
        .value_kind:     global_buffer
      - .actual_access:  write_only
        .address_space:  global
        .offset:         128
        .size:           8
        .value_kind:     global_buffer
      - .offset:         136
        .size:           4
        .value_kind:     by_value
      - .offset:         140
        .size:           4
        .value_kind:     by_value
      - .offset:         144
        .size:           4
        .value_kind:     by_value
      - .offset:         148
        .size:           4
        .value_kind:     by_value
      - .offset:         152
        .size:           1
        .value_kind:     by_value
      - .offset:         153
        .size:           1
        .value_kind:     by_value
      - .offset:         154
        .size:           1
        .value_kind:     by_value
    .group_segment_fixed_size: 0
    .kernarg_segment_align: 8
    .kernarg_segment_size: 156
    .language:       OpenCL C
    .language_version:
      - 2
      - 0
    .max_flat_workgroup_size: 1024
    .name:           _ZN9rocsparseL41csrgemm_numeric_fill_block_per_row_kernelILj1024ELj64ELj8192ELj137ELj32Eii21rocsparse_complex_numIfEEEvT5_PKS3_S5_NS_24const_host_device_scalarIT6_EEPKT4_S5_PKS7_SB_S5_SD_S8_SB_S5_SD_SB_S5_PS7_21rocsparse_index_base_SF_SF_SF_bbb
    .private_segment_fixed_size: 0
    .sgpr_count:     76
    .sgpr_spill_count: 0
    .symbol:         _ZN9rocsparseL41csrgemm_numeric_fill_block_per_row_kernelILj1024ELj64ELj8192ELj137ELj32Eii21rocsparse_complex_numIfEEEvT5_PKS3_S5_NS_24const_host_device_scalarIT6_EEPKT4_S5_PKS7_SB_S5_SD_S8_SB_S5_SD_SB_S5_PS7_21rocsparse_index_base_SF_SF_SF_bbb.kd
    .uniform_work_group_size: 1
    .uses_dynamic_stack: false
    .vgpr_count:     15
    .vgpr_spill_count: 0
    .wavefront_size: 32
    .workgroup_processor_mode: 1
  - .args:
      - .offset:         0
        .size:           4
        .value_kind:     by_value
      - .actual_access:  read_only
        .address_space:  global
        .offset:         8
        .size:           8
        .value_kind:     global_buffer
      - .actual_access:  read_only
        .address_space:  global
        .offset:         16
        .size:           8
        .value_kind:     global_buffer
      - .offset:         24
        .size:           8
        .value_kind:     by_value
      - .actual_access:  read_only
        .address_space:  global
        .offset:         32
        .size:           8
        .value_kind:     global_buffer
      - .actual_access:  read_only
        .address_space:  global
        .offset:         40
        .size:           8
        .value_kind:     global_buffer
      - .actual_access:  read_only
        .address_space:  global
        .offset:         48
        .size:           8
        .value_kind:     global_buffer
      - .actual_access:  read_only
        .address_space:  global
        .offset:         56
        .size:           8
        .value_kind:     global_buffer
      - .actual_access:  read_only
        .address_space:  global
        .offset:         64
        .size:           8
        .value_kind:     global_buffer
      - .actual_access:  read_only
        .address_space:  global
        .offset:         72
        .size:           8
        .value_kind:     global_buffer
      - .offset:         80
        .size:           8
        .value_kind:     by_value
      - .actual_access:  read_only
        .address_space:  global
        .offset:         88
        .size:           8
        .value_kind:     global_buffer
      - .actual_access:  read_only
        .address_space:  global
        .offset:         96
        .size:           8
        .value_kind:     global_buffer
      - .actual_access:  read_only
        .address_space:  global
        .offset:         104
        .size:           8
        .value_kind:     global_buffer
      - .actual_access:  read_only
        .address_space:  global
        .offset:         112
        .size:           8
        .value_kind:     global_buffer
      - .actual_access:  read_only
        .address_space:  global
        .offset:         120
        .size:           8
        .value_kind:     global_buffer
      - .actual_access:  write_only
        .address_space:  global
        .offset:         128
        .size:           8
        .value_kind:     global_buffer
      - .offset:         136
        .size:           4
        .value_kind:     by_value
      - .offset:         140
        .size:           4
        .value_kind:     by_value
      - .offset:         144
        .size:           4
        .value_kind:     by_value
      - .offset:         148
        .size:           4
        .value_kind:     by_value
      - .offset:         152
        .size:           1
        .value_kind:     by_value
      - .offset:         153
        .size:           1
        .value_kind:     by_value
      - .offset:         154
        .size:           1
        .value_kind:     by_value
    .group_segment_fixed_size: 0
    .kernarg_segment_align: 8
    .kernarg_segment_size: 156
    .language:       OpenCL C
    .language_version:
      - 2
      - 0
    .max_flat_workgroup_size: 1024
    .name:           _ZN9rocsparseL41csrgemm_numeric_fill_block_per_row_kernelILj1024ELj64ELj8192ELj137ELj64Eii21rocsparse_complex_numIfEEEvT5_PKS3_S5_NS_24const_host_device_scalarIT6_EEPKT4_S5_PKS7_SB_S5_SD_S8_SB_S5_SD_SB_S5_PS7_21rocsparse_index_base_SF_SF_SF_bbb
    .private_segment_fixed_size: 0
    .sgpr_count:     45
    .sgpr_spill_count: 0
    .symbol:         _ZN9rocsparseL41csrgemm_numeric_fill_block_per_row_kernelILj1024ELj64ELj8192ELj137ELj64Eii21rocsparse_complex_numIfEEEvT5_PKS3_S5_NS_24const_host_device_scalarIT6_EEPKT4_S5_PKS7_SB_S5_SD_S8_SB_S5_SD_SB_S5_PS7_21rocsparse_index_base_SF_SF_SF_bbb.kd
    .uniform_work_group_size: 1
    .uses_dynamic_stack: false
    .vgpr_count:     16
    .vgpr_spill_count: 0
    .wavefront_size: 32
    .workgroup_processor_mode: 1
  - .args:
      - .offset:         0
        .size:           4
        .value_kind:     by_value
      - .actual_access:  read_only
        .address_space:  global
        .offset:         8
        .size:           8
        .value_kind:     global_buffer
      - .actual_access:  read_only
        .address_space:  global
        .offset:         16
        .size:           8
        .value_kind:     global_buffer
      - .offset:         24
        .size:           8
        .value_kind:     by_value
      - .actual_access:  read_only
        .address_space:  global
        .offset:         32
        .size:           8
        .value_kind:     global_buffer
      - .actual_access:  read_only
        .address_space:  global
        .offset:         40
        .size:           8
        .value_kind:     global_buffer
      - .actual_access:  read_only
        .address_space:  global
        .offset:         48
        .size:           8
        .value_kind:     global_buffer
      - .actual_access:  read_only
        .address_space:  global
        .offset:         56
        .size:           8
        .value_kind:     global_buffer
      - .actual_access:  read_only
        .address_space:  global
        .offset:         64
        .size:           8
        .value_kind:     global_buffer
      - .actual_access:  read_only
        .address_space:  global
        .offset:         72
        .size:           8
        .value_kind:     global_buffer
      - .offset:         80
        .size:           8
        .value_kind:     by_value
      - .actual_access:  read_only
        .address_space:  global
        .offset:         88
        .size:           8
        .value_kind:     global_buffer
      - .actual_access:  read_only
        .address_space:  global
        .offset:         96
        .size:           8
        .value_kind:     global_buffer
      - .actual_access:  read_only
        .address_space:  global
        .offset:         104
        .size:           8
        .value_kind:     global_buffer
      - .actual_access:  read_only
        .address_space:  global
        .offset:         112
        .size:           8
        .value_kind:     global_buffer
      - .actual_access:  read_only
        .address_space:  global
        .offset:         120
        .size:           8
        .value_kind:     global_buffer
      - .actual_access:  write_only
        .address_space:  global
        .offset:         128
        .size:           8
        .value_kind:     global_buffer
      - .offset:         136
        .size:           4
        .value_kind:     by_value
      - .offset:         140
        .size:           4
        .value_kind:     by_value
      - .offset:         144
        .size:           4
        .value_kind:     by_value
      - .offset:         148
        .size:           4
        .value_kind:     by_value
      - .offset:         152
        .size:           1
        .value_kind:     by_value
      - .offset:         153
        .size:           1
        .value_kind:     by_value
      - .offset:         154
        .size:           1
        .value_kind:     by_value
    .group_segment_fixed_size: 0
    .kernarg_segment_align: 8
    .kernarg_segment_size: 156
    .language:       OpenCL C
    .language_version:
      - 2
      - 0
    .max_flat_workgroup_size: 1024
    .name:           _ZN9rocsparseL41csrgemm_numeric_fill_block_per_row_kernelILj1024ELj64ELj16384ELj137ELj32Eii21rocsparse_complex_numIfEEEvT5_PKS3_S5_NS_24const_host_device_scalarIT6_EEPKT4_S5_PKS7_SB_S5_SD_S8_SB_S5_SD_SB_S5_PS7_21rocsparse_index_base_SF_SF_SF_bbb
    .private_segment_fixed_size: 0
    .sgpr_count:     76
    .sgpr_spill_count: 0
    .symbol:         _ZN9rocsparseL41csrgemm_numeric_fill_block_per_row_kernelILj1024ELj64ELj16384ELj137ELj32Eii21rocsparse_complex_numIfEEEvT5_PKS3_S5_NS_24const_host_device_scalarIT6_EEPKT4_S5_PKS7_SB_S5_SD_S8_SB_S5_SD_SB_S5_PS7_21rocsparse_index_base_SF_SF_SF_bbb.kd
    .uniform_work_group_size: 1
    .uses_dynamic_stack: false
    .vgpr_count:     16
    .vgpr_spill_count: 0
    .wavefront_size: 32
    .workgroup_processor_mode: 1
  - .args:
      - .offset:         0
        .size:           4
        .value_kind:     by_value
      - .actual_access:  read_only
        .address_space:  global
        .offset:         8
        .size:           8
        .value_kind:     global_buffer
      - .actual_access:  read_only
        .address_space:  global
        .offset:         16
        .size:           8
        .value_kind:     global_buffer
      - .offset:         24
        .size:           8
        .value_kind:     by_value
      - .actual_access:  read_only
        .address_space:  global
        .offset:         32
        .size:           8
        .value_kind:     global_buffer
      - .actual_access:  read_only
        .address_space:  global
        .offset:         40
        .size:           8
        .value_kind:     global_buffer
      - .actual_access:  read_only
        .address_space:  global
        .offset:         48
        .size:           8
        .value_kind:     global_buffer
      - .actual_access:  read_only
        .address_space:  global
        .offset:         56
        .size:           8
        .value_kind:     global_buffer
      - .actual_access:  read_only
        .address_space:  global
        .offset:         64
        .size:           8
        .value_kind:     global_buffer
      - .actual_access:  read_only
        .address_space:  global
        .offset:         72
        .size:           8
        .value_kind:     global_buffer
      - .offset:         80
        .size:           8
        .value_kind:     by_value
      - .actual_access:  read_only
        .address_space:  global
        .offset:         88
        .size:           8
        .value_kind:     global_buffer
      - .actual_access:  read_only
        .address_space:  global
        .offset:         96
        .size:           8
        .value_kind:     global_buffer
      - .actual_access:  read_only
        .address_space:  global
        .offset:         104
        .size:           8
        .value_kind:     global_buffer
      - .actual_access:  read_only
        .address_space:  global
        .offset:         112
        .size:           8
        .value_kind:     global_buffer
      - .actual_access:  read_only
        .address_space:  global
        .offset:         120
        .size:           8
        .value_kind:     global_buffer
      - .actual_access:  write_only
        .address_space:  global
        .offset:         128
        .size:           8
        .value_kind:     global_buffer
      - .offset:         136
        .size:           4
        .value_kind:     by_value
      - .offset:         140
        .size:           4
        .value_kind:     by_value
      - .offset:         144
        .size:           4
        .value_kind:     by_value
      - .offset:         148
        .size:           4
        .value_kind:     by_value
      - .offset:         152
        .size:           1
        .value_kind:     by_value
      - .offset:         153
        .size:           1
        .value_kind:     by_value
      - .offset:         154
        .size:           1
        .value_kind:     by_value
    .group_segment_fixed_size: 0
    .kernarg_segment_align: 8
    .kernarg_segment_size: 156
    .language:       OpenCL C
    .language_version:
      - 2
      - 0
    .max_flat_workgroup_size: 1024
    .name:           _ZN9rocsparseL41csrgemm_numeric_fill_block_per_row_kernelILj1024ELj64ELj16384ELj137ELj64Eii21rocsparse_complex_numIfEEEvT5_PKS3_S5_NS_24const_host_device_scalarIT6_EEPKT4_S5_PKS7_SB_S5_SD_S8_SB_S5_SD_SB_S5_PS7_21rocsparse_index_base_SF_SF_SF_bbb
    .private_segment_fixed_size: 0
    .sgpr_count:     45
    .sgpr_spill_count: 0
    .symbol:         _ZN9rocsparseL41csrgemm_numeric_fill_block_per_row_kernelILj1024ELj64ELj16384ELj137ELj64Eii21rocsparse_complex_numIfEEEvT5_PKS3_S5_NS_24const_host_device_scalarIT6_EEPKT4_S5_PKS7_SB_S5_SD_S8_SB_S5_SD_SB_S5_PS7_21rocsparse_index_base_SF_SF_SF_bbb.kd
    .uniform_work_group_size: 1
    .uses_dynamic_stack: false
    .vgpr_count:     17
    .vgpr_spill_count: 0
    .wavefront_size: 32
    .workgroup_processor_mode: 1
  - .args:
      - .offset:         0
        .size:           4
        .value_kind:     by_value
      - .actual_access:  read_only
        .address_space:  global
        .offset:         8
        .size:           8
        .value_kind:     global_buffer
      - .actual_access:  read_only
        .address_space:  global
        .offset:         16
        .size:           8
        .value_kind:     global_buffer
      - .offset:         24
        .size:           8
        .value_kind:     by_value
      - .actual_access:  read_only
        .address_space:  global
        .offset:         32
        .size:           8
        .value_kind:     global_buffer
      - .actual_access:  read_only
        .address_space:  global
        .offset:         40
        .size:           8
        .value_kind:     global_buffer
      - .actual_access:  read_only
        .address_space:  global
        .offset:         48
        .size:           8
        .value_kind:     global_buffer
      - .actual_access:  read_only
        .address_space:  global
        .offset:         56
        .size:           8
        .value_kind:     global_buffer
      - .actual_access:  read_only
        .address_space:  global
        .offset:         64
        .size:           8
        .value_kind:     global_buffer
      - .actual_access:  read_only
        .address_space:  global
        .offset:         72
        .size:           8
        .value_kind:     global_buffer
      - .offset:         80
        .size:           8
        .value_kind:     by_value
      - .actual_access:  read_only
        .address_space:  global
        .offset:         88
        .size:           8
        .value_kind:     global_buffer
      - .actual_access:  read_only
        .address_space:  global
        .offset:         96
        .size:           8
        .value_kind:     global_buffer
      - .actual_access:  read_only
        .address_space:  global
        .offset:         104
        .size:           8
        .value_kind:     global_buffer
      - .actual_access:  read_only
        .address_space:  global
        .offset:         112
        .size:           8
        .value_kind:     global_buffer
      - .actual_access:  read_only
        .address_space:  global
        .offset:         120
        .size:           8
        .value_kind:     global_buffer
      - .actual_access:  write_only
        .address_space:  global
        .offset:         128
        .size:           8
        .value_kind:     global_buffer
      - .offset:         136
        .size:           4
        .value_kind:     by_value
      - .offset:         140
        .size:           4
        .value_kind:     by_value
      - .offset:         144
        .size:           4
        .value_kind:     by_value
      - .offset:         148
        .size:           4
        .value_kind:     by_value
      - .offset:         152
        .size:           1
        .value_kind:     by_value
      - .offset:         153
        .size:           1
        .value_kind:     by_value
      - .offset:         154
        .size:           1
        .value_kind:     by_value
    .group_segment_fixed_size: 0
    .kernarg_segment_align: 8
    .kernarg_segment_size: 156
    .language:       OpenCL C
    .language_version:
      - 2
      - 0
    .max_flat_workgroup_size: 1024
    .name:           _ZN9rocsparseL41csrgemm_numeric_fill_block_per_row_kernelILj1024ELj64ELj32768ELj137ELj32Eii21rocsparse_complex_numIfEEEvT5_PKS3_S5_NS_24const_host_device_scalarIT6_EEPKT4_S5_PKS7_SB_S5_SD_S8_SB_S5_SD_SB_S5_PS7_21rocsparse_index_base_SF_SF_SF_bbb
    .private_segment_fixed_size: 0
    .sgpr_count:     76
    .sgpr_spill_count: 0
    .symbol:         _ZN9rocsparseL41csrgemm_numeric_fill_block_per_row_kernelILj1024ELj64ELj32768ELj137ELj32Eii21rocsparse_complex_numIfEEEvT5_PKS3_S5_NS_24const_host_device_scalarIT6_EEPKT4_S5_PKS7_SB_S5_SD_S8_SB_S5_SD_SB_S5_PS7_21rocsparse_index_base_SF_SF_SF_bbb.kd
    .uniform_work_group_size: 1
    .uses_dynamic_stack: false
    .vgpr_count:     16
    .vgpr_spill_count: 0
    .wavefront_size: 32
    .workgroup_processor_mode: 1
  - .args:
      - .offset:         0
        .size:           4
        .value_kind:     by_value
      - .actual_access:  read_only
        .address_space:  global
        .offset:         8
        .size:           8
        .value_kind:     global_buffer
      - .actual_access:  read_only
        .address_space:  global
        .offset:         16
        .size:           8
        .value_kind:     global_buffer
      - .offset:         24
        .size:           8
        .value_kind:     by_value
      - .actual_access:  read_only
        .address_space:  global
        .offset:         32
        .size:           8
        .value_kind:     global_buffer
      - .actual_access:  read_only
        .address_space:  global
        .offset:         40
        .size:           8
        .value_kind:     global_buffer
      - .actual_access:  read_only
        .address_space:  global
        .offset:         48
        .size:           8
        .value_kind:     global_buffer
      - .actual_access:  read_only
        .address_space:  global
        .offset:         56
        .size:           8
        .value_kind:     global_buffer
      - .actual_access:  read_only
        .address_space:  global
        .offset:         64
        .size:           8
        .value_kind:     global_buffer
      - .actual_access:  read_only
        .address_space:  global
        .offset:         72
        .size:           8
        .value_kind:     global_buffer
      - .offset:         80
        .size:           8
        .value_kind:     by_value
      - .actual_access:  read_only
        .address_space:  global
        .offset:         88
        .size:           8
        .value_kind:     global_buffer
      - .actual_access:  read_only
        .address_space:  global
        .offset:         96
        .size:           8
        .value_kind:     global_buffer
      - .actual_access:  read_only
        .address_space:  global
        .offset:         104
        .size:           8
        .value_kind:     global_buffer
      - .actual_access:  read_only
        .address_space:  global
        .offset:         112
        .size:           8
        .value_kind:     global_buffer
      - .actual_access:  read_only
        .address_space:  global
        .offset:         120
        .size:           8
        .value_kind:     global_buffer
      - .actual_access:  write_only
        .address_space:  global
        .offset:         128
        .size:           8
        .value_kind:     global_buffer
      - .offset:         136
        .size:           4
        .value_kind:     by_value
      - .offset:         140
        .size:           4
        .value_kind:     by_value
      - .offset:         144
        .size:           4
        .value_kind:     by_value
      - .offset:         148
        .size:           4
        .value_kind:     by_value
      - .offset:         152
        .size:           1
        .value_kind:     by_value
      - .offset:         153
        .size:           1
        .value_kind:     by_value
      - .offset:         154
        .size:           1
        .value_kind:     by_value
    .group_segment_fixed_size: 0
    .kernarg_segment_align: 8
    .kernarg_segment_size: 156
    .language:       OpenCL C
    .language_version:
      - 2
      - 0
    .max_flat_workgroup_size: 1024
    .name:           _ZN9rocsparseL41csrgemm_numeric_fill_block_per_row_kernelILj1024ELj64ELj32768ELj137ELj64Eii21rocsparse_complex_numIfEEEvT5_PKS3_S5_NS_24const_host_device_scalarIT6_EEPKT4_S5_PKS7_SB_S5_SD_S8_SB_S5_SD_SB_S5_PS7_21rocsparse_index_base_SF_SF_SF_bbb
    .private_segment_fixed_size: 0
    .sgpr_count:     45
    .sgpr_spill_count: 0
    .symbol:         _ZN9rocsparseL41csrgemm_numeric_fill_block_per_row_kernelILj1024ELj64ELj32768ELj137ELj64Eii21rocsparse_complex_numIfEEEvT5_PKS3_S5_NS_24const_host_device_scalarIT6_EEPKT4_S5_PKS7_SB_S5_SD_S8_SB_S5_SD_SB_S5_PS7_21rocsparse_index_base_SF_SF_SF_bbb.kd
    .uniform_work_group_size: 1
    .uses_dynamic_stack: false
    .vgpr_count:     17
    .vgpr_spill_count: 0
    .wavefront_size: 32
    .workgroup_processor_mode: 1
  - .args:
      - .offset:         0
        .size:           4
        .value_kind:     by_value
      - .actual_access:  read_only
        .address_space:  global
        .offset:         8
        .size:           8
        .value_kind:     global_buffer
      - .actual_access:  read_only
        .address_space:  global
        .offset:         16
        .size:           8
        .value_kind:     global_buffer
      - .offset:         24
        .size:           8
        .value_kind:     by_value
      - .actual_access:  read_only
        .address_space:  global
        .offset:         32
        .size:           8
        .value_kind:     global_buffer
      - .actual_access:  read_only
        .address_space:  global
        .offset:         40
        .size:           8
        .value_kind:     global_buffer
      - .actual_access:  read_only
        .address_space:  global
        .offset:         48
        .size:           8
        .value_kind:     global_buffer
      - .actual_access:  read_only
        .address_space:  global
        .offset:         56
        .size:           8
        .value_kind:     global_buffer
      - .actual_access:  read_only
        .address_space:  global
        .offset:         64
        .size:           8
        .value_kind:     global_buffer
      - .actual_access:  read_only
        .address_space:  global
        .offset:         72
        .size:           8
        .value_kind:     global_buffer
      - .offset:         80
        .size:           8
        .value_kind:     by_value
      - .actual_access:  read_only
        .address_space:  global
        .offset:         88
        .size:           8
        .value_kind:     global_buffer
      - .actual_access:  read_only
        .address_space:  global
        .offset:         96
        .size:           8
        .value_kind:     global_buffer
      - .actual_access:  read_only
        .address_space:  global
        .offset:         104
        .size:           8
        .value_kind:     global_buffer
      - .actual_access:  read_only
        .address_space:  global
        .offset:         112
        .size:           8
        .value_kind:     global_buffer
      - .actual_access:  read_only
        .address_space:  global
        .offset:         120
        .size:           8
        .value_kind:     global_buffer
      - .actual_access:  write_only
        .address_space:  global
        .offset:         128
        .size:           8
        .value_kind:     global_buffer
      - .address_space:  global
        .offset:         136
        .size:           8
        .value_kind:     global_buffer
      - .offset:         144
        .size:           4
        .value_kind:     by_value
      - .offset:         148
        .size:           4
        .value_kind:     by_value
      - .offset:         152
        .size:           4
        .value_kind:     by_value
      - .offset:         156
        .size:           4
        .value_kind:     by_value
      - .offset:         160
        .size:           1
        .value_kind:     by_value
      - .offset:         161
        .size:           1
        .value_kind:     by_value
      - .offset:         162
        .size:           1
        .value_kind:     by_value
    .group_segment_fixed_size: 18436
    .kernarg_segment_align: 8
    .kernarg_segment_size: 164
    .language:       OpenCL C
    .language_version:
      - 2
      - 0
    .max_flat_workgroup_size: 512
    .name:           _ZN9rocsparseL51csrgemm_numeric_fill_block_per_row_multipass_kernelILj512ELj16ELj2048ELj32Eii21rocsparse_complex_numIfEEEvT4_PKS3_S5_NS_24const_host_device_scalarIT5_EEPKT3_S5_PKS7_SB_S5_SD_S8_SB_S5_SD_SB_S5_PS7_PS9_21rocsparse_index_base_SG_SG_SG_bbb
    .private_segment_fixed_size: 0
    .sgpr_count:     65
    .sgpr_spill_count: 0
    .symbol:         _ZN9rocsparseL51csrgemm_numeric_fill_block_per_row_multipass_kernelILj512ELj16ELj2048ELj32Eii21rocsparse_complex_numIfEEEvT4_PKS3_S5_NS_24const_host_device_scalarIT5_EEPKT3_S5_PKS7_SB_S5_SD_S8_SB_S5_SD_SB_S5_PS7_PS9_21rocsparse_index_base_SG_SG_SG_bbb.kd
    .uniform_work_group_size: 1
    .uses_dynamic_stack: false
    .vgpr_count:     35
    .vgpr_spill_count: 0
    .wavefront_size: 32
    .workgroup_processor_mode: 1
  - .args:
      - .offset:         0
        .size:           4
        .value_kind:     by_value
      - .actual_access:  read_only
        .address_space:  global
        .offset:         8
        .size:           8
        .value_kind:     global_buffer
      - .actual_access:  read_only
        .address_space:  global
        .offset:         16
        .size:           8
        .value_kind:     global_buffer
      - .offset:         24
        .size:           8
        .value_kind:     by_value
      - .actual_access:  read_only
        .address_space:  global
        .offset:         32
        .size:           8
        .value_kind:     global_buffer
      - .actual_access:  read_only
        .address_space:  global
        .offset:         40
        .size:           8
        .value_kind:     global_buffer
      - .actual_access:  read_only
        .address_space:  global
        .offset:         48
        .size:           8
        .value_kind:     global_buffer
      - .actual_access:  read_only
        .address_space:  global
        .offset:         56
        .size:           8
        .value_kind:     global_buffer
      - .actual_access:  read_only
        .address_space:  global
        .offset:         64
        .size:           8
        .value_kind:     global_buffer
      - .actual_access:  read_only
        .address_space:  global
        .offset:         72
        .size:           8
        .value_kind:     global_buffer
      - .offset:         80
        .size:           8
        .value_kind:     by_value
      - .actual_access:  read_only
        .address_space:  global
        .offset:         88
        .size:           8
        .value_kind:     global_buffer
      - .actual_access:  read_only
        .address_space:  global
        .offset:         96
        .size:           8
        .value_kind:     global_buffer
      - .actual_access:  read_only
        .address_space:  global
        .offset:         104
        .size:           8
        .value_kind:     global_buffer
      - .actual_access:  read_only
        .address_space:  global
        .offset:         112
        .size:           8
        .value_kind:     global_buffer
      - .actual_access:  read_only
        .address_space:  global
        .offset:         120
        .size:           8
        .value_kind:     global_buffer
      - .actual_access:  write_only
        .address_space:  global
        .offset:         128
        .size:           8
        .value_kind:     global_buffer
      - .address_space:  global
        .offset:         136
        .size:           8
        .value_kind:     global_buffer
      - .offset:         144
        .size:           4
        .value_kind:     by_value
      - .offset:         148
        .size:           4
        .value_kind:     by_value
      - .offset:         152
        .size:           4
        .value_kind:     by_value
      - .offset:         156
        .size:           4
        .value_kind:     by_value
      - .offset:         160
        .size:           1
        .value_kind:     by_value
      - .offset:         161
        .size:           1
        .value_kind:     by_value
      - .offset:         162
        .size:           1
        .value_kind:     by_value
    .group_segment_fixed_size: 18436
    .kernarg_segment_align: 8
    .kernarg_segment_size: 164
    .language:       OpenCL C
    .language_version:
      - 2
      - 0
    .max_flat_workgroup_size: 512
    .name:           _ZN9rocsparseL51csrgemm_numeric_fill_block_per_row_multipass_kernelILj512ELj16ELj2048ELj64Eii21rocsparse_complex_numIfEEEvT4_PKS3_S5_NS_24const_host_device_scalarIT5_EEPKT3_S5_PKS7_SB_S5_SD_S8_SB_S5_SD_SB_S5_PS7_PS9_21rocsparse_index_base_SG_SG_SG_bbb
    .private_segment_fixed_size: 0
    .sgpr_count:     57
    .sgpr_spill_count: 0
    .symbol:         _ZN9rocsparseL51csrgemm_numeric_fill_block_per_row_multipass_kernelILj512ELj16ELj2048ELj64Eii21rocsparse_complex_numIfEEEvT4_PKS3_S5_NS_24const_host_device_scalarIT5_EEPKT3_S5_PKS7_SB_S5_SD_S8_SB_S5_SD_SB_S5_PS7_PS9_21rocsparse_index_base_SG_SG_SG_bbb.kd
    .uniform_work_group_size: 1
    .uses_dynamic_stack: false
    .vgpr_count:     32
    .vgpr_spill_count: 0
    .wavefront_size: 32
    .workgroup_processor_mode: 1
  - .args:
      - .offset:         0
        .size:           4
        .value_kind:     by_value
      - .offset:         4
        .size:           4
        .value_kind:     by_value
      - .actual_access:  read_only
        .address_space:  global
        .offset:         8
        .size:           8
        .value_kind:     global_buffer
      - .actual_access:  read_only
        .address_space:  global
        .offset:         16
        .size:           8
        .value_kind:     global_buffer
      - .offset:         24
        .size:           16
        .value_kind:     by_value
      - .actual_access:  read_only
        .address_space:  global
        .offset:         40
        .size:           8
        .value_kind:     global_buffer
      - .actual_access:  read_only
        .address_space:  global
        .offset:         48
        .size:           8
        .value_kind:     global_buffer
      - .actual_access:  read_only
        .address_space:  global
        .offset:         56
        .size:           8
        .value_kind:     global_buffer
      - .actual_access:  read_only
        .address_space:  global
        .offset:         64
        .size:           8
        .value_kind:     global_buffer
      - .actual_access:  read_only
        .address_space:  global
        .offset:         72
        .size:           8
        .value_kind:     global_buffer
      - .actual_access:  read_only
        .address_space:  global
        .offset:         80
        .size:           8
        .value_kind:     global_buffer
      - .offset:         88
        .size:           16
        .value_kind:     by_value
      - .actual_access:  read_only
        .address_space:  global
        .offset:         104
        .size:           8
        .value_kind:     global_buffer
      - .actual_access:  read_only
        .address_space:  global
        .offset:         112
        .size:           8
        .value_kind:     global_buffer
      - .actual_access:  read_only
        .address_space:  global
        .offset:         120
        .size:           8
        .value_kind:     global_buffer
      - .actual_access:  read_only
        .address_space:  global
        .offset:         128
        .size:           8
        .value_kind:     global_buffer
      - .actual_access:  read_only
        .address_space:  global
        .offset:         136
        .size:           8
        .value_kind:     global_buffer
      - .actual_access:  write_only
        .address_space:  global
        .offset:         144
        .size:           8
        .value_kind:     global_buffer
      - .offset:         152
        .size:           4
        .value_kind:     by_value
      - .offset:         156
        .size:           4
        .value_kind:     by_value
      - .offset:         160
        .size:           4
        .value_kind:     by_value
      - .offset:         164
        .size:           4
        .value_kind:     by_value
      - .offset:         168
        .size:           1
        .value_kind:     by_value
      - .offset:         169
        .size:           1
        .value_kind:     by_value
      - .offset:         170
        .size:           1
        .value_kind:     by_value
    .group_segment_fixed_size: 14336
    .kernarg_segment_align: 8
    .kernarg_segment_size: 172
    .language:       OpenCL C
    .language_version:
      - 2
      - 0
    .max_flat_workgroup_size: 256
    .name:           _ZN9rocsparseL38csrgemm_numeric_fill_wf_per_row_kernelILj256ELj8ELj16ELj137Eii21rocsparse_complex_numIdEEEvT4_S3_PKS3_S5_NS_24const_host_device_scalarIT5_EEPKT3_S5_PKS7_SB_S5_SD_S8_SB_S5_SD_SB_S5_PS7_21rocsparse_index_base_SF_SF_SF_bbb
    .private_segment_fixed_size: 0
    .sgpr_count:     46
    .sgpr_spill_count: 0
    .symbol:         _ZN9rocsparseL38csrgemm_numeric_fill_wf_per_row_kernelILj256ELj8ELj16ELj137Eii21rocsparse_complex_numIdEEEvT4_S3_PKS3_S5_NS_24const_host_device_scalarIT5_EEPKT3_S5_PKS7_SB_S5_SD_S8_SB_S5_SD_SB_S5_PS7_21rocsparse_index_base_SF_SF_SF_bbb.kd
    .uniform_work_group_size: 1
    .uses_dynamic_stack: false
    .vgpr_count:     35
    .vgpr_spill_count: 0
    .wavefront_size: 32
    .workgroup_processor_mode: 1
  - .args:
      - .offset:         0
        .size:           4
        .value_kind:     by_value
      - .offset:         4
        .size:           4
        .value_kind:     by_value
      - .actual_access:  read_only
        .address_space:  global
        .offset:         8
        .size:           8
        .value_kind:     global_buffer
      - .actual_access:  read_only
        .address_space:  global
        .offset:         16
        .size:           8
        .value_kind:     global_buffer
      - .offset:         24
        .size:           16
        .value_kind:     by_value
      - .actual_access:  read_only
        .address_space:  global
        .offset:         40
        .size:           8
        .value_kind:     global_buffer
      - .actual_access:  read_only
        .address_space:  global
        .offset:         48
        .size:           8
        .value_kind:     global_buffer
      - .actual_access:  read_only
        .address_space:  global
        .offset:         56
        .size:           8
        .value_kind:     global_buffer
      - .actual_access:  read_only
        .address_space:  global
        .offset:         64
        .size:           8
        .value_kind:     global_buffer
      - .actual_access:  read_only
        .address_space:  global
        .offset:         72
        .size:           8
        .value_kind:     global_buffer
      - .actual_access:  read_only
        .address_space:  global
        .offset:         80
        .size:           8
        .value_kind:     global_buffer
      - .offset:         88
        .size:           16
        .value_kind:     by_value
      - .actual_access:  read_only
        .address_space:  global
        .offset:         104
        .size:           8
        .value_kind:     global_buffer
      - .actual_access:  read_only
        .address_space:  global
        .offset:         112
        .size:           8
        .value_kind:     global_buffer
      - .actual_access:  read_only
        .address_space:  global
        .offset:         120
        .size:           8
        .value_kind:     global_buffer
      - .actual_access:  read_only
        .address_space:  global
        .offset:         128
        .size:           8
        .value_kind:     global_buffer
      - .actual_access:  read_only
        .address_space:  global
        .offset:         136
        .size:           8
        .value_kind:     global_buffer
      - .actual_access:  write_only
        .address_space:  global
        .offset:         144
        .size:           8
        .value_kind:     global_buffer
      - .offset:         152
        .size:           4
        .value_kind:     by_value
      - .offset:         156
        .size:           4
        .value_kind:     by_value
      - .offset:         160
        .size:           4
        .value_kind:     by_value
      - .offset:         164
        .size:           4
        .value_kind:     by_value
      - .offset:         168
        .size:           1
        .value_kind:     by_value
      - .offset:         169
        .size:           1
        .value_kind:     by_value
      - .offset:         170
        .size:           1
        .value_kind:     by_value
    .group_segment_fixed_size: 14336
    .kernarg_segment_align: 8
    .kernarg_segment_size: 172
    .language:       OpenCL C
    .language_version:
      - 2
      - 0
    .max_flat_workgroup_size: 256
    .name:           _ZN9rocsparseL38csrgemm_numeric_fill_wf_per_row_kernelILj256ELj16ELj32ELj137Eii21rocsparse_complex_numIdEEEvT4_S3_PKS3_S5_NS_24const_host_device_scalarIT5_EEPKT3_S5_PKS7_SB_S5_SD_S8_SB_S5_SD_SB_S5_PS7_21rocsparse_index_base_SF_SF_SF_bbb
    .private_segment_fixed_size: 0
    .sgpr_count:     46
    .sgpr_spill_count: 0
    .symbol:         _ZN9rocsparseL38csrgemm_numeric_fill_wf_per_row_kernelILj256ELj16ELj32ELj137Eii21rocsparse_complex_numIdEEEvT4_S3_PKS3_S5_NS_24const_host_device_scalarIT5_EEPKT3_S5_PKS7_SB_S5_SD_S8_SB_S5_SD_SB_S5_PS7_21rocsparse_index_base_SF_SF_SF_bbb.kd
    .uniform_work_group_size: 1
    .uses_dynamic_stack: false
    .vgpr_count:     39
    .vgpr_spill_count: 0
    .wavefront_size: 32
    .workgroup_processor_mode: 1
  - .args:
      - .offset:         0
        .size:           4
        .value_kind:     by_value
      - .actual_access:  read_only
        .address_space:  global
        .offset:         8
        .size:           8
        .value_kind:     global_buffer
      - .actual_access:  read_only
        .address_space:  global
        .offset:         16
        .size:           8
        .value_kind:     global_buffer
      - .offset:         24
        .size:           16
        .value_kind:     by_value
      - .actual_access:  read_only
        .address_space:  global
        .offset:         40
        .size:           8
        .value_kind:     global_buffer
      - .actual_access:  read_only
        .address_space:  global
        .offset:         48
        .size:           8
        .value_kind:     global_buffer
      - .actual_access:  read_only
        .address_space:  global
        .offset:         56
        .size:           8
        .value_kind:     global_buffer
      - .actual_access:  read_only
        .address_space:  global
        .offset:         64
        .size:           8
        .value_kind:     global_buffer
      - .actual_access:  read_only
        .address_space:  global
        .offset:         72
        .size:           8
        .value_kind:     global_buffer
      - .actual_access:  read_only
        .address_space:  global
        .offset:         80
        .size:           8
        .value_kind:     global_buffer
      - .offset:         88
        .size:           16
        .value_kind:     by_value
      - .actual_access:  read_only
        .address_space:  global
        .offset:         104
        .size:           8
        .value_kind:     global_buffer
      - .actual_access:  read_only
        .address_space:  global
        .offset:         112
        .size:           8
        .value_kind:     global_buffer
      - .actual_access:  read_only
        .address_space:  global
        .offset:         120
        .size:           8
        .value_kind:     global_buffer
      - .actual_access:  read_only
        .address_space:  global
        .offset:         128
        .size:           8
        .value_kind:     global_buffer
      - .actual_access:  read_only
        .address_space:  global
        .offset:         136
        .size:           8
        .value_kind:     global_buffer
      - .actual_access:  write_only
        .address_space:  global
        .offset:         144
        .size:           8
        .value_kind:     global_buffer
      - .offset:         152
        .size:           4
        .value_kind:     by_value
      - .offset:         156
        .size:           4
        .value_kind:     by_value
      - .offset:         160
        .size:           4
        .value_kind:     by_value
      - .offset:         164
        .size:           4
        .value_kind:     by_value
      - .offset:         168
        .size:           1
        .value_kind:     by_value
      - .offset:         169
        .size:           1
        .value_kind:     by_value
      - .offset:         170
        .size:           1
        .value_kind:     by_value
    .group_segment_fixed_size: 0
    .kernarg_segment_align: 8
    .kernarg_segment_size: 172
    .language:       OpenCL C
    .language_version:
      - 2
      - 0
    .max_flat_workgroup_size: 128
    .name:           _ZN9rocsparseL41csrgemm_numeric_fill_block_per_row_kernelILj128ELj16ELj256ELj137ELj32Eii21rocsparse_complex_numIdEEEvT5_PKS3_S5_NS_24const_host_device_scalarIT6_EEPKT4_S5_PKS7_SB_S5_SD_S8_SB_S5_SD_SB_S5_PS7_21rocsparse_index_base_SF_SF_SF_bbb
    .private_segment_fixed_size: 40
    .sgpr_count:     44
    .sgpr_spill_count: 0
    .symbol:         _ZN9rocsparseL41csrgemm_numeric_fill_block_per_row_kernelILj128ELj16ELj256ELj137ELj32Eii21rocsparse_complex_numIdEEEvT5_PKS3_S5_NS_24const_host_device_scalarIT6_EEPKT4_S5_PKS7_SB_S5_SD_S8_SB_S5_SD_SB_S5_PS7_21rocsparse_index_base_SF_SF_SF_bbb.kd
    .uniform_work_group_size: 1
    .uses_dynamic_stack: false
    .vgpr_count:     31
    .vgpr_spill_count: 0
    .wavefront_size: 32
    .workgroup_processor_mode: 1
  - .args:
      - .offset:         0
        .size:           4
        .value_kind:     by_value
      - .actual_access:  read_only
        .address_space:  global
        .offset:         8
        .size:           8
        .value_kind:     global_buffer
      - .actual_access:  read_only
        .address_space:  global
        .offset:         16
        .size:           8
        .value_kind:     global_buffer
      - .offset:         24
        .size:           16
        .value_kind:     by_value
      - .actual_access:  read_only
        .address_space:  global
        .offset:         40
        .size:           8
        .value_kind:     global_buffer
      - .actual_access:  read_only
        .address_space:  global
        .offset:         48
        .size:           8
        .value_kind:     global_buffer
      - .actual_access:  read_only
        .address_space:  global
        .offset:         56
        .size:           8
        .value_kind:     global_buffer
      - .actual_access:  read_only
        .address_space:  global
        .offset:         64
        .size:           8
        .value_kind:     global_buffer
      - .actual_access:  read_only
        .address_space:  global
        .offset:         72
        .size:           8
        .value_kind:     global_buffer
      - .actual_access:  read_only
        .address_space:  global
        .offset:         80
        .size:           8
        .value_kind:     global_buffer
      - .offset:         88
        .size:           16
        .value_kind:     by_value
      - .actual_access:  read_only
        .address_space:  global
        .offset:         104
        .size:           8
        .value_kind:     global_buffer
      - .actual_access:  read_only
        .address_space:  global
        .offset:         112
        .size:           8
        .value_kind:     global_buffer
      - .actual_access:  read_only
        .address_space:  global
        .offset:         120
        .size:           8
        .value_kind:     global_buffer
      - .actual_access:  read_only
        .address_space:  global
        .offset:         128
        .size:           8
        .value_kind:     global_buffer
      - .actual_access:  read_only
        .address_space:  global
        .offset:         136
        .size:           8
        .value_kind:     global_buffer
      - .actual_access:  write_only
        .address_space:  global
        .offset:         144
        .size:           8
        .value_kind:     global_buffer
      - .offset:         152
        .size:           4
        .value_kind:     by_value
      - .offset:         156
        .size:           4
        .value_kind:     by_value
      - .offset:         160
        .size:           4
        .value_kind:     by_value
      - .offset:         164
        .size:           4
        .value_kind:     by_value
      - .offset:         168
        .size:           1
        .value_kind:     by_value
      - .offset:         169
        .size:           1
        .value_kind:     by_value
      - .offset:         170
        .size:           1
        .value_kind:     by_value
    .group_segment_fixed_size: 0
    .kernarg_segment_align: 8
    .kernarg_segment_size: 172
    .language:       OpenCL C
    .language_version:
      - 2
      - 0
    .max_flat_workgroup_size: 128
    .name:           _ZN9rocsparseL41csrgemm_numeric_fill_block_per_row_kernelILj128ELj16ELj256ELj137ELj64Eii21rocsparse_complex_numIdEEEvT5_PKS3_S5_NS_24const_host_device_scalarIT6_EEPKT4_S5_PKS7_SB_S5_SD_S8_SB_S5_SD_SB_S5_PS7_21rocsparse_index_base_SF_SF_SF_bbb
    .private_segment_fixed_size: 40
    .sgpr_count:     44
    .sgpr_spill_count: 0
    .symbol:         _ZN9rocsparseL41csrgemm_numeric_fill_block_per_row_kernelILj128ELj16ELj256ELj137ELj64Eii21rocsparse_complex_numIdEEEvT5_PKS3_S5_NS_24const_host_device_scalarIT6_EEPKT4_S5_PKS7_SB_S5_SD_S8_SB_S5_SD_SB_S5_PS7_21rocsparse_index_base_SF_SF_SF_bbb.kd
    .uniform_work_group_size: 1
    .uses_dynamic_stack: false
    .vgpr_count:     32
    .vgpr_spill_count: 0
    .wavefront_size: 32
    .workgroup_processor_mode: 1
  - .args:
      - .offset:         0
        .size:           4
        .value_kind:     by_value
      - .actual_access:  read_only
        .address_space:  global
        .offset:         8
        .size:           8
        .value_kind:     global_buffer
      - .actual_access:  read_only
        .address_space:  global
        .offset:         16
        .size:           8
        .value_kind:     global_buffer
      - .offset:         24
        .size:           16
        .value_kind:     by_value
      - .actual_access:  read_only
        .address_space:  global
        .offset:         40
        .size:           8
        .value_kind:     global_buffer
      - .actual_access:  read_only
        .address_space:  global
        .offset:         48
        .size:           8
        .value_kind:     global_buffer
      - .actual_access:  read_only
        .address_space:  global
        .offset:         56
        .size:           8
        .value_kind:     global_buffer
      - .actual_access:  read_only
        .address_space:  global
        .offset:         64
        .size:           8
        .value_kind:     global_buffer
      - .actual_access:  read_only
        .address_space:  global
        .offset:         72
        .size:           8
        .value_kind:     global_buffer
      - .actual_access:  read_only
        .address_space:  global
        .offset:         80
        .size:           8
        .value_kind:     global_buffer
      - .offset:         88
        .size:           16
        .value_kind:     by_value
      - .actual_access:  read_only
        .address_space:  global
        .offset:         104
        .size:           8
        .value_kind:     global_buffer
      - .actual_access:  read_only
        .address_space:  global
        .offset:         112
        .size:           8
        .value_kind:     global_buffer
      - .actual_access:  read_only
        .address_space:  global
        .offset:         120
        .size:           8
        .value_kind:     global_buffer
      - .actual_access:  read_only
        .address_space:  global
        .offset:         128
        .size:           8
        .value_kind:     global_buffer
      - .actual_access:  read_only
        .address_space:  global
        .offset:         136
        .size:           8
        .value_kind:     global_buffer
      - .actual_access:  write_only
        .address_space:  global
        .offset:         144
        .size:           8
        .value_kind:     global_buffer
      - .offset:         152
        .size:           4
        .value_kind:     by_value
      - .offset:         156
        .size:           4
        .value_kind:     by_value
      - .offset:         160
        .size:           4
        .value_kind:     by_value
      - .offset:         164
        .size:           4
        .value_kind:     by_value
      - .offset:         168
        .size:           1
        .value_kind:     by_value
      - .offset:         169
        .size:           1
        .value_kind:     by_value
      - .offset:         170
        .size:           1
        .value_kind:     by_value
    .group_segment_fixed_size: 0
    .kernarg_segment_align: 8
    .kernarg_segment_size: 172
    .language:       OpenCL C
    .language_version:
      - 2
      - 0
    .max_flat_workgroup_size: 256
    .name:           _ZN9rocsparseL41csrgemm_numeric_fill_block_per_row_kernelILj256ELj32ELj512ELj137ELj32Eii21rocsparse_complex_numIdEEEvT5_PKS3_S5_NS_24const_host_device_scalarIT6_EEPKT4_S5_PKS7_SB_S5_SD_S8_SB_S5_SD_SB_S5_PS7_21rocsparse_index_base_SF_SF_SF_bbb
    .private_segment_fixed_size: 40
    .sgpr_count:     44
    .sgpr_spill_count: 0
    .symbol:         _ZN9rocsparseL41csrgemm_numeric_fill_block_per_row_kernelILj256ELj32ELj512ELj137ELj32Eii21rocsparse_complex_numIdEEEvT5_PKS3_S5_NS_24const_host_device_scalarIT6_EEPKT4_S5_PKS7_SB_S5_SD_S8_SB_S5_SD_SB_S5_PS7_21rocsparse_index_base_SF_SF_SF_bbb.kd
    .uniform_work_group_size: 1
    .uses_dynamic_stack: false
    .vgpr_count:     32
    .vgpr_spill_count: 0
    .wavefront_size: 32
    .workgroup_processor_mode: 1
  - .args:
      - .offset:         0
        .size:           4
        .value_kind:     by_value
      - .actual_access:  read_only
        .address_space:  global
        .offset:         8
        .size:           8
        .value_kind:     global_buffer
      - .actual_access:  read_only
        .address_space:  global
        .offset:         16
        .size:           8
        .value_kind:     global_buffer
      - .offset:         24
        .size:           16
        .value_kind:     by_value
      - .actual_access:  read_only
        .address_space:  global
        .offset:         40
        .size:           8
        .value_kind:     global_buffer
      - .actual_access:  read_only
        .address_space:  global
        .offset:         48
        .size:           8
        .value_kind:     global_buffer
      - .actual_access:  read_only
        .address_space:  global
        .offset:         56
        .size:           8
        .value_kind:     global_buffer
      - .actual_access:  read_only
        .address_space:  global
        .offset:         64
        .size:           8
        .value_kind:     global_buffer
      - .actual_access:  read_only
        .address_space:  global
        .offset:         72
        .size:           8
        .value_kind:     global_buffer
      - .actual_access:  read_only
        .address_space:  global
        .offset:         80
        .size:           8
        .value_kind:     global_buffer
      - .offset:         88
        .size:           16
        .value_kind:     by_value
      - .actual_access:  read_only
        .address_space:  global
        .offset:         104
        .size:           8
        .value_kind:     global_buffer
      - .actual_access:  read_only
        .address_space:  global
        .offset:         112
        .size:           8
        .value_kind:     global_buffer
      - .actual_access:  read_only
        .address_space:  global
        .offset:         120
        .size:           8
        .value_kind:     global_buffer
      - .actual_access:  read_only
        .address_space:  global
        .offset:         128
        .size:           8
        .value_kind:     global_buffer
      - .actual_access:  read_only
        .address_space:  global
        .offset:         136
        .size:           8
        .value_kind:     global_buffer
      - .actual_access:  write_only
        .address_space:  global
        .offset:         144
        .size:           8
        .value_kind:     global_buffer
      - .offset:         152
        .size:           4
        .value_kind:     by_value
      - .offset:         156
        .size:           4
        .value_kind:     by_value
      - .offset:         160
        .size:           4
        .value_kind:     by_value
      - .offset:         164
        .size:           4
        .value_kind:     by_value
      - .offset:         168
        .size:           1
        .value_kind:     by_value
      - .offset:         169
        .size:           1
        .value_kind:     by_value
      - .offset:         170
        .size:           1
        .value_kind:     by_value
    .group_segment_fixed_size: 0
    .kernarg_segment_align: 8
    .kernarg_segment_size: 172
    .language:       OpenCL C
    .language_version:
      - 2
      - 0
    .max_flat_workgroup_size: 256
    .name:           _ZN9rocsparseL41csrgemm_numeric_fill_block_per_row_kernelILj256ELj32ELj512ELj137ELj64Eii21rocsparse_complex_numIdEEEvT5_PKS3_S5_NS_24const_host_device_scalarIT6_EEPKT4_S5_PKS7_SB_S5_SD_S8_SB_S5_SD_SB_S5_PS7_21rocsparse_index_base_SF_SF_SF_bbb
    .private_segment_fixed_size: 40
    .sgpr_count:     44
    .sgpr_spill_count: 0
    .symbol:         _ZN9rocsparseL41csrgemm_numeric_fill_block_per_row_kernelILj256ELj32ELj512ELj137ELj64Eii21rocsparse_complex_numIdEEEvT5_PKS3_S5_NS_24const_host_device_scalarIT6_EEPKT4_S5_PKS7_SB_S5_SD_S8_SB_S5_SD_SB_S5_PS7_21rocsparse_index_base_SF_SF_SF_bbb.kd
    .uniform_work_group_size: 1
    .uses_dynamic_stack: false
    .vgpr_count:     31
    .vgpr_spill_count: 0
    .wavefront_size: 32
    .workgroup_processor_mode: 1
  - .args:
      - .offset:         0
        .size:           4
        .value_kind:     by_value
      - .actual_access:  read_only
        .address_space:  global
        .offset:         8
        .size:           8
        .value_kind:     global_buffer
      - .actual_access:  read_only
        .address_space:  global
        .offset:         16
        .size:           8
        .value_kind:     global_buffer
      - .offset:         24
        .size:           16
        .value_kind:     by_value
      - .actual_access:  read_only
        .address_space:  global
        .offset:         40
        .size:           8
        .value_kind:     global_buffer
      - .actual_access:  read_only
        .address_space:  global
        .offset:         48
        .size:           8
        .value_kind:     global_buffer
      - .actual_access:  read_only
        .address_space:  global
        .offset:         56
        .size:           8
        .value_kind:     global_buffer
      - .actual_access:  read_only
        .address_space:  global
        .offset:         64
        .size:           8
        .value_kind:     global_buffer
      - .actual_access:  read_only
        .address_space:  global
        .offset:         72
        .size:           8
        .value_kind:     global_buffer
      - .actual_access:  read_only
        .address_space:  global
        .offset:         80
        .size:           8
        .value_kind:     global_buffer
      - .offset:         88
        .size:           16
        .value_kind:     by_value
      - .actual_access:  read_only
        .address_space:  global
        .offset:         104
        .size:           8
        .value_kind:     global_buffer
      - .actual_access:  read_only
        .address_space:  global
        .offset:         112
        .size:           8
        .value_kind:     global_buffer
      - .actual_access:  read_only
        .address_space:  global
        .offset:         120
        .size:           8
        .value_kind:     global_buffer
      - .actual_access:  read_only
        .address_space:  global
        .offset:         128
        .size:           8
        .value_kind:     global_buffer
      - .actual_access:  read_only
        .address_space:  global
        .offset:         136
        .size:           8
        .value_kind:     global_buffer
      - .actual_access:  write_only
        .address_space:  global
        .offset:         144
        .size:           8
        .value_kind:     global_buffer
      - .offset:         152
        .size:           4
        .value_kind:     by_value
      - .offset:         156
        .size:           4
        .value_kind:     by_value
      - .offset:         160
        .size:           4
        .value_kind:     by_value
      - .offset:         164
        .size:           4
        .value_kind:     by_value
      - .offset:         168
        .size:           1
        .value_kind:     by_value
      - .offset:         169
        .size:           1
        .value_kind:     by_value
      - .offset:         170
        .size:           1
        .value_kind:     by_value
    .group_segment_fixed_size: 0
    .kernarg_segment_align: 8
    .kernarg_segment_size: 172
    .language:       OpenCL C
    .language_version:
      - 2
      - 0
    .max_flat_workgroup_size: 512
    .name:           _ZN9rocsparseL41csrgemm_numeric_fill_block_per_row_kernelILj512ELj32ELj1024ELj137ELj32Eii21rocsparse_complex_numIdEEEvT5_PKS3_S5_NS_24const_host_device_scalarIT6_EEPKT4_S5_PKS7_SB_S5_SD_S8_SB_S5_SD_SB_S5_PS7_21rocsparse_index_base_SF_SF_SF_bbb
    .private_segment_fixed_size: 40
    .sgpr_count:     48
    .sgpr_spill_count: 0
    .symbol:         _ZN9rocsparseL41csrgemm_numeric_fill_block_per_row_kernelILj512ELj32ELj1024ELj137ELj32Eii21rocsparse_complex_numIdEEEvT5_PKS3_S5_NS_24const_host_device_scalarIT6_EEPKT4_S5_PKS7_SB_S5_SD_S8_SB_S5_SD_SB_S5_PS7_21rocsparse_index_base_SF_SF_SF_bbb.kd
    .uniform_work_group_size: 1
    .uses_dynamic_stack: false
    .vgpr_count:     32
    .vgpr_spill_count: 0
    .wavefront_size: 32
    .workgroup_processor_mode: 1
  - .args:
      - .offset:         0
        .size:           4
        .value_kind:     by_value
      - .actual_access:  read_only
        .address_space:  global
        .offset:         8
        .size:           8
        .value_kind:     global_buffer
      - .actual_access:  read_only
        .address_space:  global
        .offset:         16
        .size:           8
        .value_kind:     global_buffer
      - .offset:         24
        .size:           16
        .value_kind:     by_value
      - .actual_access:  read_only
        .address_space:  global
        .offset:         40
        .size:           8
        .value_kind:     global_buffer
      - .actual_access:  read_only
        .address_space:  global
        .offset:         48
        .size:           8
        .value_kind:     global_buffer
      - .actual_access:  read_only
        .address_space:  global
        .offset:         56
        .size:           8
        .value_kind:     global_buffer
      - .actual_access:  read_only
        .address_space:  global
        .offset:         64
        .size:           8
        .value_kind:     global_buffer
      - .actual_access:  read_only
        .address_space:  global
        .offset:         72
        .size:           8
        .value_kind:     global_buffer
      - .actual_access:  read_only
        .address_space:  global
        .offset:         80
        .size:           8
        .value_kind:     global_buffer
      - .offset:         88
        .size:           16
        .value_kind:     by_value
      - .actual_access:  read_only
        .address_space:  global
        .offset:         104
        .size:           8
        .value_kind:     global_buffer
      - .actual_access:  read_only
        .address_space:  global
        .offset:         112
        .size:           8
        .value_kind:     global_buffer
      - .actual_access:  read_only
        .address_space:  global
        .offset:         120
        .size:           8
        .value_kind:     global_buffer
      - .actual_access:  read_only
        .address_space:  global
        .offset:         128
        .size:           8
        .value_kind:     global_buffer
      - .actual_access:  read_only
        .address_space:  global
        .offset:         136
        .size:           8
        .value_kind:     global_buffer
      - .actual_access:  write_only
        .address_space:  global
        .offset:         144
        .size:           8
        .value_kind:     global_buffer
      - .offset:         152
        .size:           4
        .value_kind:     by_value
      - .offset:         156
        .size:           4
        .value_kind:     by_value
      - .offset:         160
        .size:           4
        .value_kind:     by_value
      - .offset:         164
        .size:           4
        .value_kind:     by_value
      - .offset:         168
        .size:           1
        .value_kind:     by_value
      - .offset:         169
        .size:           1
        .value_kind:     by_value
      - .offset:         170
        .size:           1
        .value_kind:     by_value
    .group_segment_fixed_size: 0
    .kernarg_segment_align: 8
    .kernarg_segment_size: 172
    .language:       OpenCL C
    .language_version:
      - 2
      - 0
    .max_flat_workgroup_size: 512
    .name:           _ZN9rocsparseL41csrgemm_numeric_fill_block_per_row_kernelILj512ELj32ELj1024ELj137ELj64Eii21rocsparse_complex_numIdEEEvT5_PKS3_S5_NS_24const_host_device_scalarIT6_EEPKT4_S5_PKS7_SB_S5_SD_S8_SB_S5_SD_SB_S5_PS7_21rocsparse_index_base_SF_SF_SF_bbb
    .private_segment_fixed_size: 40
    .sgpr_count:     48
    .sgpr_spill_count: 0
    .symbol:         _ZN9rocsparseL41csrgemm_numeric_fill_block_per_row_kernelILj512ELj32ELj1024ELj137ELj64Eii21rocsparse_complex_numIdEEEvT5_PKS3_S5_NS_24const_host_device_scalarIT6_EEPKT4_S5_PKS7_SB_S5_SD_S8_SB_S5_SD_SB_S5_PS7_21rocsparse_index_base_SF_SF_SF_bbb.kd
    .uniform_work_group_size: 1
    .uses_dynamic_stack: false
    .vgpr_count:     31
    .vgpr_spill_count: 0
    .wavefront_size: 32
    .workgroup_processor_mode: 1
  - .args:
      - .offset:         0
        .size:           4
        .value_kind:     by_value
      - .actual_access:  read_only
        .address_space:  global
        .offset:         8
        .size:           8
        .value_kind:     global_buffer
      - .actual_access:  read_only
        .address_space:  global
        .offset:         16
        .size:           8
        .value_kind:     global_buffer
      - .offset:         24
        .size:           16
        .value_kind:     by_value
      - .actual_access:  read_only
        .address_space:  global
        .offset:         40
        .size:           8
        .value_kind:     global_buffer
      - .actual_access:  read_only
        .address_space:  global
        .offset:         48
        .size:           8
        .value_kind:     global_buffer
      - .actual_access:  read_only
        .address_space:  global
        .offset:         56
        .size:           8
        .value_kind:     global_buffer
      - .actual_access:  read_only
        .address_space:  global
        .offset:         64
        .size:           8
        .value_kind:     global_buffer
      - .actual_access:  read_only
        .address_space:  global
        .offset:         72
        .size:           8
        .value_kind:     global_buffer
      - .actual_access:  read_only
        .address_space:  global
        .offset:         80
        .size:           8
        .value_kind:     global_buffer
      - .offset:         88
        .size:           16
        .value_kind:     by_value
      - .actual_access:  read_only
        .address_space:  global
        .offset:         104
        .size:           8
        .value_kind:     global_buffer
      - .actual_access:  read_only
        .address_space:  global
        .offset:         112
        .size:           8
        .value_kind:     global_buffer
      - .actual_access:  read_only
        .address_space:  global
        .offset:         120
        .size:           8
        .value_kind:     global_buffer
      - .actual_access:  read_only
        .address_space:  global
        .offset:         128
        .size:           8
        .value_kind:     global_buffer
      - .actual_access:  read_only
        .address_space:  global
        .offset:         136
        .size:           8
        .value_kind:     global_buffer
      - .actual_access:  write_only
        .address_space:  global
        .offset:         144
        .size:           8
        .value_kind:     global_buffer
      - .offset:         152
        .size:           4
        .value_kind:     by_value
      - .offset:         156
        .size:           4
        .value_kind:     by_value
      - .offset:         160
        .size:           4
        .value_kind:     by_value
      - .offset:         164
        .size:           4
        .value_kind:     by_value
      - .offset:         168
        .size:           1
        .value_kind:     by_value
      - .offset:         169
        .size:           1
        .value_kind:     by_value
      - .offset:         170
        .size:           1
        .value_kind:     by_value
    .group_segment_fixed_size: 0
    .kernarg_segment_align: 8
    .kernarg_segment_size: 172
    .language:       OpenCL C
    .language_version:
      - 2
      - 0
    .max_flat_workgroup_size: 1024
    .name:           _ZN9rocsparseL41csrgemm_numeric_fill_block_per_row_kernelILj1024ELj32ELj2048ELj137ELj32Eii21rocsparse_complex_numIdEEEvT5_PKS3_S5_NS_24const_host_device_scalarIT6_EEPKT4_S5_PKS7_SB_S5_SD_S8_SB_S5_SD_SB_S5_PS7_21rocsparse_index_base_SF_SF_SF_bbb
    .private_segment_fixed_size: 40
    .sgpr_count:     52
    .sgpr_spill_count: 0
    .symbol:         _ZN9rocsparseL41csrgemm_numeric_fill_block_per_row_kernelILj1024ELj32ELj2048ELj137ELj32Eii21rocsparse_complex_numIdEEEvT5_PKS3_S5_NS_24const_host_device_scalarIT6_EEPKT4_S5_PKS7_SB_S5_SD_S8_SB_S5_SD_SB_S5_PS7_21rocsparse_index_base_SF_SF_SF_bbb.kd
    .uniform_work_group_size: 1
    .uses_dynamic_stack: false
    .vgpr_count:     32
    .vgpr_spill_count: 0
    .wavefront_size: 32
    .workgroup_processor_mode: 1
  - .args:
      - .offset:         0
        .size:           4
        .value_kind:     by_value
      - .actual_access:  read_only
        .address_space:  global
        .offset:         8
        .size:           8
        .value_kind:     global_buffer
      - .actual_access:  read_only
        .address_space:  global
        .offset:         16
        .size:           8
        .value_kind:     global_buffer
      - .offset:         24
        .size:           16
        .value_kind:     by_value
      - .actual_access:  read_only
        .address_space:  global
        .offset:         40
        .size:           8
        .value_kind:     global_buffer
      - .actual_access:  read_only
        .address_space:  global
        .offset:         48
        .size:           8
        .value_kind:     global_buffer
      - .actual_access:  read_only
        .address_space:  global
        .offset:         56
        .size:           8
        .value_kind:     global_buffer
      - .actual_access:  read_only
        .address_space:  global
        .offset:         64
        .size:           8
        .value_kind:     global_buffer
      - .actual_access:  read_only
        .address_space:  global
        .offset:         72
        .size:           8
        .value_kind:     global_buffer
      - .actual_access:  read_only
        .address_space:  global
        .offset:         80
        .size:           8
        .value_kind:     global_buffer
      - .offset:         88
        .size:           16
        .value_kind:     by_value
      - .actual_access:  read_only
        .address_space:  global
        .offset:         104
        .size:           8
        .value_kind:     global_buffer
      - .actual_access:  read_only
        .address_space:  global
        .offset:         112
        .size:           8
        .value_kind:     global_buffer
      - .actual_access:  read_only
        .address_space:  global
        .offset:         120
        .size:           8
        .value_kind:     global_buffer
      - .actual_access:  read_only
        .address_space:  global
        .offset:         128
        .size:           8
        .value_kind:     global_buffer
      - .actual_access:  read_only
        .address_space:  global
        .offset:         136
        .size:           8
        .value_kind:     global_buffer
      - .actual_access:  write_only
        .address_space:  global
        .offset:         144
        .size:           8
        .value_kind:     global_buffer
      - .offset:         152
        .size:           4
        .value_kind:     by_value
      - .offset:         156
        .size:           4
        .value_kind:     by_value
      - .offset:         160
        .size:           4
        .value_kind:     by_value
      - .offset:         164
        .size:           4
        .value_kind:     by_value
      - .offset:         168
        .size:           1
        .value_kind:     by_value
      - .offset:         169
        .size:           1
        .value_kind:     by_value
      - .offset:         170
        .size:           1
        .value_kind:     by_value
    .group_segment_fixed_size: 0
    .kernarg_segment_align: 8
    .kernarg_segment_size: 172
    .language:       OpenCL C
    .language_version:
      - 2
      - 0
    .max_flat_workgroup_size: 1024
    .name:           _ZN9rocsparseL41csrgemm_numeric_fill_block_per_row_kernelILj1024ELj32ELj2048ELj137ELj64Eii21rocsparse_complex_numIdEEEvT5_PKS3_S5_NS_24const_host_device_scalarIT6_EEPKT4_S5_PKS7_SB_S5_SD_S8_SB_S5_SD_SB_S5_PS7_21rocsparse_index_base_SF_SF_SF_bbb
    .private_segment_fixed_size: 40
    .sgpr_count:     48
    .sgpr_spill_count: 0
    .symbol:         _ZN9rocsparseL41csrgemm_numeric_fill_block_per_row_kernelILj1024ELj32ELj2048ELj137ELj64Eii21rocsparse_complex_numIdEEEvT5_PKS3_S5_NS_24const_host_device_scalarIT6_EEPKT4_S5_PKS7_SB_S5_SD_S8_SB_S5_SD_SB_S5_PS7_21rocsparse_index_base_SF_SF_SF_bbb.kd
    .uniform_work_group_size: 1
    .uses_dynamic_stack: false
    .vgpr_count:     31
    .vgpr_spill_count: 0
    .wavefront_size: 32
    .workgroup_processor_mode: 1
  - .args:
      - .offset:         0
        .size:           4
        .value_kind:     by_value
      - .actual_access:  read_only
        .address_space:  global
        .offset:         8
        .size:           8
        .value_kind:     global_buffer
      - .actual_access:  read_only
        .address_space:  global
        .offset:         16
        .size:           8
        .value_kind:     global_buffer
      - .offset:         24
        .size:           16
        .value_kind:     by_value
      - .actual_access:  read_only
        .address_space:  global
        .offset:         40
        .size:           8
        .value_kind:     global_buffer
      - .actual_access:  read_only
        .address_space:  global
        .offset:         48
        .size:           8
        .value_kind:     global_buffer
      - .actual_access:  read_only
        .address_space:  global
        .offset:         56
        .size:           8
        .value_kind:     global_buffer
      - .actual_access:  read_only
        .address_space:  global
        .offset:         64
        .size:           8
        .value_kind:     global_buffer
      - .actual_access:  read_only
        .address_space:  global
        .offset:         72
        .size:           8
        .value_kind:     global_buffer
      - .actual_access:  read_only
        .address_space:  global
        .offset:         80
        .size:           8
        .value_kind:     global_buffer
      - .offset:         88
        .size:           16
        .value_kind:     by_value
      - .actual_access:  read_only
        .address_space:  global
        .offset:         104
        .size:           8
        .value_kind:     global_buffer
      - .actual_access:  read_only
        .address_space:  global
        .offset:         112
        .size:           8
        .value_kind:     global_buffer
      - .actual_access:  read_only
        .address_space:  global
        .offset:         120
        .size:           8
        .value_kind:     global_buffer
      - .actual_access:  read_only
        .address_space:  global
        .offset:         128
        .size:           8
        .value_kind:     global_buffer
      - .actual_access:  read_only
        .address_space:  global
        .offset:         136
        .size:           8
        .value_kind:     global_buffer
      - .actual_access:  write_only
        .address_space:  global
        .offset:         144
        .size:           8
        .value_kind:     global_buffer
      - .offset:         152
        .size:           4
        .value_kind:     by_value
      - .offset:         156
        .size:           4
        .value_kind:     by_value
      - .offset:         160
        .size:           4
        .value_kind:     by_value
      - .offset:         164
        .size:           4
        .value_kind:     by_value
      - .offset:         168
        .size:           1
        .value_kind:     by_value
      - .offset:         169
        .size:           1
        .value_kind:     by_value
      - .offset:         170
        .size:           1
        .value_kind:     by_value
    .group_segment_fixed_size: 0
    .kernarg_segment_align: 8
    .kernarg_segment_size: 172
    .language:       OpenCL C
    .language_version:
      - 2
      - 0
    .max_flat_workgroup_size: 1024
    .name:           _ZN9rocsparseL41csrgemm_numeric_fill_block_per_row_kernelILj1024ELj64ELj4096ELj137ELj32Eii21rocsparse_complex_numIdEEEvT5_PKS3_S5_NS_24const_host_device_scalarIT6_EEPKT4_S5_PKS7_SB_S5_SD_S8_SB_S5_SD_SB_S5_PS7_21rocsparse_index_base_SF_SF_SF_bbb
    .private_segment_fixed_size: 40
    .sgpr_count:     76
    .sgpr_spill_count: 0
    .symbol:         _ZN9rocsparseL41csrgemm_numeric_fill_block_per_row_kernelILj1024ELj64ELj4096ELj137ELj32Eii21rocsparse_complex_numIdEEEvT5_PKS3_S5_NS_24const_host_device_scalarIT6_EEPKT4_S5_PKS7_SB_S5_SD_S8_SB_S5_SD_SB_S5_PS7_21rocsparse_index_base_SF_SF_SF_bbb.kd
    .uniform_work_group_size: 1
    .uses_dynamic_stack: false
    .vgpr_count:     31
    .vgpr_spill_count: 0
    .wavefront_size: 32
    .workgroup_processor_mode: 1
  - .args:
      - .offset:         0
        .size:           4
        .value_kind:     by_value
      - .actual_access:  read_only
        .address_space:  global
        .offset:         8
        .size:           8
        .value_kind:     global_buffer
      - .actual_access:  read_only
        .address_space:  global
        .offset:         16
        .size:           8
        .value_kind:     global_buffer
      - .offset:         24
        .size:           16
        .value_kind:     by_value
      - .actual_access:  read_only
        .address_space:  global
        .offset:         40
        .size:           8
        .value_kind:     global_buffer
      - .actual_access:  read_only
        .address_space:  global
        .offset:         48
        .size:           8
        .value_kind:     global_buffer
      - .actual_access:  read_only
        .address_space:  global
        .offset:         56
        .size:           8
        .value_kind:     global_buffer
      - .actual_access:  read_only
        .address_space:  global
        .offset:         64
        .size:           8
        .value_kind:     global_buffer
      - .actual_access:  read_only
        .address_space:  global
        .offset:         72
        .size:           8
        .value_kind:     global_buffer
      - .actual_access:  read_only
        .address_space:  global
        .offset:         80
        .size:           8
        .value_kind:     global_buffer
      - .offset:         88
        .size:           16
        .value_kind:     by_value
      - .actual_access:  read_only
        .address_space:  global
        .offset:         104
        .size:           8
        .value_kind:     global_buffer
      - .actual_access:  read_only
        .address_space:  global
        .offset:         112
        .size:           8
        .value_kind:     global_buffer
      - .actual_access:  read_only
        .address_space:  global
        .offset:         120
        .size:           8
        .value_kind:     global_buffer
      - .actual_access:  read_only
        .address_space:  global
        .offset:         128
        .size:           8
        .value_kind:     global_buffer
      - .actual_access:  read_only
        .address_space:  global
        .offset:         136
        .size:           8
        .value_kind:     global_buffer
      - .actual_access:  write_only
        .address_space:  global
        .offset:         144
        .size:           8
        .value_kind:     global_buffer
      - .offset:         152
        .size:           4
        .value_kind:     by_value
      - .offset:         156
        .size:           4
        .value_kind:     by_value
      - .offset:         160
        .size:           4
        .value_kind:     by_value
      - .offset:         164
        .size:           4
        .value_kind:     by_value
      - .offset:         168
        .size:           1
        .value_kind:     by_value
      - .offset:         169
        .size:           1
        .value_kind:     by_value
      - .offset:         170
        .size:           1
        .value_kind:     by_value
    .group_segment_fixed_size: 0
    .kernarg_segment_align: 8
    .kernarg_segment_size: 172
    .language:       OpenCL C
    .language_version:
      - 2
      - 0
    .max_flat_workgroup_size: 1024
    .name:           _ZN9rocsparseL41csrgemm_numeric_fill_block_per_row_kernelILj1024ELj64ELj4096ELj137ELj64Eii21rocsparse_complex_numIdEEEvT5_PKS3_S5_NS_24const_host_device_scalarIT6_EEPKT4_S5_PKS7_SB_S5_SD_S8_SB_S5_SD_SB_S5_PS7_21rocsparse_index_base_SF_SF_SF_bbb
    .private_segment_fixed_size: 40
    .sgpr_count:     48
    .sgpr_spill_count: 0
    .symbol:         _ZN9rocsparseL41csrgemm_numeric_fill_block_per_row_kernelILj1024ELj64ELj4096ELj137ELj64Eii21rocsparse_complex_numIdEEEvT5_PKS3_S5_NS_24const_host_device_scalarIT6_EEPKT4_S5_PKS7_SB_S5_SD_S8_SB_S5_SD_SB_S5_PS7_21rocsparse_index_base_SF_SF_SF_bbb.kd
    .uniform_work_group_size: 1
    .uses_dynamic_stack: false
    .vgpr_count:     32
    .vgpr_spill_count: 0
    .wavefront_size: 32
    .workgroup_processor_mode: 1
  - .args:
      - .offset:         0
        .size:           4
        .value_kind:     by_value
      - .actual_access:  read_only
        .address_space:  global
        .offset:         8
        .size:           8
        .value_kind:     global_buffer
      - .actual_access:  read_only
        .address_space:  global
        .offset:         16
        .size:           8
        .value_kind:     global_buffer
      - .offset:         24
        .size:           16
        .value_kind:     by_value
      - .actual_access:  read_only
        .address_space:  global
        .offset:         40
        .size:           8
        .value_kind:     global_buffer
      - .actual_access:  read_only
        .address_space:  global
        .offset:         48
        .size:           8
        .value_kind:     global_buffer
      - .actual_access:  read_only
        .address_space:  global
        .offset:         56
        .size:           8
        .value_kind:     global_buffer
      - .actual_access:  read_only
        .address_space:  global
        .offset:         64
        .size:           8
        .value_kind:     global_buffer
      - .actual_access:  read_only
        .address_space:  global
        .offset:         72
        .size:           8
        .value_kind:     global_buffer
      - .actual_access:  read_only
        .address_space:  global
        .offset:         80
        .size:           8
        .value_kind:     global_buffer
      - .offset:         88
        .size:           16
        .value_kind:     by_value
      - .actual_access:  read_only
        .address_space:  global
        .offset:         104
        .size:           8
        .value_kind:     global_buffer
      - .actual_access:  read_only
        .address_space:  global
        .offset:         112
        .size:           8
        .value_kind:     global_buffer
      - .actual_access:  read_only
        .address_space:  global
        .offset:         120
        .size:           8
        .value_kind:     global_buffer
      - .actual_access:  read_only
        .address_space:  global
        .offset:         128
        .size:           8
        .value_kind:     global_buffer
      - .actual_access:  read_only
        .address_space:  global
        .offset:         136
        .size:           8
        .value_kind:     global_buffer
      - .actual_access:  write_only
        .address_space:  global
        .offset:         144
        .size:           8
        .value_kind:     global_buffer
      - .offset:         152
        .size:           4
        .value_kind:     by_value
      - .offset:         156
        .size:           4
        .value_kind:     by_value
      - .offset:         160
        .size:           4
        .value_kind:     by_value
      - .offset:         164
        .size:           4
        .value_kind:     by_value
      - .offset:         168
        .size:           1
        .value_kind:     by_value
      - .offset:         169
        .size:           1
        .value_kind:     by_value
      - .offset:         170
        .size:           1
        .value_kind:     by_value
    .group_segment_fixed_size: 0
    .kernarg_segment_align: 8
    .kernarg_segment_size: 172
    .language:       OpenCL C
    .language_version:
      - 2
      - 0
    .max_flat_workgroup_size: 1024
    .name:           _ZN9rocsparseL41csrgemm_numeric_fill_block_per_row_kernelILj1024ELj64ELj8192ELj137ELj32Eii21rocsparse_complex_numIdEEEvT5_PKS3_S5_NS_24const_host_device_scalarIT6_EEPKT4_S5_PKS7_SB_S5_SD_S8_SB_S5_SD_SB_S5_PS7_21rocsparse_index_base_SF_SF_SF_bbb
    .private_segment_fixed_size: 40
    .sgpr_count:     76
    .sgpr_spill_count: 0
    .symbol:         _ZN9rocsparseL41csrgemm_numeric_fill_block_per_row_kernelILj1024ELj64ELj8192ELj137ELj32Eii21rocsparse_complex_numIdEEEvT5_PKS3_S5_NS_24const_host_device_scalarIT6_EEPKT4_S5_PKS7_SB_S5_SD_S8_SB_S5_SD_SB_S5_PS7_21rocsparse_index_base_SF_SF_SF_bbb.kd
    .uniform_work_group_size: 1
    .uses_dynamic_stack: false
    .vgpr_count:     30
    .vgpr_spill_count: 0
    .wavefront_size: 32
    .workgroup_processor_mode: 1
  - .args:
      - .offset:         0
        .size:           4
        .value_kind:     by_value
      - .actual_access:  read_only
        .address_space:  global
        .offset:         8
        .size:           8
        .value_kind:     global_buffer
      - .actual_access:  read_only
        .address_space:  global
        .offset:         16
        .size:           8
        .value_kind:     global_buffer
      - .offset:         24
        .size:           16
        .value_kind:     by_value
      - .actual_access:  read_only
        .address_space:  global
        .offset:         40
        .size:           8
        .value_kind:     global_buffer
      - .actual_access:  read_only
        .address_space:  global
        .offset:         48
        .size:           8
        .value_kind:     global_buffer
      - .actual_access:  read_only
        .address_space:  global
        .offset:         56
        .size:           8
        .value_kind:     global_buffer
      - .actual_access:  read_only
        .address_space:  global
        .offset:         64
        .size:           8
        .value_kind:     global_buffer
      - .actual_access:  read_only
        .address_space:  global
        .offset:         72
        .size:           8
        .value_kind:     global_buffer
      - .actual_access:  read_only
        .address_space:  global
        .offset:         80
        .size:           8
        .value_kind:     global_buffer
      - .offset:         88
        .size:           16
        .value_kind:     by_value
      - .actual_access:  read_only
        .address_space:  global
        .offset:         104
        .size:           8
        .value_kind:     global_buffer
      - .actual_access:  read_only
        .address_space:  global
        .offset:         112
        .size:           8
        .value_kind:     global_buffer
      - .actual_access:  read_only
        .address_space:  global
        .offset:         120
        .size:           8
        .value_kind:     global_buffer
      - .actual_access:  read_only
        .address_space:  global
        .offset:         128
        .size:           8
        .value_kind:     global_buffer
      - .actual_access:  read_only
        .address_space:  global
        .offset:         136
        .size:           8
        .value_kind:     global_buffer
      - .actual_access:  write_only
        .address_space:  global
        .offset:         144
        .size:           8
        .value_kind:     global_buffer
      - .offset:         152
        .size:           4
        .value_kind:     by_value
      - .offset:         156
        .size:           4
        .value_kind:     by_value
      - .offset:         160
        .size:           4
        .value_kind:     by_value
      - .offset:         164
        .size:           4
        .value_kind:     by_value
      - .offset:         168
        .size:           1
        .value_kind:     by_value
      - .offset:         169
        .size:           1
        .value_kind:     by_value
      - .offset:         170
        .size:           1
        .value_kind:     by_value
    .group_segment_fixed_size: 0
    .kernarg_segment_align: 8
    .kernarg_segment_size: 172
    .language:       OpenCL C
    .language_version:
      - 2
      - 0
    .max_flat_workgroup_size: 1024
    .name:           _ZN9rocsparseL41csrgemm_numeric_fill_block_per_row_kernelILj1024ELj64ELj8192ELj137ELj64Eii21rocsparse_complex_numIdEEEvT5_PKS3_S5_NS_24const_host_device_scalarIT6_EEPKT4_S5_PKS7_SB_S5_SD_S8_SB_S5_SD_SB_S5_PS7_21rocsparse_index_base_SF_SF_SF_bbb
    .private_segment_fixed_size: 40
    .sgpr_count:     44
    .sgpr_spill_count: 0
    .symbol:         _ZN9rocsparseL41csrgemm_numeric_fill_block_per_row_kernelILj1024ELj64ELj8192ELj137ELj64Eii21rocsparse_complex_numIdEEEvT5_PKS3_S5_NS_24const_host_device_scalarIT6_EEPKT4_S5_PKS7_SB_S5_SD_S8_SB_S5_SD_SB_S5_PS7_21rocsparse_index_base_SF_SF_SF_bbb.kd
    .uniform_work_group_size: 1
    .uses_dynamic_stack: false
    .vgpr_count:     31
    .vgpr_spill_count: 0
    .wavefront_size: 32
    .workgroup_processor_mode: 1
  - .args:
      - .offset:         0
        .size:           4
        .value_kind:     by_value
      - .actual_access:  read_only
        .address_space:  global
        .offset:         8
        .size:           8
        .value_kind:     global_buffer
      - .actual_access:  read_only
        .address_space:  global
        .offset:         16
        .size:           8
        .value_kind:     global_buffer
      - .offset:         24
        .size:           16
        .value_kind:     by_value
      - .actual_access:  read_only
        .address_space:  global
        .offset:         40
        .size:           8
        .value_kind:     global_buffer
      - .actual_access:  read_only
        .address_space:  global
        .offset:         48
        .size:           8
        .value_kind:     global_buffer
      - .actual_access:  read_only
        .address_space:  global
        .offset:         56
        .size:           8
        .value_kind:     global_buffer
      - .actual_access:  read_only
        .address_space:  global
        .offset:         64
        .size:           8
        .value_kind:     global_buffer
      - .actual_access:  read_only
        .address_space:  global
        .offset:         72
        .size:           8
        .value_kind:     global_buffer
      - .actual_access:  read_only
        .address_space:  global
        .offset:         80
        .size:           8
        .value_kind:     global_buffer
      - .offset:         88
        .size:           16
        .value_kind:     by_value
      - .actual_access:  read_only
        .address_space:  global
        .offset:         104
        .size:           8
        .value_kind:     global_buffer
      - .actual_access:  read_only
        .address_space:  global
        .offset:         112
        .size:           8
        .value_kind:     global_buffer
      - .actual_access:  read_only
        .address_space:  global
        .offset:         120
        .size:           8
        .value_kind:     global_buffer
      - .actual_access:  read_only
        .address_space:  global
        .offset:         128
        .size:           8
        .value_kind:     global_buffer
      - .actual_access:  read_only
        .address_space:  global
        .offset:         136
        .size:           8
        .value_kind:     global_buffer
      - .actual_access:  write_only
        .address_space:  global
        .offset:         144
        .size:           8
        .value_kind:     global_buffer
      - .offset:         152
        .size:           4
        .value_kind:     by_value
      - .offset:         156
        .size:           4
        .value_kind:     by_value
      - .offset:         160
        .size:           4
        .value_kind:     by_value
      - .offset:         164
        .size:           4
        .value_kind:     by_value
      - .offset:         168
        .size:           1
        .value_kind:     by_value
      - .offset:         169
        .size:           1
        .value_kind:     by_value
      - .offset:         170
        .size:           1
        .value_kind:     by_value
    .group_segment_fixed_size: 0
    .kernarg_segment_align: 8
    .kernarg_segment_size: 172
    .language:       OpenCL C
    .language_version:
      - 2
      - 0
    .max_flat_workgroup_size: 1024
    .name:           _ZN9rocsparseL41csrgemm_numeric_fill_block_per_row_kernelILj1024ELj64ELj16384ELj137ELj32Eii21rocsparse_complex_numIdEEEvT5_PKS3_S5_NS_24const_host_device_scalarIT6_EEPKT4_S5_PKS7_SB_S5_SD_S8_SB_S5_SD_SB_S5_PS7_21rocsparse_index_base_SF_SF_SF_bbb
    .private_segment_fixed_size: 40
    .sgpr_count:     76
    .sgpr_spill_count: 0
    .symbol:         _ZN9rocsparseL41csrgemm_numeric_fill_block_per_row_kernelILj1024ELj64ELj16384ELj137ELj32Eii21rocsparse_complex_numIdEEEvT5_PKS3_S5_NS_24const_host_device_scalarIT6_EEPKT4_S5_PKS7_SB_S5_SD_S8_SB_S5_SD_SB_S5_PS7_21rocsparse_index_base_SF_SF_SF_bbb.kd
    .uniform_work_group_size: 1
    .uses_dynamic_stack: false
    .vgpr_count:     31
    .vgpr_spill_count: 0
    .wavefront_size: 32
    .workgroup_processor_mode: 1
  - .args:
      - .offset:         0
        .size:           4
        .value_kind:     by_value
      - .actual_access:  read_only
        .address_space:  global
        .offset:         8
        .size:           8
        .value_kind:     global_buffer
      - .actual_access:  read_only
        .address_space:  global
        .offset:         16
        .size:           8
        .value_kind:     global_buffer
      - .offset:         24
        .size:           16
        .value_kind:     by_value
      - .actual_access:  read_only
        .address_space:  global
        .offset:         40
        .size:           8
        .value_kind:     global_buffer
      - .actual_access:  read_only
        .address_space:  global
        .offset:         48
        .size:           8
        .value_kind:     global_buffer
      - .actual_access:  read_only
        .address_space:  global
        .offset:         56
        .size:           8
        .value_kind:     global_buffer
      - .actual_access:  read_only
        .address_space:  global
        .offset:         64
        .size:           8
        .value_kind:     global_buffer
      - .actual_access:  read_only
        .address_space:  global
        .offset:         72
        .size:           8
        .value_kind:     global_buffer
      - .actual_access:  read_only
        .address_space:  global
        .offset:         80
        .size:           8
        .value_kind:     global_buffer
      - .offset:         88
        .size:           16
        .value_kind:     by_value
      - .actual_access:  read_only
        .address_space:  global
        .offset:         104
        .size:           8
        .value_kind:     global_buffer
      - .actual_access:  read_only
        .address_space:  global
        .offset:         112
        .size:           8
        .value_kind:     global_buffer
      - .actual_access:  read_only
        .address_space:  global
        .offset:         120
        .size:           8
        .value_kind:     global_buffer
      - .actual_access:  read_only
        .address_space:  global
        .offset:         128
        .size:           8
        .value_kind:     global_buffer
      - .actual_access:  read_only
        .address_space:  global
        .offset:         136
        .size:           8
        .value_kind:     global_buffer
      - .actual_access:  write_only
        .address_space:  global
        .offset:         144
        .size:           8
        .value_kind:     global_buffer
      - .offset:         152
        .size:           4
        .value_kind:     by_value
      - .offset:         156
        .size:           4
        .value_kind:     by_value
      - .offset:         160
        .size:           4
        .value_kind:     by_value
      - .offset:         164
        .size:           4
        .value_kind:     by_value
      - .offset:         168
        .size:           1
        .value_kind:     by_value
      - .offset:         169
        .size:           1
        .value_kind:     by_value
      - .offset:         170
        .size:           1
        .value_kind:     by_value
    .group_segment_fixed_size: 0
    .kernarg_segment_align: 8
    .kernarg_segment_size: 172
    .language:       OpenCL C
    .language_version:
      - 2
      - 0
    .max_flat_workgroup_size: 1024
    .name:           _ZN9rocsparseL41csrgemm_numeric_fill_block_per_row_kernelILj1024ELj64ELj16384ELj137ELj64Eii21rocsparse_complex_numIdEEEvT5_PKS3_S5_NS_24const_host_device_scalarIT6_EEPKT4_S5_PKS7_SB_S5_SD_S8_SB_S5_SD_SB_S5_PS7_21rocsparse_index_base_SF_SF_SF_bbb
    .private_segment_fixed_size: 40
    .sgpr_count:     48
    .sgpr_spill_count: 0
    .symbol:         _ZN9rocsparseL41csrgemm_numeric_fill_block_per_row_kernelILj1024ELj64ELj16384ELj137ELj64Eii21rocsparse_complex_numIdEEEvT5_PKS3_S5_NS_24const_host_device_scalarIT6_EEPKT4_S5_PKS7_SB_S5_SD_S8_SB_S5_SD_SB_S5_PS7_21rocsparse_index_base_SF_SF_SF_bbb.kd
    .uniform_work_group_size: 1
    .uses_dynamic_stack: false
    .vgpr_count:     32
    .vgpr_spill_count: 0
    .wavefront_size: 32
    .workgroup_processor_mode: 1
  - .args:
      - .offset:         0
        .size:           4
        .value_kind:     by_value
      - .actual_access:  read_only
        .address_space:  global
        .offset:         8
        .size:           8
        .value_kind:     global_buffer
      - .actual_access:  read_only
        .address_space:  global
        .offset:         16
        .size:           8
        .value_kind:     global_buffer
      - .offset:         24
        .size:           16
        .value_kind:     by_value
      - .actual_access:  read_only
        .address_space:  global
        .offset:         40
        .size:           8
        .value_kind:     global_buffer
      - .actual_access:  read_only
        .address_space:  global
        .offset:         48
        .size:           8
        .value_kind:     global_buffer
      - .actual_access:  read_only
        .address_space:  global
        .offset:         56
        .size:           8
        .value_kind:     global_buffer
      - .actual_access:  read_only
        .address_space:  global
        .offset:         64
        .size:           8
        .value_kind:     global_buffer
      - .actual_access:  read_only
        .address_space:  global
        .offset:         72
        .size:           8
        .value_kind:     global_buffer
      - .actual_access:  read_only
        .address_space:  global
        .offset:         80
        .size:           8
        .value_kind:     global_buffer
      - .offset:         88
        .size:           16
        .value_kind:     by_value
      - .actual_access:  read_only
        .address_space:  global
        .offset:         104
        .size:           8
        .value_kind:     global_buffer
      - .actual_access:  read_only
        .address_space:  global
        .offset:         112
        .size:           8
        .value_kind:     global_buffer
      - .actual_access:  read_only
        .address_space:  global
        .offset:         120
        .size:           8
        .value_kind:     global_buffer
      - .actual_access:  read_only
        .address_space:  global
        .offset:         128
        .size:           8
        .value_kind:     global_buffer
      - .actual_access:  read_only
        .address_space:  global
        .offset:         136
        .size:           8
        .value_kind:     global_buffer
      - .actual_access:  write_only
        .address_space:  global
        .offset:         144
        .size:           8
        .value_kind:     global_buffer
      - .offset:         152
        .size:           4
        .value_kind:     by_value
      - .offset:         156
        .size:           4
        .value_kind:     by_value
      - .offset:         160
        .size:           4
        .value_kind:     by_value
      - .offset:         164
        .size:           4
        .value_kind:     by_value
      - .offset:         168
        .size:           1
        .value_kind:     by_value
      - .offset:         169
        .size:           1
        .value_kind:     by_value
      - .offset:         170
        .size:           1
        .value_kind:     by_value
    .group_segment_fixed_size: 0
    .kernarg_segment_align: 8
    .kernarg_segment_size: 172
    .language:       OpenCL C
    .language_version:
      - 2
      - 0
    .max_flat_workgroup_size: 1024
    .name:           _ZN9rocsparseL41csrgemm_numeric_fill_block_per_row_kernelILj1024ELj64ELj32768ELj137ELj32Eii21rocsparse_complex_numIdEEEvT5_PKS3_S5_NS_24const_host_device_scalarIT6_EEPKT4_S5_PKS7_SB_S5_SD_S8_SB_S5_SD_SB_S5_PS7_21rocsparse_index_base_SF_SF_SF_bbb
    .private_segment_fixed_size: 40
    .sgpr_count:     76
    .sgpr_spill_count: 0
    .symbol:         _ZN9rocsparseL41csrgemm_numeric_fill_block_per_row_kernelILj1024ELj64ELj32768ELj137ELj32Eii21rocsparse_complex_numIdEEEvT5_PKS3_S5_NS_24const_host_device_scalarIT6_EEPKT4_S5_PKS7_SB_S5_SD_S8_SB_S5_SD_SB_S5_PS7_21rocsparse_index_base_SF_SF_SF_bbb.kd
    .uniform_work_group_size: 1
    .uses_dynamic_stack: false
    .vgpr_count:     31
    .vgpr_spill_count: 0
    .wavefront_size: 32
    .workgroup_processor_mode: 1
  - .args:
      - .offset:         0
        .size:           4
        .value_kind:     by_value
      - .actual_access:  read_only
        .address_space:  global
        .offset:         8
        .size:           8
        .value_kind:     global_buffer
      - .actual_access:  read_only
        .address_space:  global
        .offset:         16
        .size:           8
        .value_kind:     global_buffer
      - .offset:         24
        .size:           16
        .value_kind:     by_value
      - .actual_access:  read_only
        .address_space:  global
        .offset:         40
        .size:           8
        .value_kind:     global_buffer
      - .actual_access:  read_only
        .address_space:  global
        .offset:         48
        .size:           8
        .value_kind:     global_buffer
      - .actual_access:  read_only
        .address_space:  global
        .offset:         56
        .size:           8
        .value_kind:     global_buffer
      - .actual_access:  read_only
        .address_space:  global
        .offset:         64
        .size:           8
        .value_kind:     global_buffer
      - .actual_access:  read_only
        .address_space:  global
        .offset:         72
        .size:           8
        .value_kind:     global_buffer
      - .actual_access:  read_only
        .address_space:  global
        .offset:         80
        .size:           8
        .value_kind:     global_buffer
      - .offset:         88
        .size:           16
        .value_kind:     by_value
      - .actual_access:  read_only
        .address_space:  global
        .offset:         104
        .size:           8
        .value_kind:     global_buffer
      - .actual_access:  read_only
        .address_space:  global
        .offset:         112
        .size:           8
        .value_kind:     global_buffer
      - .actual_access:  read_only
        .address_space:  global
        .offset:         120
        .size:           8
        .value_kind:     global_buffer
      - .actual_access:  read_only
        .address_space:  global
        .offset:         128
        .size:           8
        .value_kind:     global_buffer
      - .actual_access:  read_only
        .address_space:  global
        .offset:         136
        .size:           8
        .value_kind:     global_buffer
      - .actual_access:  write_only
        .address_space:  global
        .offset:         144
        .size:           8
        .value_kind:     global_buffer
      - .offset:         152
        .size:           4
        .value_kind:     by_value
      - .offset:         156
        .size:           4
        .value_kind:     by_value
      - .offset:         160
        .size:           4
        .value_kind:     by_value
      - .offset:         164
        .size:           4
        .value_kind:     by_value
      - .offset:         168
        .size:           1
        .value_kind:     by_value
      - .offset:         169
        .size:           1
        .value_kind:     by_value
      - .offset:         170
        .size:           1
        .value_kind:     by_value
    .group_segment_fixed_size: 0
    .kernarg_segment_align: 8
    .kernarg_segment_size: 172
    .language:       OpenCL C
    .language_version:
      - 2
      - 0
    .max_flat_workgroup_size: 1024
    .name:           _ZN9rocsparseL41csrgemm_numeric_fill_block_per_row_kernelILj1024ELj64ELj32768ELj137ELj64Eii21rocsparse_complex_numIdEEEvT5_PKS3_S5_NS_24const_host_device_scalarIT6_EEPKT4_S5_PKS7_SB_S5_SD_S8_SB_S5_SD_SB_S5_PS7_21rocsparse_index_base_SF_SF_SF_bbb
    .private_segment_fixed_size: 40
    .sgpr_count:     48
    .sgpr_spill_count: 0
    .symbol:         _ZN9rocsparseL41csrgemm_numeric_fill_block_per_row_kernelILj1024ELj64ELj32768ELj137ELj64Eii21rocsparse_complex_numIdEEEvT5_PKS3_S5_NS_24const_host_device_scalarIT6_EEPKT4_S5_PKS7_SB_S5_SD_S8_SB_S5_SD_SB_S5_PS7_21rocsparse_index_base_SF_SF_SF_bbb.kd
    .uniform_work_group_size: 1
    .uses_dynamic_stack: false
    .vgpr_count:     32
    .vgpr_spill_count: 0
    .wavefront_size: 32
    .workgroup_processor_mode: 1
  - .args:
      - .offset:         0
        .size:           4
        .value_kind:     by_value
      - .actual_access:  read_only
        .address_space:  global
        .offset:         8
        .size:           8
        .value_kind:     global_buffer
      - .actual_access:  read_only
        .address_space:  global
        .offset:         16
        .size:           8
        .value_kind:     global_buffer
      - .offset:         24
        .size:           16
        .value_kind:     by_value
      - .actual_access:  read_only
        .address_space:  global
        .offset:         40
        .size:           8
        .value_kind:     global_buffer
      - .actual_access:  read_only
        .address_space:  global
        .offset:         48
        .size:           8
        .value_kind:     global_buffer
      - .actual_access:  read_only
        .address_space:  global
        .offset:         56
        .size:           8
        .value_kind:     global_buffer
      - .actual_access:  read_only
        .address_space:  global
        .offset:         64
        .size:           8
        .value_kind:     global_buffer
      - .actual_access:  read_only
        .address_space:  global
        .offset:         72
        .size:           8
        .value_kind:     global_buffer
      - .actual_access:  read_only
        .address_space:  global
        .offset:         80
        .size:           8
        .value_kind:     global_buffer
      - .offset:         88
        .size:           16
        .value_kind:     by_value
      - .actual_access:  read_only
        .address_space:  global
        .offset:         104
        .size:           8
        .value_kind:     global_buffer
      - .actual_access:  read_only
        .address_space:  global
        .offset:         112
        .size:           8
        .value_kind:     global_buffer
      - .actual_access:  read_only
        .address_space:  global
        .offset:         120
        .size:           8
        .value_kind:     global_buffer
      - .actual_access:  read_only
        .address_space:  global
        .offset:         128
        .size:           8
        .value_kind:     global_buffer
      - .actual_access:  read_only
        .address_space:  global
        .offset:         136
        .size:           8
        .value_kind:     global_buffer
      - .actual_access:  write_only
        .address_space:  global
        .offset:         144
        .size:           8
        .value_kind:     global_buffer
      - .address_space:  global
        .offset:         152
        .size:           8
        .value_kind:     global_buffer
      - .offset:         160
        .size:           4
        .value_kind:     by_value
      - .offset:         164
        .size:           4
        .value_kind:     by_value
      - .offset:         168
        .size:           4
        .value_kind:     by_value
      - .offset:         172
        .size:           4
        .value_kind:     by_value
      - .offset:         176
        .size:           1
        .value_kind:     by_value
      - .offset:         177
        .size:           1
        .value_kind:     by_value
      - .offset:         178
        .size:           1
        .value_kind:     by_value
    .group_segment_fixed_size: 43016
    .kernarg_segment_align: 8
    .kernarg_segment_size: 180
    .language:       OpenCL C
    .language_version:
      - 2
      - 0
    .max_flat_workgroup_size: 512
    .name:           _ZN9rocsparseL51csrgemm_numeric_fill_block_per_row_multipass_kernelILj512ELj16ELj2048ELj32Eii21rocsparse_complex_numIdEEEvT4_PKS3_S5_NS_24const_host_device_scalarIT5_EEPKT3_S5_PKS7_SB_S5_SD_S8_SB_S5_SD_SB_S5_PS7_PS9_21rocsparse_index_base_SG_SG_SG_bbb
    .private_segment_fixed_size: 24
    .sgpr_count:     61
    .sgpr_spill_count: 0
    .symbol:         _ZN9rocsparseL51csrgemm_numeric_fill_block_per_row_multipass_kernelILj512ELj16ELj2048ELj32Eii21rocsparse_complex_numIdEEEvT4_PKS3_S5_NS_24const_host_device_scalarIT5_EEPKT3_S5_PKS7_SB_S5_SD_S8_SB_S5_SD_SB_S5_PS7_PS9_21rocsparse_index_base_SG_SG_SG_bbb.kd
    .uniform_work_group_size: 1
    .uses_dynamic_stack: false
    .vgpr_count:     51
    .vgpr_spill_count: 0
    .wavefront_size: 32
    .workgroup_processor_mode: 1
  - .args:
      - .offset:         0
        .size:           4
        .value_kind:     by_value
      - .actual_access:  read_only
        .address_space:  global
        .offset:         8
        .size:           8
        .value_kind:     global_buffer
      - .actual_access:  read_only
        .address_space:  global
        .offset:         16
        .size:           8
        .value_kind:     global_buffer
      - .offset:         24
        .size:           16
        .value_kind:     by_value
      - .actual_access:  read_only
        .address_space:  global
        .offset:         40
        .size:           8
        .value_kind:     global_buffer
      - .actual_access:  read_only
        .address_space:  global
        .offset:         48
        .size:           8
        .value_kind:     global_buffer
      - .actual_access:  read_only
        .address_space:  global
        .offset:         56
        .size:           8
        .value_kind:     global_buffer
      - .actual_access:  read_only
        .address_space:  global
        .offset:         64
        .size:           8
        .value_kind:     global_buffer
      - .actual_access:  read_only
        .address_space:  global
        .offset:         72
        .size:           8
        .value_kind:     global_buffer
      - .actual_access:  read_only
        .address_space:  global
        .offset:         80
        .size:           8
        .value_kind:     global_buffer
      - .offset:         88
        .size:           16
        .value_kind:     by_value
      - .actual_access:  read_only
        .address_space:  global
        .offset:         104
        .size:           8
        .value_kind:     global_buffer
      - .actual_access:  read_only
        .address_space:  global
        .offset:         112
        .size:           8
        .value_kind:     global_buffer
      - .actual_access:  read_only
        .address_space:  global
        .offset:         120
        .size:           8
        .value_kind:     global_buffer
      - .actual_access:  read_only
        .address_space:  global
        .offset:         128
        .size:           8
        .value_kind:     global_buffer
      - .actual_access:  read_only
        .address_space:  global
        .offset:         136
        .size:           8
        .value_kind:     global_buffer
      - .actual_access:  write_only
        .address_space:  global
        .offset:         144
        .size:           8
        .value_kind:     global_buffer
      - .address_space:  global
        .offset:         152
        .size:           8
        .value_kind:     global_buffer
      - .offset:         160
        .size:           4
        .value_kind:     by_value
      - .offset:         164
        .size:           4
        .value_kind:     by_value
      - .offset:         168
        .size:           4
        .value_kind:     by_value
      - .offset:         172
        .size:           4
        .value_kind:     by_value
      - .offset:         176
        .size:           1
        .value_kind:     by_value
      - .offset:         177
        .size:           1
        .value_kind:     by_value
      - .offset:         178
        .size:           1
        .value_kind:     by_value
    .group_segment_fixed_size: 43016
    .kernarg_segment_align: 8
    .kernarg_segment_size: 180
    .language:       OpenCL C
    .language_version:
      - 2
      - 0
    .max_flat_workgroup_size: 512
    .name:           _ZN9rocsparseL51csrgemm_numeric_fill_block_per_row_multipass_kernelILj512ELj16ELj2048ELj64Eii21rocsparse_complex_numIdEEEvT4_PKS3_S5_NS_24const_host_device_scalarIT5_EEPKT3_S5_PKS7_SB_S5_SD_S8_SB_S5_SD_SB_S5_PS7_PS9_21rocsparse_index_base_SG_SG_SG_bbb
    .private_segment_fixed_size: 24
    .sgpr_count:     53
    .sgpr_spill_count: 0
    .symbol:         _ZN9rocsparseL51csrgemm_numeric_fill_block_per_row_multipass_kernelILj512ELj16ELj2048ELj64Eii21rocsparse_complex_numIdEEEvT4_PKS3_S5_NS_24const_host_device_scalarIT5_EEPKT3_S5_PKS7_SB_S5_SD_S8_SB_S5_SD_SB_S5_PS7_PS9_21rocsparse_index_base_SG_SG_SG_bbb.kd
    .uniform_work_group_size: 1
    .uses_dynamic_stack: false
    .vgpr_count:     51
    .vgpr_spill_count: 0
    .wavefront_size: 32
    .workgroup_processor_mode: 1
  - .args:
      - .offset:         0
        .size:           8
        .value_kind:     by_value
      - .offset:         8
        .size:           8
        .value_kind:     by_value
      - .actual_access:  read_only
        .address_space:  global
        .offset:         16
        .size:           8
        .value_kind:     global_buffer
      - .actual_access:  read_only
        .address_space:  global
        .offset:         24
        .size:           8
        .value_kind:     global_buffer
      - .offset:         32
        .size:           8
        .value_kind:     by_value
      - .actual_access:  read_only
        .address_space:  global
        .offset:         40
        .size:           8
        .value_kind:     global_buffer
      - .actual_access:  read_only
        .address_space:  global
        .offset:         48
        .size:           8
        .value_kind:     global_buffer
      - .actual_access:  read_only
        .address_space:  global
        .offset:         56
        .size:           8
        .value_kind:     global_buffer
      - .actual_access:  read_only
        .address_space:  global
        .offset:         64
        .size:           8
        .value_kind:     global_buffer
      - .actual_access:  read_only
        .address_space:  global
        .offset:         72
        .size:           8
        .value_kind:     global_buffer
      - .actual_access:  read_only
        .address_space:  global
        .offset:         80
        .size:           8
        .value_kind:     global_buffer
      - .offset:         88
        .size:           8
        .value_kind:     by_value
      - .actual_access:  read_only
        .address_space:  global
        .offset:         96
        .size:           8
        .value_kind:     global_buffer
      - .actual_access:  read_only
        .address_space:  global
        .offset:         104
        .size:           8
        .value_kind:     global_buffer
      - .actual_access:  read_only
        .address_space:  global
        .offset:         112
        .size:           8
        .value_kind:     global_buffer
      - .actual_access:  read_only
        .address_space:  global
        .offset:         120
        .size:           8
        .value_kind:     global_buffer
      - .actual_access:  read_only
        .address_space:  global
        .offset:         128
        .size:           8
        .value_kind:     global_buffer
      - .actual_access:  write_only
        .address_space:  global
        .offset:         136
        .size:           8
        .value_kind:     global_buffer
      - .offset:         144
        .size:           4
        .value_kind:     by_value
      - .offset:         148
        .size:           4
        .value_kind:     by_value
      - .offset:         152
        .size:           4
        .value_kind:     by_value
      - .offset:         156
        .size:           4
        .value_kind:     by_value
      - .offset:         160
        .size:           1
        .value_kind:     by_value
      - .offset:         161
        .size:           1
        .value_kind:     by_value
      - .offset:         162
        .size:           1
        .value_kind:     by_value
    .group_segment_fixed_size: 6144
    .kernarg_segment_align: 8
    .kernarg_segment_size: 164
    .language:       OpenCL C
    .language_version:
      - 2
      - 0
    .max_flat_workgroup_size: 256
    .name:           _ZN9rocsparseL38csrgemm_numeric_fill_wf_per_row_kernelILj256ELj8ELj16ELj137EllfEEvT4_S1_PKS1_S3_NS_24const_host_device_scalarIT5_EEPKT3_S3_PKS5_S9_S3_SB_S6_S9_S3_SB_S9_S3_PS5_21rocsparse_index_base_SD_SD_SD_bbb
    .private_segment_fixed_size: 0
    .sgpr_count:     42
    .sgpr_spill_count: 0
    .symbol:         _ZN9rocsparseL38csrgemm_numeric_fill_wf_per_row_kernelILj256ELj8ELj16ELj137EllfEEvT4_S1_PKS1_S3_NS_24const_host_device_scalarIT5_EEPKT3_S3_PKS5_S9_S3_SB_S6_S9_S3_SB_S9_S3_PS5_21rocsparse_index_base_SD_SD_SD_bbb.kd
    .uniform_work_group_size: 1
    .uses_dynamic_stack: false
    .vgpr_count:     42
    .vgpr_spill_count: 0
    .wavefront_size: 32
    .workgroup_processor_mode: 1
  - .args:
      - .offset:         0
        .size:           8
        .value_kind:     by_value
      - .offset:         8
        .size:           8
        .value_kind:     by_value
      - .actual_access:  read_only
        .address_space:  global
        .offset:         16
        .size:           8
        .value_kind:     global_buffer
      - .actual_access:  read_only
        .address_space:  global
        .offset:         24
        .size:           8
        .value_kind:     global_buffer
      - .offset:         32
        .size:           8
        .value_kind:     by_value
      - .actual_access:  read_only
        .address_space:  global
        .offset:         40
        .size:           8
        .value_kind:     global_buffer
      - .actual_access:  read_only
        .address_space:  global
        .offset:         48
        .size:           8
        .value_kind:     global_buffer
      - .actual_access:  read_only
        .address_space:  global
        .offset:         56
        .size:           8
        .value_kind:     global_buffer
      - .actual_access:  read_only
        .address_space:  global
        .offset:         64
        .size:           8
        .value_kind:     global_buffer
      - .actual_access:  read_only
        .address_space:  global
        .offset:         72
        .size:           8
        .value_kind:     global_buffer
      - .actual_access:  read_only
        .address_space:  global
        .offset:         80
        .size:           8
        .value_kind:     global_buffer
      - .offset:         88
        .size:           8
        .value_kind:     by_value
      - .actual_access:  read_only
        .address_space:  global
        .offset:         96
        .size:           8
        .value_kind:     global_buffer
      - .actual_access:  read_only
        .address_space:  global
        .offset:         104
        .size:           8
        .value_kind:     global_buffer
      - .actual_access:  read_only
        .address_space:  global
        .offset:         112
        .size:           8
        .value_kind:     global_buffer
      - .actual_access:  read_only
        .address_space:  global
        .offset:         120
        .size:           8
        .value_kind:     global_buffer
      - .actual_access:  read_only
        .address_space:  global
        .offset:         128
        .size:           8
        .value_kind:     global_buffer
      - .actual_access:  write_only
        .address_space:  global
        .offset:         136
        .size:           8
        .value_kind:     global_buffer
      - .offset:         144
        .size:           4
        .value_kind:     by_value
      - .offset:         148
        .size:           4
        .value_kind:     by_value
      - .offset:         152
        .size:           4
        .value_kind:     by_value
      - .offset:         156
        .size:           4
        .value_kind:     by_value
      - .offset:         160
        .size:           1
        .value_kind:     by_value
      - .offset:         161
        .size:           1
        .value_kind:     by_value
      - .offset:         162
        .size:           1
        .value_kind:     by_value
    .group_segment_fixed_size: 6144
    .kernarg_segment_align: 8
    .kernarg_segment_size: 164
    .language:       OpenCL C
    .language_version:
      - 2
      - 0
    .max_flat_workgroup_size: 256
    .name:           _ZN9rocsparseL38csrgemm_numeric_fill_wf_per_row_kernelILj256ELj16ELj32ELj137EllfEEvT4_S1_PKS1_S3_NS_24const_host_device_scalarIT5_EEPKT3_S3_PKS5_S9_S3_SB_S6_S9_S3_SB_S9_S3_PS5_21rocsparse_index_base_SD_SD_SD_bbb
    .private_segment_fixed_size: 0
    .sgpr_count:     42
    .sgpr_spill_count: 0
    .symbol:         _ZN9rocsparseL38csrgemm_numeric_fill_wf_per_row_kernelILj256ELj16ELj32ELj137EllfEEvT4_S1_PKS1_S3_NS_24const_host_device_scalarIT5_EEPKT3_S3_PKS5_S9_S3_SB_S6_S9_S3_SB_S9_S3_PS5_21rocsparse_index_base_SD_SD_SD_bbb.kd
    .uniform_work_group_size: 1
    .uses_dynamic_stack: false
    .vgpr_count:     74
    .vgpr_spill_count: 0
    .wavefront_size: 32
    .workgroup_processor_mode: 1
  - .args:
      - .offset:         0
        .size:           8
        .value_kind:     by_value
      - .actual_access:  read_only
        .address_space:  global
        .offset:         8
        .size:           8
        .value_kind:     global_buffer
      - .actual_access:  read_only
        .address_space:  global
        .offset:         16
        .size:           8
        .value_kind:     global_buffer
      - .offset:         24
        .size:           8
        .value_kind:     by_value
      - .actual_access:  read_only
        .address_space:  global
        .offset:         32
        .size:           8
        .value_kind:     global_buffer
      - .actual_access:  read_only
        .address_space:  global
        .offset:         40
        .size:           8
        .value_kind:     global_buffer
      - .actual_access:  read_only
        .address_space:  global
        .offset:         48
        .size:           8
        .value_kind:     global_buffer
      - .actual_access:  read_only
        .address_space:  global
        .offset:         56
        .size:           8
        .value_kind:     global_buffer
      - .actual_access:  read_only
        .address_space:  global
        .offset:         64
        .size:           8
        .value_kind:     global_buffer
      - .actual_access:  read_only
        .address_space:  global
        .offset:         72
        .size:           8
        .value_kind:     global_buffer
      - .offset:         80
        .size:           8
        .value_kind:     by_value
      - .actual_access:  read_only
        .address_space:  global
        .offset:         88
        .size:           8
        .value_kind:     global_buffer
      - .actual_access:  read_only
        .address_space:  global
        .offset:         96
        .size:           8
        .value_kind:     global_buffer
      - .actual_access:  read_only
        .address_space:  global
        .offset:         104
        .size:           8
        .value_kind:     global_buffer
      - .actual_access:  read_only
        .address_space:  global
        .offset:         112
        .size:           8
        .value_kind:     global_buffer
      - .actual_access:  read_only
        .address_space:  global
        .offset:         120
        .size:           8
        .value_kind:     global_buffer
      - .actual_access:  write_only
        .address_space:  global
        .offset:         128
        .size:           8
        .value_kind:     global_buffer
      - .offset:         136
        .size:           4
        .value_kind:     by_value
      - .offset:         140
        .size:           4
        .value_kind:     by_value
      - .offset:         144
        .size:           4
        .value_kind:     by_value
      - .offset:         148
        .size:           4
        .value_kind:     by_value
      - .offset:         152
        .size:           1
        .value_kind:     by_value
      - .offset:         153
        .size:           1
        .value_kind:     by_value
      - .offset:         154
        .size:           1
        .value_kind:     by_value
    .group_segment_fixed_size: 0
    .kernarg_segment_align: 8
    .kernarg_segment_size: 156
    .language:       OpenCL C
    .language_version:
      - 2
      - 0
    .max_flat_workgroup_size: 128
    .name:           _ZN9rocsparseL41csrgemm_numeric_fill_block_per_row_kernelILj128ELj16ELj256ELj137ELj32EllfEEvT5_PKS1_S3_NS_24const_host_device_scalarIT6_EEPKT4_S3_PKS5_S9_S3_SB_S6_S9_S3_SB_S9_S3_PS5_21rocsparse_index_base_SD_SD_SD_bbb
    .private_segment_fixed_size: 0
    .sgpr_count:     45
    .sgpr_spill_count: 0
    .symbol:         _ZN9rocsparseL41csrgemm_numeric_fill_block_per_row_kernelILj128ELj16ELj256ELj137ELj32EllfEEvT5_PKS1_S3_NS_24const_host_device_scalarIT6_EEPKT4_S3_PKS5_S9_S3_SB_S6_S9_S3_SB_S9_S3_PS5_21rocsparse_index_base_SD_SD_SD_bbb.kd
    .uniform_work_group_size: 1
    .uses_dynamic_stack: false
    .vgpr_count:     23
    .vgpr_spill_count: 0
    .wavefront_size: 32
    .workgroup_processor_mode: 1
  - .args:
      - .offset:         0
        .size:           8
        .value_kind:     by_value
      - .actual_access:  read_only
        .address_space:  global
        .offset:         8
        .size:           8
        .value_kind:     global_buffer
      - .actual_access:  read_only
        .address_space:  global
        .offset:         16
        .size:           8
        .value_kind:     global_buffer
      - .offset:         24
        .size:           8
        .value_kind:     by_value
      - .actual_access:  read_only
        .address_space:  global
        .offset:         32
        .size:           8
        .value_kind:     global_buffer
      - .actual_access:  read_only
        .address_space:  global
        .offset:         40
        .size:           8
        .value_kind:     global_buffer
      - .actual_access:  read_only
        .address_space:  global
        .offset:         48
        .size:           8
        .value_kind:     global_buffer
      - .actual_access:  read_only
        .address_space:  global
        .offset:         56
        .size:           8
        .value_kind:     global_buffer
      - .actual_access:  read_only
        .address_space:  global
        .offset:         64
        .size:           8
        .value_kind:     global_buffer
      - .actual_access:  read_only
        .address_space:  global
        .offset:         72
        .size:           8
        .value_kind:     global_buffer
      - .offset:         80
        .size:           8
        .value_kind:     by_value
      - .actual_access:  read_only
        .address_space:  global
        .offset:         88
        .size:           8
        .value_kind:     global_buffer
      - .actual_access:  read_only
        .address_space:  global
        .offset:         96
        .size:           8
        .value_kind:     global_buffer
      - .actual_access:  read_only
        .address_space:  global
        .offset:         104
        .size:           8
        .value_kind:     global_buffer
      - .actual_access:  read_only
        .address_space:  global
        .offset:         112
        .size:           8
        .value_kind:     global_buffer
      - .actual_access:  read_only
        .address_space:  global
        .offset:         120
        .size:           8
        .value_kind:     global_buffer
      - .actual_access:  write_only
        .address_space:  global
        .offset:         128
        .size:           8
        .value_kind:     global_buffer
      - .offset:         136
        .size:           4
        .value_kind:     by_value
      - .offset:         140
        .size:           4
        .value_kind:     by_value
      - .offset:         144
        .size:           4
        .value_kind:     by_value
      - .offset:         148
        .size:           4
        .value_kind:     by_value
      - .offset:         152
        .size:           1
        .value_kind:     by_value
      - .offset:         153
        .size:           1
        .value_kind:     by_value
      - .offset:         154
        .size:           1
        .value_kind:     by_value
    .group_segment_fixed_size: 0
    .kernarg_segment_align: 8
    .kernarg_segment_size: 156
    .language:       OpenCL C
    .language_version:
      - 2
      - 0
    .max_flat_workgroup_size: 128
    .name:           _ZN9rocsparseL41csrgemm_numeric_fill_block_per_row_kernelILj128ELj16ELj256ELj137ELj64EllfEEvT5_PKS1_S3_NS_24const_host_device_scalarIT6_EEPKT4_S3_PKS5_S9_S3_SB_S6_S9_S3_SB_S9_S3_PS5_21rocsparse_index_base_SD_SD_SD_bbb
    .private_segment_fixed_size: 0
    .sgpr_count:     45
    .sgpr_spill_count: 0
    .symbol:         _ZN9rocsparseL41csrgemm_numeric_fill_block_per_row_kernelILj128ELj16ELj256ELj137ELj64EllfEEvT5_PKS1_S3_NS_24const_host_device_scalarIT6_EEPKT4_S3_PKS5_S9_S3_SB_S6_S9_S3_SB_S9_S3_PS5_21rocsparse_index_base_SD_SD_SD_bbb.kd
    .uniform_work_group_size: 1
    .uses_dynamic_stack: false
    .vgpr_count:     23
    .vgpr_spill_count: 0
    .wavefront_size: 32
    .workgroup_processor_mode: 1
  - .args:
      - .offset:         0
        .size:           8
        .value_kind:     by_value
      - .actual_access:  read_only
        .address_space:  global
        .offset:         8
        .size:           8
        .value_kind:     global_buffer
      - .actual_access:  read_only
        .address_space:  global
        .offset:         16
        .size:           8
        .value_kind:     global_buffer
      - .offset:         24
        .size:           8
        .value_kind:     by_value
      - .actual_access:  read_only
        .address_space:  global
        .offset:         32
        .size:           8
        .value_kind:     global_buffer
      - .actual_access:  read_only
        .address_space:  global
        .offset:         40
        .size:           8
        .value_kind:     global_buffer
      - .actual_access:  read_only
        .address_space:  global
        .offset:         48
        .size:           8
        .value_kind:     global_buffer
      - .actual_access:  read_only
        .address_space:  global
        .offset:         56
        .size:           8
        .value_kind:     global_buffer
      - .actual_access:  read_only
        .address_space:  global
        .offset:         64
        .size:           8
        .value_kind:     global_buffer
      - .actual_access:  read_only
        .address_space:  global
        .offset:         72
        .size:           8
        .value_kind:     global_buffer
      - .offset:         80
        .size:           8
        .value_kind:     by_value
      - .actual_access:  read_only
        .address_space:  global
        .offset:         88
        .size:           8
        .value_kind:     global_buffer
      - .actual_access:  read_only
        .address_space:  global
        .offset:         96
        .size:           8
        .value_kind:     global_buffer
      - .actual_access:  read_only
        .address_space:  global
        .offset:         104
        .size:           8
        .value_kind:     global_buffer
      - .actual_access:  read_only
        .address_space:  global
        .offset:         112
        .size:           8
        .value_kind:     global_buffer
      - .actual_access:  read_only
        .address_space:  global
        .offset:         120
        .size:           8
        .value_kind:     global_buffer
      - .actual_access:  write_only
        .address_space:  global
        .offset:         128
        .size:           8
        .value_kind:     global_buffer
      - .offset:         136
        .size:           4
        .value_kind:     by_value
      - .offset:         140
        .size:           4
        .value_kind:     by_value
      - .offset:         144
        .size:           4
        .value_kind:     by_value
      - .offset:         148
        .size:           4
        .value_kind:     by_value
      - .offset:         152
        .size:           1
        .value_kind:     by_value
      - .offset:         153
        .size:           1
        .value_kind:     by_value
      - .offset:         154
        .size:           1
        .value_kind:     by_value
    .group_segment_fixed_size: 0
    .kernarg_segment_align: 8
    .kernarg_segment_size: 156
    .language:       OpenCL C
    .language_version:
      - 2
      - 0
    .max_flat_workgroup_size: 256
    .name:           _ZN9rocsparseL41csrgemm_numeric_fill_block_per_row_kernelILj256ELj32ELj512ELj137ELj32EllfEEvT5_PKS1_S3_NS_24const_host_device_scalarIT6_EEPKT4_S3_PKS5_S9_S3_SB_S6_S9_S3_SB_S9_S3_PS5_21rocsparse_index_base_SD_SD_SD_bbb
    .private_segment_fixed_size: 0
    .sgpr_count:     45
    .sgpr_spill_count: 0
    .symbol:         _ZN9rocsparseL41csrgemm_numeric_fill_block_per_row_kernelILj256ELj32ELj512ELj137ELj32EllfEEvT5_PKS1_S3_NS_24const_host_device_scalarIT6_EEPKT4_S3_PKS5_S9_S3_SB_S6_S9_S3_SB_S9_S3_PS5_21rocsparse_index_base_SD_SD_SD_bbb.kd
    .uniform_work_group_size: 1
    .uses_dynamic_stack: false
    .vgpr_count:     23
    .vgpr_spill_count: 0
    .wavefront_size: 32
    .workgroup_processor_mode: 1
  - .args:
      - .offset:         0
        .size:           8
        .value_kind:     by_value
      - .actual_access:  read_only
        .address_space:  global
        .offset:         8
        .size:           8
        .value_kind:     global_buffer
      - .actual_access:  read_only
        .address_space:  global
        .offset:         16
        .size:           8
        .value_kind:     global_buffer
      - .offset:         24
        .size:           8
        .value_kind:     by_value
      - .actual_access:  read_only
        .address_space:  global
        .offset:         32
        .size:           8
        .value_kind:     global_buffer
      - .actual_access:  read_only
        .address_space:  global
        .offset:         40
        .size:           8
        .value_kind:     global_buffer
      - .actual_access:  read_only
        .address_space:  global
        .offset:         48
        .size:           8
        .value_kind:     global_buffer
      - .actual_access:  read_only
        .address_space:  global
        .offset:         56
        .size:           8
        .value_kind:     global_buffer
      - .actual_access:  read_only
        .address_space:  global
        .offset:         64
        .size:           8
        .value_kind:     global_buffer
      - .actual_access:  read_only
        .address_space:  global
        .offset:         72
        .size:           8
        .value_kind:     global_buffer
      - .offset:         80
        .size:           8
        .value_kind:     by_value
      - .actual_access:  read_only
        .address_space:  global
        .offset:         88
        .size:           8
        .value_kind:     global_buffer
      - .actual_access:  read_only
        .address_space:  global
        .offset:         96
        .size:           8
        .value_kind:     global_buffer
      - .actual_access:  read_only
        .address_space:  global
        .offset:         104
        .size:           8
        .value_kind:     global_buffer
      - .actual_access:  read_only
        .address_space:  global
        .offset:         112
        .size:           8
        .value_kind:     global_buffer
      - .actual_access:  read_only
        .address_space:  global
        .offset:         120
        .size:           8
        .value_kind:     global_buffer
      - .actual_access:  write_only
        .address_space:  global
        .offset:         128
        .size:           8
        .value_kind:     global_buffer
      - .offset:         136
        .size:           4
        .value_kind:     by_value
      - .offset:         140
        .size:           4
        .value_kind:     by_value
      - .offset:         144
        .size:           4
        .value_kind:     by_value
      - .offset:         148
        .size:           4
        .value_kind:     by_value
      - .offset:         152
        .size:           1
        .value_kind:     by_value
      - .offset:         153
        .size:           1
        .value_kind:     by_value
      - .offset:         154
        .size:           1
        .value_kind:     by_value
    .group_segment_fixed_size: 0
    .kernarg_segment_align: 8
    .kernarg_segment_size: 156
    .language:       OpenCL C
    .language_version:
      - 2
      - 0
    .max_flat_workgroup_size: 256
    .name:           _ZN9rocsparseL41csrgemm_numeric_fill_block_per_row_kernelILj256ELj32ELj512ELj137ELj64EllfEEvT5_PKS1_S3_NS_24const_host_device_scalarIT6_EEPKT4_S3_PKS5_S9_S3_SB_S6_S9_S3_SB_S9_S3_PS5_21rocsparse_index_base_SD_SD_SD_bbb
    .private_segment_fixed_size: 0
    .sgpr_count:     45
    .sgpr_spill_count: 0
    .symbol:         _ZN9rocsparseL41csrgemm_numeric_fill_block_per_row_kernelILj256ELj32ELj512ELj137ELj64EllfEEvT5_PKS1_S3_NS_24const_host_device_scalarIT6_EEPKT4_S3_PKS5_S9_S3_SB_S6_S9_S3_SB_S9_S3_PS5_21rocsparse_index_base_SD_SD_SD_bbb.kd
    .uniform_work_group_size: 1
    .uses_dynamic_stack: false
    .vgpr_count:     23
    .vgpr_spill_count: 0
    .wavefront_size: 32
    .workgroup_processor_mode: 1
  - .args:
      - .offset:         0
        .size:           8
        .value_kind:     by_value
      - .actual_access:  read_only
        .address_space:  global
        .offset:         8
        .size:           8
        .value_kind:     global_buffer
      - .actual_access:  read_only
        .address_space:  global
        .offset:         16
        .size:           8
        .value_kind:     global_buffer
      - .offset:         24
        .size:           8
        .value_kind:     by_value
      - .actual_access:  read_only
        .address_space:  global
        .offset:         32
        .size:           8
        .value_kind:     global_buffer
      - .actual_access:  read_only
        .address_space:  global
        .offset:         40
        .size:           8
        .value_kind:     global_buffer
      - .actual_access:  read_only
        .address_space:  global
        .offset:         48
        .size:           8
        .value_kind:     global_buffer
      - .actual_access:  read_only
        .address_space:  global
        .offset:         56
        .size:           8
        .value_kind:     global_buffer
      - .actual_access:  read_only
        .address_space:  global
        .offset:         64
        .size:           8
        .value_kind:     global_buffer
      - .actual_access:  read_only
        .address_space:  global
        .offset:         72
        .size:           8
        .value_kind:     global_buffer
      - .offset:         80
        .size:           8
        .value_kind:     by_value
      - .actual_access:  read_only
        .address_space:  global
        .offset:         88
        .size:           8
        .value_kind:     global_buffer
      - .actual_access:  read_only
        .address_space:  global
        .offset:         96
        .size:           8
        .value_kind:     global_buffer
      - .actual_access:  read_only
        .address_space:  global
        .offset:         104
        .size:           8
        .value_kind:     global_buffer
      - .actual_access:  read_only
        .address_space:  global
        .offset:         112
        .size:           8
        .value_kind:     global_buffer
      - .actual_access:  read_only
        .address_space:  global
        .offset:         120
        .size:           8
        .value_kind:     global_buffer
      - .actual_access:  write_only
        .address_space:  global
        .offset:         128
        .size:           8
        .value_kind:     global_buffer
      - .offset:         136
        .size:           4
        .value_kind:     by_value
      - .offset:         140
        .size:           4
        .value_kind:     by_value
      - .offset:         144
        .size:           4
        .value_kind:     by_value
      - .offset:         148
        .size:           4
        .value_kind:     by_value
      - .offset:         152
        .size:           1
        .value_kind:     by_value
      - .offset:         153
        .size:           1
        .value_kind:     by_value
      - .offset:         154
        .size:           1
        .value_kind:     by_value
    .group_segment_fixed_size: 0
    .kernarg_segment_align: 8
    .kernarg_segment_size: 156
    .language:       OpenCL C
    .language_version:
      - 2
      - 0
    .max_flat_workgroup_size: 512
    .name:           _ZN9rocsparseL41csrgemm_numeric_fill_block_per_row_kernelILj512ELj32ELj1024ELj137ELj32EllfEEvT5_PKS1_S3_NS_24const_host_device_scalarIT6_EEPKT4_S3_PKS5_S9_S3_SB_S6_S9_S3_SB_S9_S3_PS5_21rocsparse_index_base_SD_SD_SD_bbb
    .private_segment_fixed_size: 0
    .sgpr_count:     44
    .sgpr_spill_count: 0
    .symbol:         _ZN9rocsparseL41csrgemm_numeric_fill_block_per_row_kernelILj512ELj32ELj1024ELj137ELj32EllfEEvT5_PKS1_S3_NS_24const_host_device_scalarIT6_EEPKT4_S3_PKS5_S9_S3_SB_S6_S9_S3_SB_S9_S3_PS5_21rocsparse_index_base_SD_SD_SD_bbb.kd
    .uniform_work_group_size: 1
    .uses_dynamic_stack: false
    .vgpr_count:     23
    .vgpr_spill_count: 0
    .wavefront_size: 32
    .workgroup_processor_mode: 1
  - .args:
      - .offset:         0
        .size:           8
        .value_kind:     by_value
      - .actual_access:  read_only
        .address_space:  global
        .offset:         8
        .size:           8
        .value_kind:     global_buffer
      - .actual_access:  read_only
        .address_space:  global
        .offset:         16
        .size:           8
        .value_kind:     global_buffer
      - .offset:         24
        .size:           8
        .value_kind:     by_value
      - .actual_access:  read_only
        .address_space:  global
        .offset:         32
        .size:           8
        .value_kind:     global_buffer
      - .actual_access:  read_only
        .address_space:  global
        .offset:         40
        .size:           8
        .value_kind:     global_buffer
      - .actual_access:  read_only
        .address_space:  global
        .offset:         48
        .size:           8
        .value_kind:     global_buffer
      - .actual_access:  read_only
        .address_space:  global
        .offset:         56
        .size:           8
        .value_kind:     global_buffer
      - .actual_access:  read_only
        .address_space:  global
        .offset:         64
        .size:           8
        .value_kind:     global_buffer
      - .actual_access:  read_only
        .address_space:  global
        .offset:         72
        .size:           8
        .value_kind:     global_buffer
      - .offset:         80
        .size:           8
        .value_kind:     by_value
      - .actual_access:  read_only
        .address_space:  global
        .offset:         88
        .size:           8
        .value_kind:     global_buffer
      - .actual_access:  read_only
        .address_space:  global
        .offset:         96
        .size:           8
        .value_kind:     global_buffer
      - .actual_access:  read_only
        .address_space:  global
        .offset:         104
        .size:           8
        .value_kind:     global_buffer
      - .actual_access:  read_only
        .address_space:  global
        .offset:         112
        .size:           8
        .value_kind:     global_buffer
      - .actual_access:  read_only
        .address_space:  global
        .offset:         120
        .size:           8
        .value_kind:     global_buffer
      - .actual_access:  write_only
        .address_space:  global
        .offset:         128
        .size:           8
        .value_kind:     global_buffer
      - .offset:         136
        .size:           4
        .value_kind:     by_value
      - .offset:         140
        .size:           4
        .value_kind:     by_value
      - .offset:         144
        .size:           4
        .value_kind:     by_value
      - .offset:         148
        .size:           4
        .value_kind:     by_value
      - .offset:         152
        .size:           1
        .value_kind:     by_value
      - .offset:         153
        .size:           1
        .value_kind:     by_value
      - .offset:         154
        .size:           1
        .value_kind:     by_value
    .group_segment_fixed_size: 0
    .kernarg_segment_align: 8
    .kernarg_segment_size: 156
    .language:       OpenCL C
    .language_version:
      - 2
      - 0
    .max_flat_workgroup_size: 512
    .name:           _ZN9rocsparseL41csrgemm_numeric_fill_block_per_row_kernelILj512ELj32ELj1024ELj137ELj64EllfEEvT5_PKS1_S3_NS_24const_host_device_scalarIT6_EEPKT4_S3_PKS5_S9_S3_SB_S6_S9_S3_SB_S9_S3_PS5_21rocsparse_index_base_SD_SD_SD_bbb
    .private_segment_fixed_size: 0
    .sgpr_count:     44
    .sgpr_spill_count: 0
    .symbol:         _ZN9rocsparseL41csrgemm_numeric_fill_block_per_row_kernelILj512ELj32ELj1024ELj137ELj64EllfEEvT5_PKS1_S3_NS_24const_host_device_scalarIT6_EEPKT4_S3_PKS5_S9_S3_SB_S6_S9_S3_SB_S9_S3_PS5_21rocsparse_index_base_SD_SD_SD_bbb.kd
    .uniform_work_group_size: 1
    .uses_dynamic_stack: false
    .vgpr_count:     23
    .vgpr_spill_count: 0
    .wavefront_size: 32
    .workgroup_processor_mode: 1
  - .args:
      - .offset:         0
        .size:           8
        .value_kind:     by_value
      - .actual_access:  read_only
        .address_space:  global
        .offset:         8
        .size:           8
        .value_kind:     global_buffer
      - .actual_access:  read_only
        .address_space:  global
        .offset:         16
        .size:           8
        .value_kind:     global_buffer
      - .offset:         24
        .size:           8
        .value_kind:     by_value
      - .actual_access:  read_only
        .address_space:  global
        .offset:         32
        .size:           8
        .value_kind:     global_buffer
      - .actual_access:  read_only
        .address_space:  global
        .offset:         40
        .size:           8
        .value_kind:     global_buffer
      - .actual_access:  read_only
        .address_space:  global
        .offset:         48
        .size:           8
        .value_kind:     global_buffer
      - .actual_access:  read_only
        .address_space:  global
        .offset:         56
        .size:           8
        .value_kind:     global_buffer
      - .actual_access:  read_only
        .address_space:  global
        .offset:         64
        .size:           8
        .value_kind:     global_buffer
      - .actual_access:  read_only
        .address_space:  global
        .offset:         72
        .size:           8
        .value_kind:     global_buffer
      - .offset:         80
        .size:           8
        .value_kind:     by_value
      - .actual_access:  read_only
        .address_space:  global
        .offset:         88
        .size:           8
        .value_kind:     global_buffer
      - .actual_access:  read_only
        .address_space:  global
        .offset:         96
        .size:           8
        .value_kind:     global_buffer
      - .actual_access:  read_only
        .address_space:  global
        .offset:         104
        .size:           8
        .value_kind:     global_buffer
      - .actual_access:  read_only
        .address_space:  global
        .offset:         112
        .size:           8
        .value_kind:     global_buffer
      - .actual_access:  read_only
        .address_space:  global
        .offset:         120
        .size:           8
        .value_kind:     global_buffer
      - .actual_access:  write_only
        .address_space:  global
        .offset:         128
        .size:           8
        .value_kind:     global_buffer
      - .offset:         136
        .size:           4
        .value_kind:     by_value
      - .offset:         140
        .size:           4
        .value_kind:     by_value
      - .offset:         144
        .size:           4
        .value_kind:     by_value
      - .offset:         148
        .size:           4
        .value_kind:     by_value
      - .offset:         152
        .size:           1
        .value_kind:     by_value
      - .offset:         153
        .size:           1
        .value_kind:     by_value
      - .offset:         154
        .size:           1
        .value_kind:     by_value
    .group_segment_fixed_size: 0
    .kernarg_segment_align: 8
    .kernarg_segment_size: 156
    .language:       OpenCL C
    .language_version:
      - 2
      - 0
    .max_flat_workgroup_size: 1024
    .name:           _ZN9rocsparseL41csrgemm_numeric_fill_block_per_row_kernelILj1024ELj32ELj2048ELj137ELj32EllfEEvT5_PKS1_S3_NS_24const_host_device_scalarIT6_EEPKT4_S3_PKS5_S9_S3_SB_S6_S9_S3_SB_S9_S3_PS5_21rocsparse_index_base_SD_SD_SD_bbb
    .private_segment_fixed_size: 0
    .sgpr_count:     54
    .sgpr_spill_count: 0
    .symbol:         _ZN9rocsparseL41csrgemm_numeric_fill_block_per_row_kernelILj1024ELj32ELj2048ELj137ELj32EllfEEvT5_PKS1_S3_NS_24const_host_device_scalarIT6_EEPKT4_S3_PKS5_S9_S3_SB_S6_S9_S3_SB_S9_S3_PS5_21rocsparse_index_base_SD_SD_SD_bbb.kd
    .uniform_work_group_size: 1
    .uses_dynamic_stack: false
    .vgpr_count:     23
    .vgpr_spill_count: 0
    .wavefront_size: 32
    .workgroup_processor_mode: 1
  - .args:
      - .offset:         0
        .size:           8
        .value_kind:     by_value
      - .actual_access:  read_only
        .address_space:  global
        .offset:         8
        .size:           8
        .value_kind:     global_buffer
      - .actual_access:  read_only
        .address_space:  global
        .offset:         16
        .size:           8
        .value_kind:     global_buffer
      - .offset:         24
        .size:           8
        .value_kind:     by_value
      - .actual_access:  read_only
        .address_space:  global
        .offset:         32
        .size:           8
        .value_kind:     global_buffer
      - .actual_access:  read_only
        .address_space:  global
        .offset:         40
        .size:           8
        .value_kind:     global_buffer
      - .actual_access:  read_only
        .address_space:  global
        .offset:         48
        .size:           8
        .value_kind:     global_buffer
      - .actual_access:  read_only
        .address_space:  global
        .offset:         56
        .size:           8
        .value_kind:     global_buffer
      - .actual_access:  read_only
        .address_space:  global
        .offset:         64
        .size:           8
        .value_kind:     global_buffer
      - .actual_access:  read_only
        .address_space:  global
        .offset:         72
        .size:           8
        .value_kind:     global_buffer
      - .offset:         80
        .size:           8
        .value_kind:     by_value
      - .actual_access:  read_only
        .address_space:  global
        .offset:         88
        .size:           8
        .value_kind:     global_buffer
      - .actual_access:  read_only
        .address_space:  global
        .offset:         96
        .size:           8
        .value_kind:     global_buffer
      - .actual_access:  read_only
        .address_space:  global
        .offset:         104
        .size:           8
        .value_kind:     global_buffer
      - .actual_access:  read_only
        .address_space:  global
        .offset:         112
        .size:           8
        .value_kind:     global_buffer
      - .actual_access:  read_only
        .address_space:  global
        .offset:         120
        .size:           8
        .value_kind:     global_buffer
      - .actual_access:  write_only
        .address_space:  global
        .offset:         128
        .size:           8
        .value_kind:     global_buffer
      - .offset:         136
        .size:           4
        .value_kind:     by_value
      - .offset:         140
        .size:           4
        .value_kind:     by_value
      - .offset:         144
        .size:           4
        .value_kind:     by_value
      - .offset:         148
        .size:           4
        .value_kind:     by_value
      - .offset:         152
        .size:           1
        .value_kind:     by_value
      - .offset:         153
        .size:           1
        .value_kind:     by_value
      - .offset:         154
        .size:           1
        .value_kind:     by_value
    .group_segment_fixed_size: 0
    .kernarg_segment_align: 8
    .kernarg_segment_size: 156
    .language:       OpenCL C
    .language_version:
      - 2
      - 0
    .max_flat_workgroup_size: 1024
    .name:           _ZN9rocsparseL41csrgemm_numeric_fill_block_per_row_kernelILj1024ELj32ELj2048ELj137ELj64EllfEEvT5_PKS1_S3_NS_24const_host_device_scalarIT6_EEPKT4_S3_PKS5_S9_S3_SB_S6_S9_S3_SB_S9_S3_PS5_21rocsparse_index_base_SD_SD_SD_bbb
    .private_segment_fixed_size: 0
    .sgpr_count:     44
    .sgpr_spill_count: 0
    .symbol:         _ZN9rocsparseL41csrgemm_numeric_fill_block_per_row_kernelILj1024ELj32ELj2048ELj137ELj64EllfEEvT5_PKS1_S3_NS_24const_host_device_scalarIT6_EEPKT4_S3_PKS5_S9_S3_SB_S6_S9_S3_SB_S9_S3_PS5_21rocsparse_index_base_SD_SD_SD_bbb.kd
    .uniform_work_group_size: 1
    .uses_dynamic_stack: false
    .vgpr_count:     23
    .vgpr_spill_count: 0
    .wavefront_size: 32
    .workgroup_processor_mode: 1
  - .args:
      - .offset:         0
        .size:           8
        .value_kind:     by_value
      - .actual_access:  read_only
        .address_space:  global
        .offset:         8
        .size:           8
        .value_kind:     global_buffer
      - .actual_access:  read_only
        .address_space:  global
        .offset:         16
        .size:           8
        .value_kind:     global_buffer
      - .offset:         24
        .size:           8
        .value_kind:     by_value
      - .actual_access:  read_only
        .address_space:  global
        .offset:         32
        .size:           8
        .value_kind:     global_buffer
      - .actual_access:  read_only
        .address_space:  global
        .offset:         40
        .size:           8
        .value_kind:     global_buffer
      - .actual_access:  read_only
        .address_space:  global
        .offset:         48
        .size:           8
        .value_kind:     global_buffer
      - .actual_access:  read_only
        .address_space:  global
        .offset:         56
        .size:           8
        .value_kind:     global_buffer
      - .actual_access:  read_only
        .address_space:  global
        .offset:         64
        .size:           8
        .value_kind:     global_buffer
      - .actual_access:  read_only
        .address_space:  global
        .offset:         72
        .size:           8
        .value_kind:     global_buffer
      - .offset:         80
        .size:           8
        .value_kind:     by_value
      - .actual_access:  read_only
        .address_space:  global
        .offset:         88
        .size:           8
        .value_kind:     global_buffer
      - .actual_access:  read_only
        .address_space:  global
        .offset:         96
        .size:           8
        .value_kind:     global_buffer
      - .actual_access:  read_only
        .address_space:  global
        .offset:         104
        .size:           8
        .value_kind:     global_buffer
      - .actual_access:  read_only
        .address_space:  global
        .offset:         112
        .size:           8
        .value_kind:     global_buffer
      - .actual_access:  read_only
        .address_space:  global
        .offset:         120
        .size:           8
        .value_kind:     global_buffer
      - .actual_access:  write_only
        .address_space:  global
        .offset:         128
        .size:           8
        .value_kind:     global_buffer
      - .offset:         136
        .size:           4
        .value_kind:     by_value
      - .offset:         140
        .size:           4
        .value_kind:     by_value
      - .offset:         144
        .size:           4
        .value_kind:     by_value
      - .offset:         148
        .size:           4
        .value_kind:     by_value
      - .offset:         152
        .size:           1
        .value_kind:     by_value
      - .offset:         153
        .size:           1
        .value_kind:     by_value
      - .offset:         154
        .size:           1
        .value_kind:     by_value
    .group_segment_fixed_size: 0
    .kernarg_segment_align: 8
    .kernarg_segment_size: 156
    .language:       OpenCL C
    .language_version:
      - 2
      - 0
    .max_flat_workgroup_size: 1024
    .name:           _ZN9rocsparseL41csrgemm_numeric_fill_block_per_row_kernelILj1024ELj64ELj4096ELj137ELj32EllfEEvT5_PKS1_S3_NS_24const_host_device_scalarIT6_EEPKT4_S3_PKS5_S9_S3_SB_S6_S9_S3_SB_S9_S3_PS5_21rocsparse_index_base_SD_SD_SD_bbb
    .private_segment_fixed_size: 0
    .sgpr_count:     54
    .sgpr_spill_count: 0
    .symbol:         _ZN9rocsparseL41csrgemm_numeric_fill_block_per_row_kernelILj1024ELj64ELj4096ELj137ELj32EllfEEvT5_PKS1_S3_NS_24const_host_device_scalarIT6_EEPKT4_S3_PKS5_S9_S3_SB_S6_S9_S3_SB_S9_S3_PS5_21rocsparse_index_base_SD_SD_SD_bbb.kd
    .uniform_work_group_size: 1
    .uses_dynamic_stack: false
    .vgpr_count:     23
    .vgpr_spill_count: 0
    .wavefront_size: 32
    .workgroup_processor_mode: 1
  - .args:
      - .offset:         0
        .size:           8
        .value_kind:     by_value
      - .actual_access:  read_only
        .address_space:  global
        .offset:         8
        .size:           8
        .value_kind:     global_buffer
      - .actual_access:  read_only
        .address_space:  global
        .offset:         16
        .size:           8
        .value_kind:     global_buffer
      - .offset:         24
        .size:           8
        .value_kind:     by_value
      - .actual_access:  read_only
        .address_space:  global
        .offset:         32
        .size:           8
        .value_kind:     global_buffer
      - .actual_access:  read_only
        .address_space:  global
        .offset:         40
        .size:           8
        .value_kind:     global_buffer
      - .actual_access:  read_only
        .address_space:  global
        .offset:         48
        .size:           8
        .value_kind:     global_buffer
      - .actual_access:  read_only
        .address_space:  global
        .offset:         56
        .size:           8
        .value_kind:     global_buffer
      - .actual_access:  read_only
        .address_space:  global
        .offset:         64
        .size:           8
        .value_kind:     global_buffer
      - .actual_access:  read_only
        .address_space:  global
        .offset:         72
        .size:           8
        .value_kind:     global_buffer
      - .offset:         80
        .size:           8
        .value_kind:     by_value
      - .actual_access:  read_only
        .address_space:  global
        .offset:         88
        .size:           8
        .value_kind:     global_buffer
      - .actual_access:  read_only
        .address_space:  global
        .offset:         96
        .size:           8
        .value_kind:     global_buffer
      - .actual_access:  read_only
        .address_space:  global
        .offset:         104
        .size:           8
        .value_kind:     global_buffer
      - .actual_access:  read_only
        .address_space:  global
        .offset:         112
        .size:           8
        .value_kind:     global_buffer
      - .actual_access:  read_only
        .address_space:  global
        .offset:         120
        .size:           8
        .value_kind:     global_buffer
      - .actual_access:  write_only
        .address_space:  global
        .offset:         128
        .size:           8
        .value_kind:     global_buffer
      - .offset:         136
        .size:           4
        .value_kind:     by_value
      - .offset:         140
        .size:           4
        .value_kind:     by_value
      - .offset:         144
        .size:           4
        .value_kind:     by_value
      - .offset:         148
        .size:           4
        .value_kind:     by_value
      - .offset:         152
        .size:           1
        .value_kind:     by_value
      - .offset:         153
        .size:           1
        .value_kind:     by_value
      - .offset:         154
        .size:           1
        .value_kind:     by_value
    .group_segment_fixed_size: 0
    .kernarg_segment_align: 8
    .kernarg_segment_size: 156
    .language:       OpenCL C
    .language_version:
      - 2
      - 0
    .max_flat_workgroup_size: 1024
    .name:           _ZN9rocsparseL41csrgemm_numeric_fill_block_per_row_kernelILj1024ELj64ELj4096ELj137ELj64EllfEEvT5_PKS1_S3_NS_24const_host_device_scalarIT6_EEPKT4_S3_PKS5_S9_S3_SB_S6_S9_S3_SB_S9_S3_PS5_21rocsparse_index_base_SD_SD_SD_bbb
    .private_segment_fixed_size: 0
    .sgpr_count:     44
    .sgpr_spill_count: 0
    .symbol:         _ZN9rocsparseL41csrgemm_numeric_fill_block_per_row_kernelILj1024ELj64ELj4096ELj137ELj64EllfEEvT5_PKS1_S3_NS_24const_host_device_scalarIT6_EEPKT4_S3_PKS5_S9_S3_SB_S6_S9_S3_SB_S9_S3_PS5_21rocsparse_index_base_SD_SD_SD_bbb.kd
    .uniform_work_group_size: 1
    .uses_dynamic_stack: false
    .vgpr_count:     23
    .vgpr_spill_count: 0
    .wavefront_size: 32
    .workgroup_processor_mode: 1
  - .args:
      - .offset:         0
        .size:           8
        .value_kind:     by_value
      - .actual_access:  read_only
        .address_space:  global
        .offset:         8
        .size:           8
        .value_kind:     global_buffer
      - .actual_access:  read_only
        .address_space:  global
        .offset:         16
        .size:           8
        .value_kind:     global_buffer
      - .offset:         24
        .size:           8
        .value_kind:     by_value
      - .actual_access:  read_only
        .address_space:  global
        .offset:         32
        .size:           8
        .value_kind:     global_buffer
      - .actual_access:  read_only
        .address_space:  global
        .offset:         40
        .size:           8
        .value_kind:     global_buffer
      - .actual_access:  read_only
        .address_space:  global
        .offset:         48
        .size:           8
        .value_kind:     global_buffer
      - .actual_access:  read_only
        .address_space:  global
        .offset:         56
        .size:           8
        .value_kind:     global_buffer
      - .actual_access:  read_only
        .address_space:  global
        .offset:         64
        .size:           8
        .value_kind:     global_buffer
      - .actual_access:  read_only
        .address_space:  global
        .offset:         72
        .size:           8
        .value_kind:     global_buffer
      - .offset:         80
        .size:           8
        .value_kind:     by_value
      - .actual_access:  read_only
        .address_space:  global
        .offset:         88
        .size:           8
        .value_kind:     global_buffer
      - .actual_access:  read_only
        .address_space:  global
        .offset:         96
        .size:           8
        .value_kind:     global_buffer
      - .actual_access:  read_only
        .address_space:  global
        .offset:         104
        .size:           8
        .value_kind:     global_buffer
      - .actual_access:  read_only
        .address_space:  global
        .offset:         112
        .size:           8
        .value_kind:     global_buffer
      - .actual_access:  read_only
        .address_space:  global
        .offset:         120
        .size:           8
        .value_kind:     global_buffer
      - .actual_access:  write_only
        .address_space:  global
        .offset:         128
        .size:           8
        .value_kind:     global_buffer
      - .offset:         136
        .size:           4
        .value_kind:     by_value
      - .offset:         140
        .size:           4
        .value_kind:     by_value
      - .offset:         144
        .size:           4
        .value_kind:     by_value
      - .offset:         148
        .size:           4
        .value_kind:     by_value
      - .offset:         152
        .size:           1
        .value_kind:     by_value
      - .offset:         153
        .size:           1
        .value_kind:     by_value
      - .offset:         154
        .size:           1
        .value_kind:     by_value
    .group_segment_fixed_size: 0
    .kernarg_segment_align: 8
    .kernarg_segment_size: 156
    .language:       OpenCL C
    .language_version:
      - 2
      - 0
    .max_flat_workgroup_size: 1024
    .name:           _ZN9rocsparseL41csrgemm_numeric_fill_block_per_row_kernelILj1024ELj64ELj8192ELj137ELj32EllfEEvT5_PKS1_S3_NS_24const_host_device_scalarIT6_EEPKT4_S3_PKS5_S9_S3_SB_S6_S9_S3_SB_S9_S3_PS5_21rocsparse_index_base_SD_SD_SD_bbb
    .private_segment_fixed_size: 0
    .sgpr_count:     78
    .sgpr_spill_count: 0
    .symbol:         _ZN9rocsparseL41csrgemm_numeric_fill_block_per_row_kernelILj1024ELj64ELj8192ELj137ELj32EllfEEvT5_PKS1_S3_NS_24const_host_device_scalarIT6_EEPKT4_S3_PKS5_S9_S3_SB_S6_S9_S3_SB_S9_S3_PS5_21rocsparse_index_base_SD_SD_SD_bbb.kd
    .uniform_work_group_size: 1
    .uses_dynamic_stack: false
    .vgpr_count:     23
    .vgpr_spill_count: 0
    .wavefront_size: 32
    .workgroup_processor_mode: 1
  - .args:
      - .offset:         0
        .size:           8
        .value_kind:     by_value
      - .actual_access:  read_only
        .address_space:  global
        .offset:         8
        .size:           8
        .value_kind:     global_buffer
      - .actual_access:  read_only
        .address_space:  global
        .offset:         16
        .size:           8
        .value_kind:     global_buffer
      - .offset:         24
        .size:           8
        .value_kind:     by_value
      - .actual_access:  read_only
        .address_space:  global
        .offset:         32
        .size:           8
        .value_kind:     global_buffer
      - .actual_access:  read_only
        .address_space:  global
        .offset:         40
        .size:           8
        .value_kind:     global_buffer
      - .actual_access:  read_only
        .address_space:  global
        .offset:         48
        .size:           8
        .value_kind:     global_buffer
      - .actual_access:  read_only
        .address_space:  global
        .offset:         56
        .size:           8
        .value_kind:     global_buffer
      - .actual_access:  read_only
        .address_space:  global
        .offset:         64
        .size:           8
        .value_kind:     global_buffer
      - .actual_access:  read_only
        .address_space:  global
        .offset:         72
        .size:           8
        .value_kind:     global_buffer
      - .offset:         80
        .size:           8
        .value_kind:     by_value
      - .actual_access:  read_only
        .address_space:  global
        .offset:         88
        .size:           8
        .value_kind:     global_buffer
      - .actual_access:  read_only
        .address_space:  global
        .offset:         96
        .size:           8
        .value_kind:     global_buffer
      - .actual_access:  read_only
        .address_space:  global
        .offset:         104
        .size:           8
        .value_kind:     global_buffer
      - .actual_access:  read_only
        .address_space:  global
        .offset:         112
        .size:           8
        .value_kind:     global_buffer
      - .actual_access:  read_only
        .address_space:  global
        .offset:         120
        .size:           8
        .value_kind:     global_buffer
      - .actual_access:  write_only
        .address_space:  global
        .offset:         128
        .size:           8
        .value_kind:     global_buffer
      - .offset:         136
        .size:           4
        .value_kind:     by_value
      - .offset:         140
        .size:           4
        .value_kind:     by_value
      - .offset:         144
        .size:           4
        .value_kind:     by_value
      - .offset:         148
        .size:           4
        .value_kind:     by_value
      - .offset:         152
        .size:           1
        .value_kind:     by_value
      - .offset:         153
        .size:           1
        .value_kind:     by_value
      - .offset:         154
        .size:           1
        .value_kind:     by_value
    .group_segment_fixed_size: 0
    .kernarg_segment_align: 8
    .kernarg_segment_size: 156
    .language:       OpenCL C
    .language_version:
      - 2
      - 0
    .max_flat_workgroup_size: 1024
    .name:           _ZN9rocsparseL41csrgemm_numeric_fill_block_per_row_kernelILj1024ELj64ELj8192ELj137ELj64EllfEEvT5_PKS1_S3_NS_24const_host_device_scalarIT6_EEPKT4_S3_PKS5_S9_S3_SB_S6_S9_S3_SB_S9_S3_PS5_21rocsparse_index_base_SD_SD_SD_bbb
    .private_segment_fixed_size: 0
    .sgpr_count:     46
    .sgpr_spill_count: 0
    .symbol:         _ZN9rocsparseL41csrgemm_numeric_fill_block_per_row_kernelILj1024ELj64ELj8192ELj137ELj64EllfEEvT5_PKS1_S3_NS_24const_host_device_scalarIT6_EEPKT4_S3_PKS5_S9_S3_SB_S6_S9_S3_SB_S9_S3_PS5_21rocsparse_index_base_SD_SD_SD_bbb.kd
    .uniform_work_group_size: 1
    .uses_dynamic_stack: false
    .vgpr_count:     23
    .vgpr_spill_count: 0
    .wavefront_size: 32
    .workgroup_processor_mode: 1
  - .args:
      - .offset:         0
        .size:           8
        .value_kind:     by_value
      - .actual_access:  read_only
        .address_space:  global
        .offset:         8
        .size:           8
        .value_kind:     global_buffer
      - .actual_access:  read_only
        .address_space:  global
        .offset:         16
        .size:           8
        .value_kind:     global_buffer
      - .offset:         24
        .size:           8
        .value_kind:     by_value
      - .actual_access:  read_only
        .address_space:  global
        .offset:         32
        .size:           8
        .value_kind:     global_buffer
      - .actual_access:  read_only
        .address_space:  global
        .offset:         40
        .size:           8
        .value_kind:     global_buffer
      - .actual_access:  read_only
        .address_space:  global
        .offset:         48
        .size:           8
        .value_kind:     global_buffer
      - .actual_access:  read_only
        .address_space:  global
        .offset:         56
        .size:           8
        .value_kind:     global_buffer
      - .actual_access:  read_only
        .address_space:  global
        .offset:         64
        .size:           8
        .value_kind:     global_buffer
      - .actual_access:  read_only
        .address_space:  global
        .offset:         72
        .size:           8
        .value_kind:     global_buffer
      - .offset:         80
        .size:           8
        .value_kind:     by_value
      - .actual_access:  read_only
        .address_space:  global
        .offset:         88
        .size:           8
        .value_kind:     global_buffer
      - .actual_access:  read_only
        .address_space:  global
        .offset:         96
        .size:           8
        .value_kind:     global_buffer
      - .actual_access:  read_only
        .address_space:  global
        .offset:         104
        .size:           8
        .value_kind:     global_buffer
      - .actual_access:  read_only
        .address_space:  global
        .offset:         112
        .size:           8
        .value_kind:     global_buffer
      - .actual_access:  read_only
        .address_space:  global
        .offset:         120
        .size:           8
        .value_kind:     global_buffer
      - .actual_access:  write_only
        .address_space:  global
        .offset:         128
        .size:           8
        .value_kind:     global_buffer
      - .offset:         136
        .size:           4
        .value_kind:     by_value
      - .offset:         140
        .size:           4
        .value_kind:     by_value
      - .offset:         144
        .size:           4
        .value_kind:     by_value
      - .offset:         148
        .size:           4
        .value_kind:     by_value
      - .offset:         152
        .size:           1
        .value_kind:     by_value
      - .offset:         153
        .size:           1
        .value_kind:     by_value
      - .offset:         154
        .size:           1
        .value_kind:     by_value
    .group_segment_fixed_size: 0
    .kernarg_segment_align: 8
    .kernarg_segment_size: 156
    .language:       OpenCL C
    .language_version:
      - 2
      - 0
    .max_flat_workgroup_size: 1024
    .name:           _ZN9rocsparseL41csrgemm_numeric_fill_block_per_row_kernelILj1024ELj64ELj16384ELj137ELj32EllfEEvT5_PKS1_S3_NS_24const_host_device_scalarIT6_EEPKT4_S3_PKS5_S9_S3_SB_S6_S9_S3_SB_S9_S3_PS5_21rocsparse_index_base_SD_SD_SD_bbb
    .private_segment_fixed_size: 0
    .sgpr_count:     78
    .sgpr_spill_count: 0
    .symbol:         _ZN9rocsparseL41csrgemm_numeric_fill_block_per_row_kernelILj1024ELj64ELj16384ELj137ELj32EllfEEvT5_PKS1_S3_NS_24const_host_device_scalarIT6_EEPKT4_S3_PKS5_S9_S3_SB_S6_S9_S3_SB_S9_S3_PS5_21rocsparse_index_base_SD_SD_SD_bbb.kd
    .uniform_work_group_size: 1
    .uses_dynamic_stack: false
    .vgpr_count:     23
    .vgpr_spill_count: 0
    .wavefront_size: 32
    .workgroup_processor_mode: 1
  - .args:
      - .offset:         0
        .size:           8
        .value_kind:     by_value
      - .actual_access:  read_only
        .address_space:  global
        .offset:         8
        .size:           8
        .value_kind:     global_buffer
      - .actual_access:  read_only
        .address_space:  global
        .offset:         16
        .size:           8
        .value_kind:     global_buffer
      - .offset:         24
        .size:           8
        .value_kind:     by_value
      - .actual_access:  read_only
        .address_space:  global
        .offset:         32
        .size:           8
        .value_kind:     global_buffer
      - .actual_access:  read_only
        .address_space:  global
        .offset:         40
        .size:           8
        .value_kind:     global_buffer
      - .actual_access:  read_only
        .address_space:  global
        .offset:         48
        .size:           8
        .value_kind:     global_buffer
      - .actual_access:  read_only
        .address_space:  global
        .offset:         56
        .size:           8
        .value_kind:     global_buffer
      - .actual_access:  read_only
        .address_space:  global
        .offset:         64
        .size:           8
        .value_kind:     global_buffer
      - .actual_access:  read_only
        .address_space:  global
        .offset:         72
        .size:           8
        .value_kind:     global_buffer
      - .offset:         80
        .size:           8
        .value_kind:     by_value
      - .actual_access:  read_only
        .address_space:  global
        .offset:         88
        .size:           8
        .value_kind:     global_buffer
      - .actual_access:  read_only
        .address_space:  global
        .offset:         96
        .size:           8
        .value_kind:     global_buffer
      - .actual_access:  read_only
        .address_space:  global
        .offset:         104
        .size:           8
        .value_kind:     global_buffer
      - .actual_access:  read_only
        .address_space:  global
        .offset:         112
        .size:           8
        .value_kind:     global_buffer
      - .actual_access:  read_only
        .address_space:  global
        .offset:         120
        .size:           8
        .value_kind:     global_buffer
      - .actual_access:  write_only
        .address_space:  global
        .offset:         128
        .size:           8
        .value_kind:     global_buffer
      - .offset:         136
        .size:           4
        .value_kind:     by_value
      - .offset:         140
        .size:           4
        .value_kind:     by_value
      - .offset:         144
        .size:           4
        .value_kind:     by_value
      - .offset:         148
        .size:           4
        .value_kind:     by_value
      - .offset:         152
        .size:           1
        .value_kind:     by_value
      - .offset:         153
        .size:           1
        .value_kind:     by_value
      - .offset:         154
        .size:           1
        .value_kind:     by_value
    .group_segment_fixed_size: 0
    .kernarg_segment_align: 8
    .kernarg_segment_size: 156
    .language:       OpenCL C
    .language_version:
      - 2
      - 0
    .max_flat_workgroup_size: 1024
    .name:           _ZN9rocsparseL41csrgemm_numeric_fill_block_per_row_kernelILj1024ELj64ELj16384ELj137ELj64EllfEEvT5_PKS1_S3_NS_24const_host_device_scalarIT6_EEPKT4_S3_PKS5_S9_S3_SB_S6_S9_S3_SB_S9_S3_PS5_21rocsparse_index_base_SD_SD_SD_bbb
    .private_segment_fixed_size: 0
    .sgpr_count:     46
    .sgpr_spill_count: 0
    .symbol:         _ZN9rocsparseL41csrgemm_numeric_fill_block_per_row_kernelILj1024ELj64ELj16384ELj137ELj64EllfEEvT5_PKS1_S3_NS_24const_host_device_scalarIT6_EEPKT4_S3_PKS5_S9_S3_SB_S6_S9_S3_SB_S9_S3_PS5_21rocsparse_index_base_SD_SD_SD_bbb.kd
    .uniform_work_group_size: 1
    .uses_dynamic_stack: false
    .vgpr_count:     23
    .vgpr_spill_count: 0
    .wavefront_size: 32
    .workgroup_processor_mode: 1
  - .args:
      - .offset:         0
        .size:           8
        .value_kind:     by_value
      - .actual_access:  read_only
        .address_space:  global
        .offset:         8
        .size:           8
        .value_kind:     global_buffer
      - .actual_access:  read_only
        .address_space:  global
        .offset:         16
        .size:           8
        .value_kind:     global_buffer
      - .offset:         24
        .size:           8
        .value_kind:     by_value
      - .actual_access:  read_only
        .address_space:  global
        .offset:         32
        .size:           8
        .value_kind:     global_buffer
      - .actual_access:  read_only
        .address_space:  global
        .offset:         40
        .size:           8
        .value_kind:     global_buffer
      - .actual_access:  read_only
        .address_space:  global
        .offset:         48
        .size:           8
        .value_kind:     global_buffer
      - .actual_access:  read_only
        .address_space:  global
        .offset:         56
        .size:           8
        .value_kind:     global_buffer
      - .actual_access:  read_only
        .address_space:  global
        .offset:         64
        .size:           8
        .value_kind:     global_buffer
      - .actual_access:  read_only
        .address_space:  global
        .offset:         72
        .size:           8
        .value_kind:     global_buffer
      - .offset:         80
        .size:           8
        .value_kind:     by_value
      - .actual_access:  read_only
        .address_space:  global
        .offset:         88
        .size:           8
        .value_kind:     global_buffer
      - .actual_access:  read_only
        .address_space:  global
        .offset:         96
        .size:           8
        .value_kind:     global_buffer
      - .actual_access:  read_only
        .address_space:  global
        .offset:         104
        .size:           8
        .value_kind:     global_buffer
      - .actual_access:  read_only
        .address_space:  global
        .offset:         112
        .size:           8
        .value_kind:     global_buffer
      - .actual_access:  read_only
        .address_space:  global
        .offset:         120
        .size:           8
        .value_kind:     global_buffer
      - .actual_access:  write_only
        .address_space:  global
        .offset:         128
        .size:           8
        .value_kind:     global_buffer
      - .offset:         136
        .size:           4
        .value_kind:     by_value
      - .offset:         140
        .size:           4
        .value_kind:     by_value
      - .offset:         144
        .size:           4
        .value_kind:     by_value
      - .offset:         148
        .size:           4
        .value_kind:     by_value
      - .offset:         152
        .size:           1
        .value_kind:     by_value
      - .offset:         153
        .size:           1
        .value_kind:     by_value
      - .offset:         154
        .size:           1
        .value_kind:     by_value
    .group_segment_fixed_size: 0
    .kernarg_segment_align: 8
    .kernarg_segment_size: 156
    .language:       OpenCL C
    .language_version:
      - 2
      - 0
    .max_flat_workgroup_size: 1024
    .name:           _ZN9rocsparseL41csrgemm_numeric_fill_block_per_row_kernelILj1024ELj64ELj32768ELj137ELj32EllfEEvT5_PKS1_S3_NS_24const_host_device_scalarIT6_EEPKT4_S3_PKS5_S9_S3_SB_S6_S9_S3_SB_S9_S3_PS5_21rocsparse_index_base_SD_SD_SD_bbb
    .private_segment_fixed_size: 0
    .sgpr_count:     78
    .sgpr_spill_count: 0
    .symbol:         _ZN9rocsparseL41csrgemm_numeric_fill_block_per_row_kernelILj1024ELj64ELj32768ELj137ELj32EllfEEvT5_PKS1_S3_NS_24const_host_device_scalarIT6_EEPKT4_S3_PKS5_S9_S3_SB_S6_S9_S3_SB_S9_S3_PS5_21rocsparse_index_base_SD_SD_SD_bbb.kd
    .uniform_work_group_size: 1
    .uses_dynamic_stack: false
    .vgpr_count:     23
    .vgpr_spill_count: 0
    .wavefront_size: 32
    .workgroup_processor_mode: 1
  - .args:
      - .offset:         0
        .size:           8
        .value_kind:     by_value
      - .actual_access:  read_only
        .address_space:  global
        .offset:         8
        .size:           8
        .value_kind:     global_buffer
      - .actual_access:  read_only
        .address_space:  global
        .offset:         16
        .size:           8
        .value_kind:     global_buffer
      - .offset:         24
        .size:           8
        .value_kind:     by_value
      - .actual_access:  read_only
        .address_space:  global
        .offset:         32
        .size:           8
        .value_kind:     global_buffer
      - .actual_access:  read_only
        .address_space:  global
        .offset:         40
        .size:           8
        .value_kind:     global_buffer
      - .actual_access:  read_only
        .address_space:  global
        .offset:         48
        .size:           8
        .value_kind:     global_buffer
      - .actual_access:  read_only
        .address_space:  global
        .offset:         56
        .size:           8
        .value_kind:     global_buffer
      - .actual_access:  read_only
        .address_space:  global
        .offset:         64
        .size:           8
        .value_kind:     global_buffer
      - .actual_access:  read_only
        .address_space:  global
        .offset:         72
        .size:           8
        .value_kind:     global_buffer
      - .offset:         80
        .size:           8
        .value_kind:     by_value
      - .actual_access:  read_only
        .address_space:  global
        .offset:         88
        .size:           8
        .value_kind:     global_buffer
      - .actual_access:  read_only
        .address_space:  global
        .offset:         96
        .size:           8
        .value_kind:     global_buffer
      - .actual_access:  read_only
        .address_space:  global
        .offset:         104
        .size:           8
        .value_kind:     global_buffer
      - .actual_access:  read_only
        .address_space:  global
        .offset:         112
        .size:           8
        .value_kind:     global_buffer
      - .actual_access:  read_only
        .address_space:  global
        .offset:         120
        .size:           8
        .value_kind:     global_buffer
      - .actual_access:  write_only
        .address_space:  global
        .offset:         128
        .size:           8
        .value_kind:     global_buffer
      - .offset:         136
        .size:           4
        .value_kind:     by_value
      - .offset:         140
        .size:           4
        .value_kind:     by_value
      - .offset:         144
        .size:           4
        .value_kind:     by_value
      - .offset:         148
        .size:           4
        .value_kind:     by_value
      - .offset:         152
        .size:           1
        .value_kind:     by_value
      - .offset:         153
        .size:           1
        .value_kind:     by_value
      - .offset:         154
        .size:           1
        .value_kind:     by_value
    .group_segment_fixed_size: 0
    .kernarg_segment_align: 8
    .kernarg_segment_size: 156
    .language:       OpenCL C
    .language_version:
      - 2
      - 0
    .max_flat_workgroup_size: 1024
    .name:           _ZN9rocsparseL41csrgemm_numeric_fill_block_per_row_kernelILj1024ELj64ELj32768ELj137ELj64EllfEEvT5_PKS1_S3_NS_24const_host_device_scalarIT6_EEPKT4_S3_PKS5_S9_S3_SB_S6_S9_S3_SB_S9_S3_PS5_21rocsparse_index_base_SD_SD_SD_bbb
    .private_segment_fixed_size: 0
    .sgpr_count:     46
    .sgpr_spill_count: 0
    .symbol:         _ZN9rocsparseL41csrgemm_numeric_fill_block_per_row_kernelILj1024ELj64ELj32768ELj137ELj64EllfEEvT5_PKS1_S3_NS_24const_host_device_scalarIT6_EEPKT4_S3_PKS5_S9_S3_SB_S6_S9_S3_SB_S9_S3_PS5_21rocsparse_index_base_SD_SD_SD_bbb.kd
    .uniform_work_group_size: 1
    .uses_dynamic_stack: false
    .vgpr_count:     23
    .vgpr_spill_count: 0
    .wavefront_size: 32
    .workgroup_processor_mode: 1
  - .args:
      - .offset:         0
        .size:           8
        .value_kind:     by_value
      - .actual_access:  read_only
        .address_space:  global
        .offset:         8
        .size:           8
        .value_kind:     global_buffer
      - .actual_access:  read_only
        .address_space:  global
        .offset:         16
        .size:           8
        .value_kind:     global_buffer
      - .offset:         24
        .size:           8
        .value_kind:     by_value
      - .actual_access:  read_only
        .address_space:  global
        .offset:         32
        .size:           8
        .value_kind:     global_buffer
      - .actual_access:  read_only
        .address_space:  global
        .offset:         40
        .size:           8
        .value_kind:     global_buffer
      - .actual_access:  read_only
        .address_space:  global
        .offset:         48
        .size:           8
        .value_kind:     global_buffer
      - .actual_access:  read_only
        .address_space:  global
        .offset:         56
        .size:           8
        .value_kind:     global_buffer
      - .actual_access:  read_only
        .address_space:  global
        .offset:         64
        .size:           8
        .value_kind:     global_buffer
      - .actual_access:  read_only
        .address_space:  global
        .offset:         72
        .size:           8
        .value_kind:     global_buffer
      - .offset:         80
        .size:           8
        .value_kind:     by_value
      - .actual_access:  read_only
        .address_space:  global
        .offset:         88
        .size:           8
        .value_kind:     global_buffer
      - .actual_access:  read_only
        .address_space:  global
        .offset:         96
        .size:           8
        .value_kind:     global_buffer
      - .actual_access:  read_only
        .address_space:  global
        .offset:         104
        .size:           8
        .value_kind:     global_buffer
      - .actual_access:  read_only
        .address_space:  global
        .offset:         112
        .size:           8
        .value_kind:     global_buffer
      - .actual_access:  read_only
        .address_space:  global
        .offset:         120
        .size:           8
        .value_kind:     global_buffer
      - .actual_access:  write_only
        .address_space:  global
        .offset:         128
        .size:           8
        .value_kind:     global_buffer
      - .address_space:  global
        .offset:         136
        .size:           8
        .value_kind:     global_buffer
      - .offset:         144
        .size:           4
        .value_kind:     by_value
      - .offset:         148
        .size:           4
        .value_kind:     by_value
      - .offset:         152
        .size:           4
        .value_kind:     by_value
      - .offset:         156
        .size:           4
        .value_kind:     by_value
      - .offset:         160
        .size:           1
        .value_kind:     by_value
      - .offset:         161
        .size:           1
        .value_kind:     by_value
      - .offset:         162
        .size:           1
        .value_kind:     by_value
    .group_segment_fixed_size: 10248
    .kernarg_segment_align: 8
    .kernarg_segment_size: 164
    .language:       OpenCL C
    .language_version:
      - 2
      - 0
    .max_flat_workgroup_size: 512
    .name:           _ZN9rocsparseL51csrgemm_numeric_fill_block_per_row_multipass_kernelILj512ELj16ELj2048ELj32EllfEEvT4_PKS1_S3_NS_24const_host_device_scalarIT5_EEPKT3_S3_PKS5_S9_S3_SB_S6_S9_S3_SB_S9_S3_PS5_PS7_21rocsparse_index_base_SE_SE_SE_bbb
    .private_segment_fixed_size: 0
    .sgpr_count:     63
    .sgpr_spill_count: 0
    .symbol:         _ZN9rocsparseL51csrgemm_numeric_fill_block_per_row_multipass_kernelILj512ELj16ELj2048ELj32EllfEEvT4_PKS1_S3_NS_24const_host_device_scalarIT5_EEPKT3_S3_PKS5_S9_S3_SB_S6_S9_S3_SB_S9_S3_PS5_PS7_21rocsparse_index_base_SE_SE_SE_bbb.kd
    .uniform_work_group_size: 1
    .uses_dynamic_stack: false
    .vgpr_count:     46
    .vgpr_spill_count: 0
    .wavefront_size: 32
    .workgroup_processor_mode: 1
  - .args:
      - .offset:         0
        .size:           8
        .value_kind:     by_value
      - .actual_access:  read_only
        .address_space:  global
        .offset:         8
        .size:           8
        .value_kind:     global_buffer
      - .actual_access:  read_only
        .address_space:  global
        .offset:         16
        .size:           8
        .value_kind:     global_buffer
      - .offset:         24
        .size:           8
        .value_kind:     by_value
      - .actual_access:  read_only
        .address_space:  global
        .offset:         32
        .size:           8
        .value_kind:     global_buffer
      - .actual_access:  read_only
        .address_space:  global
        .offset:         40
        .size:           8
        .value_kind:     global_buffer
      - .actual_access:  read_only
        .address_space:  global
        .offset:         48
        .size:           8
        .value_kind:     global_buffer
      - .actual_access:  read_only
        .address_space:  global
        .offset:         56
        .size:           8
        .value_kind:     global_buffer
      - .actual_access:  read_only
        .address_space:  global
        .offset:         64
        .size:           8
        .value_kind:     global_buffer
      - .actual_access:  read_only
        .address_space:  global
        .offset:         72
        .size:           8
        .value_kind:     global_buffer
      - .offset:         80
        .size:           8
        .value_kind:     by_value
      - .actual_access:  read_only
        .address_space:  global
        .offset:         88
        .size:           8
        .value_kind:     global_buffer
      - .actual_access:  read_only
        .address_space:  global
        .offset:         96
        .size:           8
        .value_kind:     global_buffer
      - .actual_access:  read_only
        .address_space:  global
        .offset:         104
        .size:           8
        .value_kind:     global_buffer
      - .actual_access:  read_only
        .address_space:  global
        .offset:         112
        .size:           8
        .value_kind:     global_buffer
      - .actual_access:  read_only
        .address_space:  global
        .offset:         120
        .size:           8
        .value_kind:     global_buffer
      - .actual_access:  write_only
        .address_space:  global
        .offset:         128
        .size:           8
        .value_kind:     global_buffer
      - .address_space:  global
        .offset:         136
        .size:           8
        .value_kind:     global_buffer
      - .offset:         144
        .size:           4
        .value_kind:     by_value
      - .offset:         148
        .size:           4
        .value_kind:     by_value
      - .offset:         152
        .size:           4
        .value_kind:     by_value
      - .offset:         156
        .size:           4
        .value_kind:     by_value
      - .offset:         160
        .size:           1
        .value_kind:     by_value
      - .offset:         161
        .size:           1
        .value_kind:     by_value
      - .offset:         162
        .size:           1
        .value_kind:     by_value
    .group_segment_fixed_size: 10248
    .kernarg_segment_align: 8
    .kernarg_segment_size: 164
    .language:       OpenCL C
    .language_version:
      - 2
      - 0
    .max_flat_workgroup_size: 512
    .name:           _ZN9rocsparseL51csrgemm_numeric_fill_block_per_row_multipass_kernelILj512ELj16ELj2048ELj64EllfEEvT4_PKS1_S3_NS_24const_host_device_scalarIT5_EEPKT3_S3_PKS5_S9_S3_SB_S6_S9_S3_SB_S9_S3_PS5_PS7_21rocsparse_index_base_SE_SE_SE_bbb
    .private_segment_fixed_size: 0
    .sgpr_count:     55
    .sgpr_spill_count: 0
    .symbol:         _ZN9rocsparseL51csrgemm_numeric_fill_block_per_row_multipass_kernelILj512ELj16ELj2048ELj64EllfEEvT4_PKS1_S3_NS_24const_host_device_scalarIT5_EEPKT3_S3_PKS5_S9_S3_SB_S6_S9_S3_SB_S9_S3_PS5_PS7_21rocsparse_index_base_SE_SE_SE_bbb.kd
    .uniform_work_group_size: 1
    .uses_dynamic_stack: false
    .vgpr_count:     46
    .vgpr_spill_count: 0
    .wavefront_size: 32
    .workgroup_processor_mode: 1
  - .args:
      - .offset:         0
        .size:           8
        .value_kind:     by_value
      - .offset:         8
        .size:           8
        .value_kind:     by_value
      - .actual_access:  read_only
        .address_space:  global
        .offset:         16
        .size:           8
        .value_kind:     global_buffer
      - .actual_access:  read_only
        .address_space:  global
        .offset:         24
        .size:           8
        .value_kind:     global_buffer
      - .offset:         32
        .size:           8
        .value_kind:     by_value
      - .actual_access:  read_only
        .address_space:  global
        .offset:         40
        .size:           8
        .value_kind:     global_buffer
      - .actual_access:  read_only
        .address_space:  global
        .offset:         48
        .size:           8
        .value_kind:     global_buffer
      - .actual_access:  read_only
        .address_space:  global
        .offset:         56
        .size:           8
        .value_kind:     global_buffer
      - .actual_access:  read_only
        .address_space:  global
        .offset:         64
        .size:           8
        .value_kind:     global_buffer
      - .actual_access:  read_only
        .address_space:  global
        .offset:         72
        .size:           8
        .value_kind:     global_buffer
      - .actual_access:  read_only
        .address_space:  global
        .offset:         80
        .size:           8
        .value_kind:     global_buffer
      - .offset:         88
        .size:           8
        .value_kind:     by_value
      - .actual_access:  read_only
        .address_space:  global
        .offset:         96
        .size:           8
        .value_kind:     global_buffer
      - .actual_access:  read_only
        .address_space:  global
        .offset:         104
        .size:           8
        .value_kind:     global_buffer
      - .actual_access:  read_only
        .address_space:  global
        .offset:         112
        .size:           8
        .value_kind:     global_buffer
      - .actual_access:  read_only
        .address_space:  global
        .offset:         120
        .size:           8
        .value_kind:     global_buffer
      - .actual_access:  read_only
        .address_space:  global
        .offset:         128
        .size:           8
        .value_kind:     global_buffer
      - .actual_access:  write_only
        .address_space:  global
        .offset:         136
        .size:           8
        .value_kind:     global_buffer
      - .offset:         144
        .size:           4
        .value_kind:     by_value
      - .offset:         148
        .size:           4
        .value_kind:     by_value
      - .offset:         152
        .size:           4
        .value_kind:     by_value
      - .offset:         156
        .size:           4
        .value_kind:     by_value
      - .offset:         160
        .size:           1
        .value_kind:     by_value
      - .offset:         161
        .size:           1
        .value_kind:     by_value
      - .offset:         162
        .size:           1
        .value_kind:     by_value
    .group_segment_fixed_size: 8192
    .kernarg_segment_align: 8
    .kernarg_segment_size: 164
    .language:       OpenCL C
    .language_version:
      - 2
      - 0
    .max_flat_workgroup_size: 256
    .name:           _ZN9rocsparseL38csrgemm_numeric_fill_wf_per_row_kernelILj256ELj8ELj16ELj137ElldEEvT4_S1_PKS1_S3_NS_24const_host_device_scalarIT5_EEPKT3_S3_PKS5_S9_S3_SB_S6_S9_S3_SB_S9_S3_PS5_21rocsparse_index_base_SD_SD_SD_bbb
    .private_segment_fixed_size: 0
    .sgpr_count:     44
    .sgpr_spill_count: 0
    .symbol:         _ZN9rocsparseL38csrgemm_numeric_fill_wf_per_row_kernelILj256ELj8ELj16ELj137ElldEEvT4_S1_PKS1_S3_NS_24const_host_device_scalarIT5_EEPKT3_S3_PKS5_S9_S3_SB_S6_S9_S3_SB_S9_S3_PS5_21rocsparse_index_base_SD_SD_SD_bbb.kd
    .uniform_work_group_size: 1
    .uses_dynamic_stack: false
    .vgpr_count:     41
    .vgpr_spill_count: 0
    .wavefront_size: 32
    .workgroup_processor_mode: 1
  - .args:
      - .offset:         0
        .size:           8
        .value_kind:     by_value
      - .offset:         8
        .size:           8
        .value_kind:     by_value
      - .actual_access:  read_only
        .address_space:  global
        .offset:         16
        .size:           8
        .value_kind:     global_buffer
      - .actual_access:  read_only
        .address_space:  global
        .offset:         24
        .size:           8
        .value_kind:     global_buffer
      - .offset:         32
        .size:           8
        .value_kind:     by_value
      - .actual_access:  read_only
        .address_space:  global
        .offset:         40
        .size:           8
        .value_kind:     global_buffer
      - .actual_access:  read_only
        .address_space:  global
        .offset:         48
        .size:           8
        .value_kind:     global_buffer
      - .actual_access:  read_only
        .address_space:  global
        .offset:         56
        .size:           8
        .value_kind:     global_buffer
      - .actual_access:  read_only
        .address_space:  global
        .offset:         64
        .size:           8
        .value_kind:     global_buffer
      - .actual_access:  read_only
        .address_space:  global
        .offset:         72
        .size:           8
        .value_kind:     global_buffer
      - .actual_access:  read_only
        .address_space:  global
        .offset:         80
        .size:           8
        .value_kind:     global_buffer
      - .offset:         88
        .size:           8
        .value_kind:     by_value
      - .actual_access:  read_only
        .address_space:  global
        .offset:         96
        .size:           8
        .value_kind:     global_buffer
      - .actual_access:  read_only
        .address_space:  global
        .offset:         104
        .size:           8
        .value_kind:     global_buffer
      - .actual_access:  read_only
        .address_space:  global
        .offset:         112
        .size:           8
        .value_kind:     global_buffer
      - .actual_access:  read_only
        .address_space:  global
        .offset:         120
        .size:           8
        .value_kind:     global_buffer
      - .actual_access:  read_only
        .address_space:  global
        .offset:         128
        .size:           8
        .value_kind:     global_buffer
      - .actual_access:  write_only
        .address_space:  global
        .offset:         136
        .size:           8
        .value_kind:     global_buffer
      - .offset:         144
        .size:           4
        .value_kind:     by_value
      - .offset:         148
        .size:           4
        .value_kind:     by_value
      - .offset:         152
        .size:           4
        .value_kind:     by_value
      - .offset:         156
        .size:           4
        .value_kind:     by_value
      - .offset:         160
        .size:           1
        .value_kind:     by_value
      - .offset:         161
        .size:           1
        .value_kind:     by_value
      - .offset:         162
        .size:           1
        .value_kind:     by_value
    .group_segment_fixed_size: 8192
    .kernarg_segment_align: 8
    .kernarg_segment_size: 164
    .language:       OpenCL C
    .language_version:
      - 2
      - 0
    .max_flat_workgroup_size: 256
    .name:           _ZN9rocsparseL38csrgemm_numeric_fill_wf_per_row_kernelILj256ELj16ELj32ELj137ElldEEvT4_S1_PKS1_S3_NS_24const_host_device_scalarIT5_EEPKT3_S3_PKS5_S9_S3_SB_S6_S9_S3_SB_S9_S3_PS5_21rocsparse_index_base_SD_SD_SD_bbb
    .private_segment_fixed_size: 0
    .sgpr_count:     44
    .sgpr_spill_count: 0
    .symbol:         _ZN9rocsparseL38csrgemm_numeric_fill_wf_per_row_kernelILj256ELj16ELj32ELj137ElldEEvT4_S1_PKS1_S3_NS_24const_host_device_scalarIT5_EEPKT3_S3_PKS5_S9_S3_SB_S6_S9_S3_SB_S9_S3_PS5_21rocsparse_index_base_SD_SD_SD_bbb.kd
    .uniform_work_group_size: 1
    .uses_dynamic_stack: false
    .vgpr_count:     73
    .vgpr_spill_count: 0
    .wavefront_size: 32
    .workgroup_processor_mode: 1
  - .args:
      - .offset:         0
        .size:           8
        .value_kind:     by_value
      - .actual_access:  read_only
        .address_space:  global
        .offset:         8
        .size:           8
        .value_kind:     global_buffer
      - .actual_access:  read_only
        .address_space:  global
        .offset:         16
        .size:           8
        .value_kind:     global_buffer
      - .offset:         24
        .size:           8
        .value_kind:     by_value
      - .actual_access:  read_only
        .address_space:  global
        .offset:         32
        .size:           8
        .value_kind:     global_buffer
      - .actual_access:  read_only
        .address_space:  global
        .offset:         40
        .size:           8
        .value_kind:     global_buffer
      - .actual_access:  read_only
        .address_space:  global
        .offset:         48
        .size:           8
        .value_kind:     global_buffer
      - .actual_access:  read_only
        .address_space:  global
        .offset:         56
        .size:           8
        .value_kind:     global_buffer
      - .actual_access:  read_only
        .address_space:  global
        .offset:         64
        .size:           8
        .value_kind:     global_buffer
      - .actual_access:  read_only
        .address_space:  global
        .offset:         72
        .size:           8
        .value_kind:     global_buffer
      - .offset:         80
        .size:           8
        .value_kind:     by_value
      - .actual_access:  read_only
        .address_space:  global
        .offset:         88
        .size:           8
        .value_kind:     global_buffer
      - .actual_access:  read_only
        .address_space:  global
        .offset:         96
        .size:           8
        .value_kind:     global_buffer
      - .actual_access:  read_only
        .address_space:  global
        .offset:         104
        .size:           8
        .value_kind:     global_buffer
      - .actual_access:  read_only
        .address_space:  global
        .offset:         112
        .size:           8
        .value_kind:     global_buffer
      - .actual_access:  read_only
        .address_space:  global
        .offset:         120
        .size:           8
        .value_kind:     global_buffer
      - .actual_access:  write_only
        .address_space:  global
        .offset:         128
        .size:           8
        .value_kind:     global_buffer
      - .offset:         136
        .size:           4
        .value_kind:     by_value
      - .offset:         140
        .size:           4
        .value_kind:     by_value
      - .offset:         144
        .size:           4
        .value_kind:     by_value
      - .offset:         148
        .size:           4
        .value_kind:     by_value
      - .offset:         152
        .size:           1
        .value_kind:     by_value
      - .offset:         153
        .size:           1
        .value_kind:     by_value
      - .offset:         154
        .size:           1
        .value_kind:     by_value
    .group_segment_fixed_size: 0
    .kernarg_segment_align: 8
    .kernarg_segment_size: 156
    .language:       OpenCL C
    .language_version:
      - 2
      - 0
    .max_flat_workgroup_size: 128
    .name:           _ZN9rocsparseL41csrgemm_numeric_fill_block_per_row_kernelILj128ELj16ELj256ELj137ELj32ElldEEvT5_PKS1_S3_NS_24const_host_device_scalarIT6_EEPKT4_S3_PKS5_S9_S3_SB_S6_S9_S3_SB_S9_S3_PS5_21rocsparse_index_base_SD_SD_SD_bbb
    .private_segment_fixed_size: 0
    .sgpr_count:     45
    .sgpr_spill_count: 0
    .symbol:         _ZN9rocsparseL41csrgemm_numeric_fill_block_per_row_kernelILj128ELj16ELj256ELj137ELj32ElldEEvT5_PKS1_S3_NS_24const_host_device_scalarIT6_EEPKT4_S3_PKS5_S9_S3_SB_S6_S9_S3_SB_S9_S3_PS5_21rocsparse_index_base_SD_SD_SD_bbb.kd
    .uniform_work_group_size: 1
    .uses_dynamic_stack: false
    .vgpr_count:     27
    .vgpr_spill_count: 0
    .wavefront_size: 32
    .workgroup_processor_mode: 1
  - .args:
      - .offset:         0
        .size:           8
        .value_kind:     by_value
      - .actual_access:  read_only
        .address_space:  global
        .offset:         8
        .size:           8
        .value_kind:     global_buffer
      - .actual_access:  read_only
        .address_space:  global
        .offset:         16
        .size:           8
        .value_kind:     global_buffer
      - .offset:         24
        .size:           8
        .value_kind:     by_value
      - .actual_access:  read_only
        .address_space:  global
        .offset:         32
        .size:           8
        .value_kind:     global_buffer
      - .actual_access:  read_only
        .address_space:  global
        .offset:         40
        .size:           8
        .value_kind:     global_buffer
      - .actual_access:  read_only
        .address_space:  global
        .offset:         48
        .size:           8
        .value_kind:     global_buffer
      - .actual_access:  read_only
        .address_space:  global
        .offset:         56
        .size:           8
        .value_kind:     global_buffer
      - .actual_access:  read_only
        .address_space:  global
        .offset:         64
        .size:           8
        .value_kind:     global_buffer
      - .actual_access:  read_only
        .address_space:  global
        .offset:         72
        .size:           8
        .value_kind:     global_buffer
      - .offset:         80
        .size:           8
        .value_kind:     by_value
      - .actual_access:  read_only
        .address_space:  global
        .offset:         88
        .size:           8
        .value_kind:     global_buffer
      - .actual_access:  read_only
        .address_space:  global
        .offset:         96
        .size:           8
        .value_kind:     global_buffer
      - .actual_access:  read_only
        .address_space:  global
        .offset:         104
        .size:           8
        .value_kind:     global_buffer
      - .actual_access:  read_only
        .address_space:  global
        .offset:         112
        .size:           8
        .value_kind:     global_buffer
      - .actual_access:  read_only
        .address_space:  global
        .offset:         120
        .size:           8
        .value_kind:     global_buffer
      - .actual_access:  write_only
        .address_space:  global
        .offset:         128
        .size:           8
        .value_kind:     global_buffer
      - .offset:         136
        .size:           4
        .value_kind:     by_value
      - .offset:         140
        .size:           4
        .value_kind:     by_value
      - .offset:         144
        .size:           4
        .value_kind:     by_value
      - .offset:         148
        .size:           4
        .value_kind:     by_value
      - .offset:         152
        .size:           1
        .value_kind:     by_value
      - .offset:         153
        .size:           1
        .value_kind:     by_value
      - .offset:         154
        .size:           1
        .value_kind:     by_value
    .group_segment_fixed_size: 0
    .kernarg_segment_align: 8
    .kernarg_segment_size: 156
    .language:       OpenCL C
    .language_version:
      - 2
      - 0
    .max_flat_workgroup_size: 128
    .name:           _ZN9rocsparseL41csrgemm_numeric_fill_block_per_row_kernelILj128ELj16ELj256ELj137ELj64ElldEEvT5_PKS1_S3_NS_24const_host_device_scalarIT6_EEPKT4_S3_PKS5_S9_S3_SB_S6_S9_S3_SB_S9_S3_PS5_21rocsparse_index_base_SD_SD_SD_bbb
    .private_segment_fixed_size: 0
    .sgpr_count:     45
    .sgpr_spill_count: 0
    .symbol:         _ZN9rocsparseL41csrgemm_numeric_fill_block_per_row_kernelILj128ELj16ELj256ELj137ELj64ElldEEvT5_PKS1_S3_NS_24const_host_device_scalarIT6_EEPKT4_S3_PKS5_S9_S3_SB_S6_S9_S3_SB_S9_S3_PS5_21rocsparse_index_base_SD_SD_SD_bbb.kd
    .uniform_work_group_size: 1
    .uses_dynamic_stack: false
    .vgpr_count:     27
    .vgpr_spill_count: 0
    .wavefront_size: 32
    .workgroup_processor_mode: 1
  - .args:
      - .offset:         0
        .size:           8
        .value_kind:     by_value
      - .actual_access:  read_only
        .address_space:  global
        .offset:         8
        .size:           8
        .value_kind:     global_buffer
      - .actual_access:  read_only
        .address_space:  global
        .offset:         16
        .size:           8
        .value_kind:     global_buffer
      - .offset:         24
        .size:           8
        .value_kind:     by_value
      - .actual_access:  read_only
        .address_space:  global
        .offset:         32
        .size:           8
        .value_kind:     global_buffer
      - .actual_access:  read_only
        .address_space:  global
        .offset:         40
        .size:           8
        .value_kind:     global_buffer
      - .actual_access:  read_only
        .address_space:  global
        .offset:         48
        .size:           8
        .value_kind:     global_buffer
      - .actual_access:  read_only
        .address_space:  global
        .offset:         56
        .size:           8
        .value_kind:     global_buffer
      - .actual_access:  read_only
        .address_space:  global
        .offset:         64
        .size:           8
        .value_kind:     global_buffer
      - .actual_access:  read_only
        .address_space:  global
        .offset:         72
        .size:           8
        .value_kind:     global_buffer
      - .offset:         80
        .size:           8
        .value_kind:     by_value
      - .actual_access:  read_only
        .address_space:  global
        .offset:         88
        .size:           8
        .value_kind:     global_buffer
      - .actual_access:  read_only
        .address_space:  global
        .offset:         96
        .size:           8
        .value_kind:     global_buffer
      - .actual_access:  read_only
        .address_space:  global
        .offset:         104
        .size:           8
        .value_kind:     global_buffer
      - .actual_access:  read_only
        .address_space:  global
        .offset:         112
        .size:           8
        .value_kind:     global_buffer
      - .actual_access:  read_only
        .address_space:  global
        .offset:         120
        .size:           8
        .value_kind:     global_buffer
      - .actual_access:  write_only
        .address_space:  global
        .offset:         128
        .size:           8
        .value_kind:     global_buffer
      - .offset:         136
        .size:           4
        .value_kind:     by_value
      - .offset:         140
        .size:           4
        .value_kind:     by_value
      - .offset:         144
        .size:           4
        .value_kind:     by_value
      - .offset:         148
        .size:           4
        .value_kind:     by_value
      - .offset:         152
        .size:           1
        .value_kind:     by_value
      - .offset:         153
        .size:           1
        .value_kind:     by_value
      - .offset:         154
        .size:           1
        .value_kind:     by_value
    .group_segment_fixed_size: 0
    .kernarg_segment_align: 8
    .kernarg_segment_size: 156
    .language:       OpenCL C
    .language_version:
      - 2
      - 0
    .max_flat_workgroup_size: 256
    .name:           _ZN9rocsparseL41csrgemm_numeric_fill_block_per_row_kernelILj256ELj32ELj512ELj137ELj32ElldEEvT5_PKS1_S3_NS_24const_host_device_scalarIT6_EEPKT4_S3_PKS5_S9_S3_SB_S6_S9_S3_SB_S9_S3_PS5_21rocsparse_index_base_SD_SD_SD_bbb
    .private_segment_fixed_size: 0
    .sgpr_count:     45
    .sgpr_spill_count: 0
    .symbol:         _ZN9rocsparseL41csrgemm_numeric_fill_block_per_row_kernelILj256ELj32ELj512ELj137ELj32ElldEEvT5_PKS1_S3_NS_24const_host_device_scalarIT6_EEPKT4_S3_PKS5_S9_S3_SB_S6_S9_S3_SB_S9_S3_PS5_21rocsparse_index_base_SD_SD_SD_bbb.kd
    .uniform_work_group_size: 1
    .uses_dynamic_stack: false
    .vgpr_count:     28
    .vgpr_spill_count: 0
    .wavefront_size: 32
    .workgroup_processor_mode: 1
  - .args:
      - .offset:         0
        .size:           8
        .value_kind:     by_value
      - .actual_access:  read_only
        .address_space:  global
        .offset:         8
        .size:           8
        .value_kind:     global_buffer
      - .actual_access:  read_only
        .address_space:  global
        .offset:         16
        .size:           8
        .value_kind:     global_buffer
      - .offset:         24
        .size:           8
        .value_kind:     by_value
      - .actual_access:  read_only
        .address_space:  global
        .offset:         32
        .size:           8
        .value_kind:     global_buffer
      - .actual_access:  read_only
        .address_space:  global
        .offset:         40
        .size:           8
        .value_kind:     global_buffer
      - .actual_access:  read_only
        .address_space:  global
        .offset:         48
        .size:           8
        .value_kind:     global_buffer
      - .actual_access:  read_only
        .address_space:  global
        .offset:         56
        .size:           8
        .value_kind:     global_buffer
      - .actual_access:  read_only
        .address_space:  global
        .offset:         64
        .size:           8
        .value_kind:     global_buffer
      - .actual_access:  read_only
        .address_space:  global
        .offset:         72
        .size:           8
        .value_kind:     global_buffer
      - .offset:         80
        .size:           8
        .value_kind:     by_value
      - .actual_access:  read_only
        .address_space:  global
        .offset:         88
        .size:           8
        .value_kind:     global_buffer
      - .actual_access:  read_only
        .address_space:  global
        .offset:         96
        .size:           8
        .value_kind:     global_buffer
      - .actual_access:  read_only
        .address_space:  global
        .offset:         104
        .size:           8
        .value_kind:     global_buffer
      - .actual_access:  read_only
        .address_space:  global
        .offset:         112
        .size:           8
        .value_kind:     global_buffer
      - .actual_access:  read_only
        .address_space:  global
        .offset:         120
        .size:           8
        .value_kind:     global_buffer
      - .actual_access:  write_only
        .address_space:  global
        .offset:         128
        .size:           8
        .value_kind:     global_buffer
      - .offset:         136
        .size:           4
        .value_kind:     by_value
      - .offset:         140
        .size:           4
        .value_kind:     by_value
      - .offset:         144
        .size:           4
        .value_kind:     by_value
      - .offset:         148
        .size:           4
        .value_kind:     by_value
      - .offset:         152
        .size:           1
        .value_kind:     by_value
      - .offset:         153
        .size:           1
        .value_kind:     by_value
      - .offset:         154
        .size:           1
        .value_kind:     by_value
    .group_segment_fixed_size: 0
    .kernarg_segment_align: 8
    .kernarg_segment_size: 156
    .language:       OpenCL C
    .language_version:
      - 2
      - 0
    .max_flat_workgroup_size: 256
    .name:           _ZN9rocsparseL41csrgemm_numeric_fill_block_per_row_kernelILj256ELj32ELj512ELj137ELj64ElldEEvT5_PKS1_S3_NS_24const_host_device_scalarIT6_EEPKT4_S3_PKS5_S9_S3_SB_S6_S9_S3_SB_S9_S3_PS5_21rocsparse_index_base_SD_SD_SD_bbb
    .private_segment_fixed_size: 0
    .sgpr_count:     45
    .sgpr_spill_count: 0
    .symbol:         _ZN9rocsparseL41csrgemm_numeric_fill_block_per_row_kernelILj256ELj32ELj512ELj137ELj64ElldEEvT5_PKS1_S3_NS_24const_host_device_scalarIT6_EEPKT4_S3_PKS5_S9_S3_SB_S6_S9_S3_SB_S9_S3_PS5_21rocsparse_index_base_SD_SD_SD_bbb.kd
    .uniform_work_group_size: 1
    .uses_dynamic_stack: false
    .vgpr_count:     27
    .vgpr_spill_count: 0
    .wavefront_size: 32
    .workgroup_processor_mode: 1
  - .args:
      - .offset:         0
        .size:           8
        .value_kind:     by_value
      - .actual_access:  read_only
        .address_space:  global
        .offset:         8
        .size:           8
        .value_kind:     global_buffer
      - .actual_access:  read_only
        .address_space:  global
        .offset:         16
        .size:           8
        .value_kind:     global_buffer
      - .offset:         24
        .size:           8
        .value_kind:     by_value
      - .actual_access:  read_only
        .address_space:  global
        .offset:         32
        .size:           8
        .value_kind:     global_buffer
      - .actual_access:  read_only
        .address_space:  global
        .offset:         40
        .size:           8
        .value_kind:     global_buffer
      - .actual_access:  read_only
        .address_space:  global
        .offset:         48
        .size:           8
        .value_kind:     global_buffer
      - .actual_access:  read_only
        .address_space:  global
        .offset:         56
        .size:           8
        .value_kind:     global_buffer
      - .actual_access:  read_only
        .address_space:  global
        .offset:         64
        .size:           8
        .value_kind:     global_buffer
      - .actual_access:  read_only
        .address_space:  global
        .offset:         72
        .size:           8
        .value_kind:     global_buffer
      - .offset:         80
        .size:           8
        .value_kind:     by_value
      - .actual_access:  read_only
        .address_space:  global
        .offset:         88
        .size:           8
        .value_kind:     global_buffer
      - .actual_access:  read_only
        .address_space:  global
        .offset:         96
        .size:           8
        .value_kind:     global_buffer
      - .actual_access:  read_only
        .address_space:  global
        .offset:         104
        .size:           8
        .value_kind:     global_buffer
      - .actual_access:  read_only
        .address_space:  global
        .offset:         112
        .size:           8
        .value_kind:     global_buffer
      - .actual_access:  read_only
        .address_space:  global
        .offset:         120
        .size:           8
        .value_kind:     global_buffer
      - .actual_access:  write_only
        .address_space:  global
        .offset:         128
        .size:           8
        .value_kind:     global_buffer
      - .offset:         136
        .size:           4
        .value_kind:     by_value
      - .offset:         140
        .size:           4
        .value_kind:     by_value
      - .offset:         144
        .size:           4
        .value_kind:     by_value
      - .offset:         148
        .size:           4
        .value_kind:     by_value
      - .offset:         152
        .size:           1
        .value_kind:     by_value
      - .offset:         153
        .size:           1
        .value_kind:     by_value
      - .offset:         154
        .size:           1
        .value_kind:     by_value
    .group_segment_fixed_size: 0
    .kernarg_segment_align: 8
    .kernarg_segment_size: 156
    .language:       OpenCL C
    .language_version:
      - 2
      - 0
    .max_flat_workgroup_size: 512
    .name:           _ZN9rocsparseL41csrgemm_numeric_fill_block_per_row_kernelILj512ELj32ELj1024ELj137ELj32ElldEEvT5_PKS1_S3_NS_24const_host_device_scalarIT6_EEPKT4_S3_PKS5_S9_S3_SB_S6_S9_S3_SB_S9_S3_PS5_21rocsparse_index_base_SD_SD_SD_bbb
    .private_segment_fixed_size: 0
    .sgpr_count:     44
    .sgpr_spill_count: 0
    .symbol:         _ZN9rocsparseL41csrgemm_numeric_fill_block_per_row_kernelILj512ELj32ELj1024ELj137ELj32ElldEEvT5_PKS1_S3_NS_24const_host_device_scalarIT6_EEPKT4_S3_PKS5_S9_S3_SB_S6_S9_S3_SB_S9_S3_PS5_21rocsparse_index_base_SD_SD_SD_bbb.kd
    .uniform_work_group_size: 1
    .uses_dynamic_stack: false
    .vgpr_count:     28
    .vgpr_spill_count: 0
    .wavefront_size: 32
    .workgroup_processor_mode: 1
  - .args:
      - .offset:         0
        .size:           8
        .value_kind:     by_value
      - .actual_access:  read_only
        .address_space:  global
        .offset:         8
        .size:           8
        .value_kind:     global_buffer
      - .actual_access:  read_only
        .address_space:  global
        .offset:         16
        .size:           8
        .value_kind:     global_buffer
      - .offset:         24
        .size:           8
        .value_kind:     by_value
      - .actual_access:  read_only
        .address_space:  global
        .offset:         32
        .size:           8
        .value_kind:     global_buffer
      - .actual_access:  read_only
        .address_space:  global
        .offset:         40
        .size:           8
        .value_kind:     global_buffer
      - .actual_access:  read_only
        .address_space:  global
        .offset:         48
        .size:           8
        .value_kind:     global_buffer
      - .actual_access:  read_only
        .address_space:  global
        .offset:         56
        .size:           8
        .value_kind:     global_buffer
      - .actual_access:  read_only
        .address_space:  global
        .offset:         64
        .size:           8
        .value_kind:     global_buffer
      - .actual_access:  read_only
        .address_space:  global
        .offset:         72
        .size:           8
        .value_kind:     global_buffer
      - .offset:         80
        .size:           8
        .value_kind:     by_value
      - .actual_access:  read_only
        .address_space:  global
        .offset:         88
        .size:           8
        .value_kind:     global_buffer
      - .actual_access:  read_only
        .address_space:  global
        .offset:         96
        .size:           8
        .value_kind:     global_buffer
      - .actual_access:  read_only
        .address_space:  global
        .offset:         104
        .size:           8
        .value_kind:     global_buffer
      - .actual_access:  read_only
        .address_space:  global
        .offset:         112
        .size:           8
        .value_kind:     global_buffer
      - .actual_access:  read_only
        .address_space:  global
        .offset:         120
        .size:           8
        .value_kind:     global_buffer
      - .actual_access:  write_only
        .address_space:  global
        .offset:         128
        .size:           8
        .value_kind:     global_buffer
      - .offset:         136
        .size:           4
        .value_kind:     by_value
      - .offset:         140
        .size:           4
        .value_kind:     by_value
      - .offset:         144
        .size:           4
        .value_kind:     by_value
      - .offset:         148
        .size:           4
        .value_kind:     by_value
      - .offset:         152
        .size:           1
        .value_kind:     by_value
      - .offset:         153
        .size:           1
        .value_kind:     by_value
      - .offset:         154
        .size:           1
        .value_kind:     by_value
    .group_segment_fixed_size: 0
    .kernarg_segment_align: 8
    .kernarg_segment_size: 156
    .language:       OpenCL C
    .language_version:
      - 2
      - 0
    .max_flat_workgroup_size: 512
    .name:           _ZN9rocsparseL41csrgemm_numeric_fill_block_per_row_kernelILj512ELj32ELj1024ELj137ELj64ElldEEvT5_PKS1_S3_NS_24const_host_device_scalarIT6_EEPKT4_S3_PKS5_S9_S3_SB_S6_S9_S3_SB_S9_S3_PS5_21rocsparse_index_base_SD_SD_SD_bbb
    .private_segment_fixed_size: 0
    .sgpr_count:     44
    .sgpr_spill_count: 0
    .symbol:         _ZN9rocsparseL41csrgemm_numeric_fill_block_per_row_kernelILj512ELj32ELj1024ELj137ELj64ElldEEvT5_PKS1_S3_NS_24const_host_device_scalarIT6_EEPKT4_S3_PKS5_S9_S3_SB_S6_S9_S3_SB_S9_S3_PS5_21rocsparse_index_base_SD_SD_SD_bbb.kd
    .uniform_work_group_size: 1
    .uses_dynamic_stack: false
    .vgpr_count:     27
    .vgpr_spill_count: 0
    .wavefront_size: 32
    .workgroup_processor_mode: 1
  - .args:
      - .offset:         0
        .size:           8
        .value_kind:     by_value
      - .actual_access:  read_only
        .address_space:  global
        .offset:         8
        .size:           8
        .value_kind:     global_buffer
      - .actual_access:  read_only
        .address_space:  global
        .offset:         16
        .size:           8
        .value_kind:     global_buffer
      - .offset:         24
        .size:           8
        .value_kind:     by_value
      - .actual_access:  read_only
        .address_space:  global
        .offset:         32
        .size:           8
        .value_kind:     global_buffer
      - .actual_access:  read_only
        .address_space:  global
        .offset:         40
        .size:           8
        .value_kind:     global_buffer
      - .actual_access:  read_only
        .address_space:  global
        .offset:         48
        .size:           8
        .value_kind:     global_buffer
      - .actual_access:  read_only
        .address_space:  global
        .offset:         56
        .size:           8
        .value_kind:     global_buffer
      - .actual_access:  read_only
        .address_space:  global
        .offset:         64
        .size:           8
        .value_kind:     global_buffer
      - .actual_access:  read_only
        .address_space:  global
        .offset:         72
        .size:           8
        .value_kind:     global_buffer
      - .offset:         80
        .size:           8
        .value_kind:     by_value
      - .actual_access:  read_only
        .address_space:  global
        .offset:         88
        .size:           8
        .value_kind:     global_buffer
      - .actual_access:  read_only
        .address_space:  global
        .offset:         96
        .size:           8
        .value_kind:     global_buffer
      - .actual_access:  read_only
        .address_space:  global
        .offset:         104
        .size:           8
        .value_kind:     global_buffer
      - .actual_access:  read_only
        .address_space:  global
        .offset:         112
        .size:           8
        .value_kind:     global_buffer
      - .actual_access:  read_only
        .address_space:  global
        .offset:         120
        .size:           8
        .value_kind:     global_buffer
      - .actual_access:  write_only
        .address_space:  global
        .offset:         128
        .size:           8
        .value_kind:     global_buffer
      - .offset:         136
        .size:           4
        .value_kind:     by_value
      - .offset:         140
        .size:           4
        .value_kind:     by_value
      - .offset:         144
        .size:           4
        .value_kind:     by_value
      - .offset:         148
        .size:           4
        .value_kind:     by_value
      - .offset:         152
        .size:           1
        .value_kind:     by_value
      - .offset:         153
        .size:           1
        .value_kind:     by_value
      - .offset:         154
        .size:           1
        .value_kind:     by_value
    .group_segment_fixed_size: 0
    .kernarg_segment_align: 8
    .kernarg_segment_size: 156
    .language:       OpenCL C
    .language_version:
      - 2
      - 0
    .max_flat_workgroup_size: 1024
    .name:           _ZN9rocsparseL41csrgemm_numeric_fill_block_per_row_kernelILj1024ELj32ELj2048ELj137ELj32ElldEEvT5_PKS1_S3_NS_24const_host_device_scalarIT6_EEPKT4_S3_PKS5_S9_S3_SB_S6_S9_S3_SB_S9_S3_PS5_21rocsparse_index_base_SD_SD_SD_bbb
    .private_segment_fixed_size: 0
    .sgpr_count:     54
    .sgpr_spill_count: 0
    .symbol:         _ZN9rocsparseL41csrgemm_numeric_fill_block_per_row_kernelILj1024ELj32ELj2048ELj137ELj32ElldEEvT5_PKS1_S3_NS_24const_host_device_scalarIT6_EEPKT4_S3_PKS5_S9_S3_SB_S6_S9_S3_SB_S9_S3_PS5_21rocsparse_index_base_SD_SD_SD_bbb.kd
    .uniform_work_group_size: 1
    .uses_dynamic_stack: false
    .vgpr_count:     28
    .vgpr_spill_count: 0
    .wavefront_size: 32
    .workgroup_processor_mode: 1
  - .args:
      - .offset:         0
        .size:           8
        .value_kind:     by_value
      - .actual_access:  read_only
        .address_space:  global
        .offset:         8
        .size:           8
        .value_kind:     global_buffer
      - .actual_access:  read_only
        .address_space:  global
        .offset:         16
        .size:           8
        .value_kind:     global_buffer
      - .offset:         24
        .size:           8
        .value_kind:     by_value
      - .actual_access:  read_only
        .address_space:  global
        .offset:         32
        .size:           8
        .value_kind:     global_buffer
      - .actual_access:  read_only
        .address_space:  global
        .offset:         40
        .size:           8
        .value_kind:     global_buffer
      - .actual_access:  read_only
        .address_space:  global
        .offset:         48
        .size:           8
        .value_kind:     global_buffer
      - .actual_access:  read_only
        .address_space:  global
        .offset:         56
        .size:           8
        .value_kind:     global_buffer
      - .actual_access:  read_only
        .address_space:  global
        .offset:         64
        .size:           8
        .value_kind:     global_buffer
      - .actual_access:  read_only
        .address_space:  global
        .offset:         72
        .size:           8
        .value_kind:     global_buffer
      - .offset:         80
        .size:           8
        .value_kind:     by_value
      - .actual_access:  read_only
        .address_space:  global
        .offset:         88
        .size:           8
        .value_kind:     global_buffer
      - .actual_access:  read_only
        .address_space:  global
        .offset:         96
        .size:           8
        .value_kind:     global_buffer
      - .actual_access:  read_only
        .address_space:  global
        .offset:         104
        .size:           8
        .value_kind:     global_buffer
      - .actual_access:  read_only
        .address_space:  global
        .offset:         112
        .size:           8
        .value_kind:     global_buffer
      - .actual_access:  read_only
        .address_space:  global
        .offset:         120
        .size:           8
        .value_kind:     global_buffer
      - .actual_access:  write_only
        .address_space:  global
        .offset:         128
        .size:           8
        .value_kind:     global_buffer
      - .offset:         136
        .size:           4
        .value_kind:     by_value
      - .offset:         140
        .size:           4
        .value_kind:     by_value
      - .offset:         144
        .size:           4
        .value_kind:     by_value
      - .offset:         148
        .size:           4
        .value_kind:     by_value
      - .offset:         152
        .size:           1
        .value_kind:     by_value
      - .offset:         153
        .size:           1
        .value_kind:     by_value
      - .offset:         154
        .size:           1
        .value_kind:     by_value
    .group_segment_fixed_size: 0
    .kernarg_segment_align: 8
    .kernarg_segment_size: 156
    .language:       OpenCL C
    .language_version:
      - 2
      - 0
    .max_flat_workgroup_size: 1024
    .name:           _ZN9rocsparseL41csrgemm_numeric_fill_block_per_row_kernelILj1024ELj32ELj2048ELj137ELj64ElldEEvT5_PKS1_S3_NS_24const_host_device_scalarIT6_EEPKT4_S3_PKS5_S9_S3_SB_S6_S9_S3_SB_S9_S3_PS5_21rocsparse_index_base_SD_SD_SD_bbb
    .private_segment_fixed_size: 0
    .sgpr_count:     44
    .sgpr_spill_count: 0
    .symbol:         _ZN9rocsparseL41csrgemm_numeric_fill_block_per_row_kernelILj1024ELj32ELj2048ELj137ELj64ElldEEvT5_PKS1_S3_NS_24const_host_device_scalarIT6_EEPKT4_S3_PKS5_S9_S3_SB_S6_S9_S3_SB_S9_S3_PS5_21rocsparse_index_base_SD_SD_SD_bbb.kd
    .uniform_work_group_size: 1
    .uses_dynamic_stack: false
    .vgpr_count:     27
    .vgpr_spill_count: 0
    .wavefront_size: 32
    .workgroup_processor_mode: 1
  - .args:
      - .offset:         0
        .size:           8
        .value_kind:     by_value
      - .actual_access:  read_only
        .address_space:  global
        .offset:         8
        .size:           8
        .value_kind:     global_buffer
      - .actual_access:  read_only
        .address_space:  global
        .offset:         16
        .size:           8
        .value_kind:     global_buffer
      - .offset:         24
        .size:           8
        .value_kind:     by_value
      - .actual_access:  read_only
        .address_space:  global
        .offset:         32
        .size:           8
        .value_kind:     global_buffer
      - .actual_access:  read_only
        .address_space:  global
        .offset:         40
        .size:           8
        .value_kind:     global_buffer
      - .actual_access:  read_only
        .address_space:  global
        .offset:         48
        .size:           8
        .value_kind:     global_buffer
      - .actual_access:  read_only
        .address_space:  global
        .offset:         56
        .size:           8
        .value_kind:     global_buffer
      - .actual_access:  read_only
        .address_space:  global
        .offset:         64
        .size:           8
        .value_kind:     global_buffer
      - .actual_access:  read_only
        .address_space:  global
        .offset:         72
        .size:           8
        .value_kind:     global_buffer
      - .offset:         80
        .size:           8
        .value_kind:     by_value
      - .actual_access:  read_only
        .address_space:  global
        .offset:         88
        .size:           8
        .value_kind:     global_buffer
      - .actual_access:  read_only
        .address_space:  global
        .offset:         96
        .size:           8
        .value_kind:     global_buffer
      - .actual_access:  read_only
        .address_space:  global
        .offset:         104
        .size:           8
        .value_kind:     global_buffer
      - .actual_access:  read_only
        .address_space:  global
        .offset:         112
        .size:           8
        .value_kind:     global_buffer
      - .actual_access:  read_only
        .address_space:  global
        .offset:         120
        .size:           8
        .value_kind:     global_buffer
      - .actual_access:  write_only
        .address_space:  global
        .offset:         128
        .size:           8
        .value_kind:     global_buffer
      - .offset:         136
        .size:           4
        .value_kind:     by_value
      - .offset:         140
        .size:           4
        .value_kind:     by_value
      - .offset:         144
        .size:           4
        .value_kind:     by_value
      - .offset:         148
        .size:           4
        .value_kind:     by_value
      - .offset:         152
        .size:           1
        .value_kind:     by_value
      - .offset:         153
        .size:           1
        .value_kind:     by_value
      - .offset:         154
        .size:           1
        .value_kind:     by_value
    .group_segment_fixed_size: 0
    .kernarg_segment_align: 8
    .kernarg_segment_size: 156
    .language:       OpenCL C
    .language_version:
      - 2
      - 0
    .max_flat_workgroup_size: 1024
    .name:           _ZN9rocsparseL41csrgemm_numeric_fill_block_per_row_kernelILj1024ELj64ELj4096ELj137ELj32ElldEEvT5_PKS1_S3_NS_24const_host_device_scalarIT6_EEPKT4_S3_PKS5_S9_S3_SB_S6_S9_S3_SB_S9_S3_PS5_21rocsparse_index_base_SD_SD_SD_bbb
    .private_segment_fixed_size: 0
    .sgpr_count:     78
    .sgpr_spill_count: 0
    .symbol:         _ZN9rocsparseL41csrgemm_numeric_fill_block_per_row_kernelILj1024ELj64ELj4096ELj137ELj32ElldEEvT5_PKS1_S3_NS_24const_host_device_scalarIT6_EEPKT4_S3_PKS5_S9_S3_SB_S6_S9_S3_SB_S9_S3_PS5_21rocsparse_index_base_SD_SD_SD_bbb.kd
    .uniform_work_group_size: 1
    .uses_dynamic_stack: false
    .vgpr_count:     27
    .vgpr_spill_count: 0
    .wavefront_size: 32
    .workgroup_processor_mode: 1
  - .args:
      - .offset:         0
        .size:           8
        .value_kind:     by_value
      - .actual_access:  read_only
        .address_space:  global
        .offset:         8
        .size:           8
        .value_kind:     global_buffer
      - .actual_access:  read_only
        .address_space:  global
        .offset:         16
        .size:           8
        .value_kind:     global_buffer
      - .offset:         24
        .size:           8
        .value_kind:     by_value
      - .actual_access:  read_only
        .address_space:  global
        .offset:         32
        .size:           8
        .value_kind:     global_buffer
      - .actual_access:  read_only
        .address_space:  global
        .offset:         40
        .size:           8
        .value_kind:     global_buffer
      - .actual_access:  read_only
        .address_space:  global
        .offset:         48
        .size:           8
        .value_kind:     global_buffer
      - .actual_access:  read_only
        .address_space:  global
        .offset:         56
        .size:           8
        .value_kind:     global_buffer
      - .actual_access:  read_only
        .address_space:  global
        .offset:         64
        .size:           8
        .value_kind:     global_buffer
      - .actual_access:  read_only
        .address_space:  global
        .offset:         72
        .size:           8
        .value_kind:     global_buffer
      - .offset:         80
        .size:           8
        .value_kind:     by_value
      - .actual_access:  read_only
        .address_space:  global
        .offset:         88
        .size:           8
        .value_kind:     global_buffer
      - .actual_access:  read_only
        .address_space:  global
        .offset:         96
        .size:           8
        .value_kind:     global_buffer
      - .actual_access:  read_only
        .address_space:  global
        .offset:         104
        .size:           8
        .value_kind:     global_buffer
      - .actual_access:  read_only
        .address_space:  global
        .offset:         112
        .size:           8
        .value_kind:     global_buffer
      - .actual_access:  read_only
        .address_space:  global
        .offset:         120
        .size:           8
        .value_kind:     global_buffer
      - .actual_access:  write_only
        .address_space:  global
        .offset:         128
        .size:           8
        .value_kind:     global_buffer
      - .offset:         136
        .size:           4
        .value_kind:     by_value
      - .offset:         140
        .size:           4
        .value_kind:     by_value
      - .offset:         144
        .size:           4
        .value_kind:     by_value
      - .offset:         148
        .size:           4
        .value_kind:     by_value
      - .offset:         152
        .size:           1
        .value_kind:     by_value
      - .offset:         153
        .size:           1
        .value_kind:     by_value
      - .offset:         154
        .size:           1
        .value_kind:     by_value
    .group_segment_fixed_size: 0
    .kernarg_segment_align: 8
    .kernarg_segment_size: 156
    .language:       OpenCL C
    .language_version:
      - 2
      - 0
    .max_flat_workgroup_size: 1024
    .name:           _ZN9rocsparseL41csrgemm_numeric_fill_block_per_row_kernelILj1024ELj64ELj4096ELj137ELj64ElldEEvT5_PKS1_S3_NS_24const_host_device_scalarIT6_EEPKT4_S3_PKS5_S9_S3_SB_S6_S9_S3_SB_S9_S3_PS5_21rocsparse_index_base_SD_SD_SD_bbb
    .private_segment_fixed_size: 0
    .sgpr_count:     46
    .sgpr_spill_count: 0
    .symbol:         _ZN9rocsparseL41csrgemm_numeric_fill_block_per_row_kernelILj1024ELj64ELj4096ELj137ELj64ElldEEvT5_PKS1_S3_NS_24const_host_device_scalarIT6_EEPKT4_S3_PKS5_S9_S3_SB_S6_S9_S3_SB_S9_S3_PS5_21rocsparse_index_base_SD_SD_SD_bbb.kd
    .uniform_work_group_size: 1
    .uses_dynamic_stack: false
    .vgpr_count:     28
    .vgpr_spill_count: 0
    .wavefront_size: 32
    .workgroup_processor_mode: 1
  - .args:
      - .offset:         0
        .size:           8
        .value_kind:     by_value
      - .actual_access:  read_only
        .address_space:  global
        .offset:         8
        .size:           8
        .value_kind:     global_buffer
      - .actual_access:  read_only
        .address_space:  global
        .offset:         16
        .size:           8
        .value_kind:     global_buffer
      - .offset:         24
        .size:           8
        .value_kind:     by_value
      - .actual_access:  read_only
        .address_space:  global
        .offset:         32
        .size:           8
        .value_kind:     global_buffer
      - .actual_access:  read_only
        .address_space:  global
        .offset:         40
        .size:           8
        .value_kind:     global_buffer
      - .actual_access:  read_only
        .address_space:  global
        .offset:         48
        .size:           8
        .value_kind:     global_buffer
      - .actual_access:  read_only
        .address_space:  global
        .offset:         56
        .size:           8
        .value_kind:     global_buffer
      - .actual_access:  read_only
        .address_space:  global
        .offset:         64
        .size:           8
        .value_kind:     global_buffer
      - .actual_access:  read_only
        .address_space:  global
        .offset:         72
        .size:           8
        .value_kind:     global_buffer
      - .offset:         80
        .size:           8
        .value_kind:     by_value
      - .actual_access:  read_only
        .address_space:  global
        .offset:         88
        .size:           8
        .value_kind:     global_buffer
      - .actual_access:  read_only
        .address_space:  global
        .offset:         96
        .size:           8
        .value_kind:     global_buffer
      - .actual_access:  read_only
        .address_space:  global
        .offset:         104
        .size:           8
        .value_kind:     global_buffer
      - .actual_access:  read_only
        .address_space:  global
        .offset:         112
        .size:           8
        .value_kind:     global_buffer
      - .actual_access:  read_only
        .address_space:  global
        .offset:         120
        .size:           8
        .value_kind:     global_buffer
      - .actual_access:  write_only
        .address_space:  global
        .offset:         128
        .size:           8
        .value_kind:     global_buffer
      - .offset:         136
        .size:           4
        .value_kind:     by_value
      - .offset:         140
        .size:           4
        .value_kind:     by_value
      - .offset:         144
        .size:           4
        .value_kind:     by_value
      - .offset:         148
        .size:           4
        .value_kind:     by_value
      - .offset:         152
        .size:           1
        .value_kind:     by_value
      - .offset:         153
        .size:           1
        .value_kind:     by_value
      - .offset:         154
        .size:           1
        .value_kind:     by_value
    .group_segment_fixed_size: 0
    .kernarg_segment_align: 8
    .kernarg_segment_size: 156
    .language:       OpenCL C
    .language_version:
      - 2
      - 0
    .max_flat_workgroup_size: 1024
    .name:           _ZN9rocsparseL41csrgemm_numeric_fill_block_per_row_kernelILj1024ELj64ELj8192ELj137ELj32ElldEEvT5_PKS1_S3_NS_24const_host_device_scalarIT6_EEPKT4_S3_PKS5_S9_S3_SB_S6_S9_S3_SB_S9_S3_PS5_21rocsparse_index_base_SD_SD_SD_bbb
    .private_segment_fixed_size: 0
    .sgpr_count:     78
    .sgpr_spill_count: 0
    .symbol:         _ZN9rocsparseL41csrgemm_numeric_fill_block_per_row_kernelILj1024ELj64ELj8192ELj137ELj32ElldEEvT5_PKS1_S3_NS_24const_host_device_scalarIT6_EEPKT4_S3_PKS5_S9_S3_SB_S6_S9_S3_SB_S9_S3_PS5_21rocsparse_index_base_SD_SD_SD_bbb.kd
    .uniform_work_group_size: 1
    .uses_dynamic_stack: false
    .vgpr_count:     26
    .vgpr_spill_count: 0
    .wavefront_size: 32
    .workgroup_processor_mode: 1
  - .args:
      - .offset:         0
        .size:           8
        .value_kind:     by_value
      - .actual_access:  read_only
        .address_space:  global
        .offset:         8
        .size:           8
        .value_kind:     global_buffer
      - .actual_access:  read_only
        .address_space:  global
        .offset:         16
        .size:           8
        .value_kind:     global_buffer
      - .offset:         24
        .size:           8
        .value_kind:     by_value
      - .actual_access:  read_only
        .address_space:  global
        .offset:         32
        .size:           8
        .value_kind:     global_buffer
      - .actual_access:  read_only
        .address_space:  global
        .offset:         40
        .size:           8
        .value_kind:     global_buffer
      - .actual_access:  read_only
        .address_space:  global
        .offset:         48
        .size:           8
        .value_kind:     global_buffer
      - .actual_access:  read_only
        .address_space:  global
        .offset:         56
        .size:           8
        .value_kind:     global_buffer
      - .actual_access:  read_only
        .address_space:  global
        .offset:         64
        .size:           8
        .value_kind:     global_buffer
      - .actual_access:  read_only
        .address_space:  global
        .offset:         72
        .size:           8
        .value_kind:     global_buffer
      - .offset:         80
        .size:           8
        .value_kind:     by_value
      - .actual_access:  read_only
        .address_space:  global
        .offset:         88
        .size:           8
        .value_kind:     global_buffer
      - .actual_access:  read_only
        .address_space:  global
        .offset:         96
        .size:           8
        .value_kind:     global_buffer
      - .actual_access:  read_only
        .address_space:  global
        .offset:         104
        .size:           8
        .value_kind:     global_buffer
      - .actual_access:  read_only
        .address_space:  global
        .offset:         112
        .size:           8
        .value_kind:     global_buffer
      - .actual_access:  read_only
        .address_space:  global
        .offset:         120
        .size:           8
        .value_kind:     global_buffer
      - .actual_access:  write_only
        .address_space:  global
        .offset:         128
        .size:           8
        .value_kind:     global_buffer
      - .offset:         136
        .size:           4
        .value_kind:     by_value
      - .offset:         140
        .size:           4
        .value_kind:     by_value
      - .offset:         144
        .size:           4
        .value_kind:     by_value
      - .offset:         148
        .size:           4
        .value_kind:     by_value
      - .offset:         152
        .size:           1
        .value_kind:     by_value
      - .offset:         153
        .size:           1
        .value_kind:     by_value
      - .offset:         154
        .size:           1
        .value_kind:     by_value
    .group_segment_fixed_size: 0
    .kernarg_segment_align: 8
    .kernarg_segment_size: 156
    .language:       OpenCL C
    .language_version:
      - 2
      - 0
    .max_flat_workgroup_size: 1024
    .name:           _ZN9rocsparseL41csrgemm_numeric_fill_block_per_row_kernelILj1024ELj64ELj8192ELj137ELj64ElldEEvT5_PKS1_S3_NS_24const_host_device_scalarIT6_EEPKT4_S3_PKS5_S9_S3_SB_S6_S9_S3_SB_S9_S3_PS5_21rocsparse_index_base_SD_SD_SD_bbb
    .private_segment_fixed_size: 0
    .sgpr_count:     46
    .sgpr_spill_count: 0
    .symbol:         _ZN9rocsparseL41csrgemm_numeric_fill_block_per_row_kernelILj1024ELj64ELj8192ELj137ELj64ElldEEvT5_PKS1_S3_NS_24const_host_device_scalarIT6_EEPKT4_S3_PKS5_S9_S3_SB_S6_S9_S3_SB_S9_S3_PS5_21rocsparse_index_base_SD_SD_SD_bbb.kd
    .uniform_work_group_size: 1
    .uses_dynamic_stack: false
    .vgpr_count:     27
    .vgpr_spill_count: 0
    .wavefront_size: 32
    .workgroup_processor_mode: 1
  - .args:
      - .offset:         0
        .size:           8
        .value_kind:     by_value
      - .actual_access:  read_only
        .address_space:  global
        .offset:         8
        .size:           8
        .value_kind:     global_buffer
      - .actual_access:  read_only
        .address_space:  global
        .offset:         16
        .size:           8
        .value_kind:     global_buffer
      - .offset:         24
        .size:           8
        .value_kind:     by_value
      - .actual_access:  read_only
        .address_space:  global
        .offset:         32
        .size:           8
        .value_kind:     global_buffer
      - .actual_access:  read_only
        .address_space:  global
        .offset:         40
        .size:           8
        .value_kind:     global_buffer
      - .actual_access:  read_only
        .address_space:  global
        .offset:         48
        .size:           8
        .value_kind:     global_buffer
      - .actual_access:  read_only
        .address_space:  global
        .offset:         56
        .size:           8
        .value_kind:     global_buffer
      - .actual_access:  read_only
        .address_space:  global
        .offset:         64
        .size:           8
        .value_kind:     global_buffer
      - .actual_access:  read_only
        .address_space:  global
        .offset:         72
        .size:           8
        .value_kind:     global_buffer
      - .offset:         80
        .size:           8
        .value_kind:     by_value
      - .actual_access:  read_only
        .address_space:  global
        .offset:         88
        .size:           8
        .value_kind:     global_buffer
      - .actual_access:  read_only
        .address_space:  global
        .offset:         96
        .size:           8
        .value_kind:     global_buffer
      - .actual_access:  read_only
        .address_space:  global
        .offset:         104
        .size:           8
        .value_kind:     global_buffer
      - .actual_access:  read_only
        .address_space:  global
        .offset:         112
        .size:           8
        .value_kind:     global_buffer
      - .actual_access:  read_only
        .address_space:  global
        .offset:         120
        .size:           8
        .value_kind:     global_buffer
      - .actual_access:  write_only
        .address_space:  global
        .offset:         128
        .size:           8
        .value_kind:     global_buffer
      - .offset:         136
        .size:           4
        .value_kind:     by_value
      - .offset:         140
        .size:           4
        .value_kind:     by_value
      - .offset:         144
        .size:           4
        .value_kind:     by_value
      - .offset:         148
        .size:           4
        .value_kind:     by_value
      - .offset:         152
        .size:           1
        .value_kind:     by_value
      - .offset:         153
        .size:           1
        .value_kind:     by_value
      - .offset:         154
        .size:           1
        .value_kind:     by_value
    .group_segment_fixed_size: 0
    .kernarg_segment_align: 8
    .kernarg_segment_size: 156
    .language:       OpenCL C
    .language_version:
      - 2
      - 0
    .max_flat_workgroup_size: 1024
    .name:           _ZN9rocsparseL41csrgemm_numeric_fill_block_per_row_kernelILj1024ELj64ELj16384ELj137ELj32ElldEEvT5_PKS1_S3_NS_24const_host_device_scalarIT6_EEPKT4_S3_PKS5_S9_S3_SB_S6_S9_S3_SB_S9_S3_PS5_21rocsparse_index_base_SD_SD_SD_bbb
    .private_segment_fixed_size: 0
    .sgpr_count:     78
    .sgpr_spill_count: 0
    .symbol:         _ZN9rocsparseL41csrgemm_numeric_fill_block_per_row_kernelILj1024ELj64ELj16384ELj137ELj32ElldEEvT5_PKS1_S3_NS_24const_host_device_scalarIT6_EEPKT4_S3_PKS5_S9_S3_SB_S6_S9_S3_SB_S9_S3_PS5_21rocsparse_index_base_SD_SD_SD_bbb.kd
    .uniform_work_group_size: 1
    .uses_dynamic_stack: false
    .vgpr_count:     27
    .vgpr_spill_count: 0
    .wavefront_size: 32
    .workgroup_processor_mode: 1
  - .args:
      - .offset:         0
        .size:           8
        .value_kind:     by_value
      - .actual_access:  read_only
        .address_space:  global
        .offset:         8
        .size:           8
        .value_kind:     global_buffer
      - .actual_access:  read_only
        .address_space:  global
        .offset:         16
        .size:           8
        .value_kind:     global_buffer
      - .offset:         24
        .size:           8
        .value_kind:     by_value
      - .actual_access:  read_only
        .address_space:  global
        .offset:         32
        .size:           8
        .value_kind:     global_buffer
      - .actual_access:  read_only
        .address_space:  global
        .offset:         40
        .size:           8
        .value_kind:     global_buffer
      - .actual_access:  read_only
        .address_space:  global
        .offset:         48
        .size:           8
        .value_kind:     global_buffer
      - .actual_access:  read_only
        .address_space:  global
        .offset:         56
        .size:           8
        .value_kind:     global_buffer
      - .actual_access:  read_only
        .address_space:  global
        .offset:         64
        .size:           8
        .value_kind:     global_buffer
      - .actual_access:  read_only
        .address_space:  global
        .offset:         72
        .size:           8
        .value_kind:     global_buffer
      - .offset:         80
        .size:           8
        .value_kind:     by_value
      - .actual_access:  read_only
        .address_space:  global
        .offset:         88
        .size:           8
        .value_kind:     global_buffer
      - .actual_access:  read_only
        .address_space:  global
        .offset:         96
        .size:           8
        .value_kind:     global_buffer
      - .actual_access:  read_only
        .address_space:  global
        .offset:         104
        .size:           8
        .value_kind:     global_buffer
      - .actual_access:  read_only
        .address_space:  global
        .offset:         112
        .size:           8
        .value_kind:     global_buffer
      - .actual_access:  read_only
        .address_space:  global
        .offset:         120
        .size:           8
        .value_kind:     global_buffer
      - .actual_access:  write_only
        .address_space:  global
        .offset:         128
        .size:           8
        .value_kind:     global_buffer
      - .offset:         136
        .size:           4
        .value_kind:     by_value
      - .offset:         140
        .size:           4
        .value_kind:     by_value
      - .offset:         144
        .size:           4
        .value_kind:     by_value
      - .offset:         148
        .size:           4
        .value_kind:     by_value
      - .offset:         152
        .size:           1
        .value_kind:     by_value
      - .offset:         153
        .size:           1
        .value_kind:     by_value
      - .offset:         154
        .size:           1
        .value_kind:     by_value
    .group_segment_fixed_size: 0
    .kernarg_segment_align: 8
    .kernarg_segment_size: 156
    .language:       OpenCL C
    .language_version:
      - 2
      - 0
    .max_flat_workgroup_size: 1024
    .name:           _ZN9rocsparseL41csrgemm_numeric_fill_block_per_row_kernelILj1024ELj64ELj16384ELj137ELj64ElldEEvT5_PKS1_S3_NS_24const_host_device_scalarIT6_EEPKT4_S3_PKS5_S9_S3_SB_S6_S9_S3_SB_S9_S3_PS5_21rocsparse_index_base_SD_SD_SD_bbb
    .private_segment_fixed_size: 0
    .sgpr_count:     46
    .sgpr_spill_count: 0
    .symbol:         _ZN9rocsparseL41csrgemm_numeric_fill_block_per_row_kernelILj1024ELj64ELj16384ELj137ELj64ElldEEvT5_PKS1_S3_NS_24const_host_device_scalarIT6_EEPKT4_S3_PKS5_S9_S3_SB_S6_S9_S3_SB_S9_S3_PS5_21rocsparse_index_base_SD_SD_SD_bbb.kd
    .uniform_work_group_size: 1
    .uses_dynamic_stack: false
    .vgpr_count:     28
    .vgpr_spill_count: 0
    .wavefront_size: 32
    .workgroup_processor_mode: 1
  - .args:
      - .offset:         0
        .size:           8
        .value_kind:     by_value
      - .actual_access:  read_only
        .address_space:  global
        .offset:         8
        .size:           8
        .value_kind:     global_buffer
      - .actual_access:  read_only
        .address_space:  global
        .offset:         16
        .size:           8
        .value_kind:     global_buffer
      - .offset:         24
        .size:           8
        .value_kind:     by_value
      - .actual_access:  read_only
        .address_space:  global
        .offset:         32
        .size:           8
        .value_kind:     global_buffer
      - .actual_access:  read_only
        .address_space:  global
        .offset:         40
        .size:           8
        .value_kind:     global_buffer
      - .actual_access:  read_only
        .address_space:  global
        .offset:         48
        .size:           8
        .value_kind:     global_buffer
      - .actual_access:  read_only
        .address_space:  global
        .offset:         56
        .size:           8
        .value_kind:     global_buffer
      - .actual_access:  read_only
        .address_space:  global
        .offset:         64
        .size:           8
        .value_kind:     global_buffer
      - .actual_access:  read_only
        .address_space:  global
        .offset:         72
        .size:           8
        .value_kind:     global_buffer
      - .offset:         80
        .size:           8
        .value_kind:     by_value
      - .actual_access:  read_only
        .address_space:  global
        .offset:         88
        .size:           8
        .value_kind:     global_buffer
      - .actual_access:  read_only
        .address_space:  global
        .offset:         96
        .size:           8
        .value_kind:     global_buffer
      - .actual_access:  read_only
        .address_space:  global
        .offset:         104
        .size:           8
        .value_kind:     global_buffer
      - .actual_access:  read_only
        .address_space:  global
        .offset:         112
        .size:           8
        .value_kind:     global_buffer
      - .actual_access:  read_only
        .address_space:  global
        .offset:         120
        .size:           8
        .value_kind:     global_buffer
      - .actual_access:  write_only
        .address_space:  global
        .offset:         128
        .size:           8
        .value_kind:     global_buffer
      - .offset:         136
        .size:           4
        .value_kind:     by_value
      - .offset:         140
        .size:           4
        .value_kind:     by_value
      - .offset:         144
        .size:           4
        .value_kind:     by_value
      - .offset:         148
        .size:           4
        .value_kind:     by_value
      - .offset:         152
        .size:           1
        .value_kind:     by_value
      - .offset:         153
        .size:           1
        .value_kind:     by_value
      - .offset:         154
        .size:           1
        .value_kind:     by_value
    .group_segment_fixed_size: 0
    .kernarg_segment_align: 8
    .kernarg_segment_size: 156
    .language:       OpenCL C
    .language_version:
      - 2
      - 0
    .max_flat_workgroup_size: 1024
    .name:           _ZN9rocsparseL41csrgemm_numeric_fill_block_per_row_kernelILj1024ELj64ELj32768ELj137ELj32ElldEEvT5_PKS1_S3_NS_24const_host_device_scalarIT6_EEPKT4_S3_PKS5_S9_S3_SB_S6_S9_S3_SB_S9_S3_PS5_21rocsparse_index_base_SD_SD_SD_bbb
    .private_segment_fixed_size: 0
    .sgpr_count:     78
    .sgpr_spill_count: 0
    .symbol:         _ZN9rocsparseL41csrgemm_numeric_fill_block_per_row_kernelILj1024ELj64ELj32768ELj137ELj32ElldEEvT5_PKS1_S3_NS_24const_host_device_scalarIT6_EEPKT4_S3_PKS5_S9_S3_SB_S6_S9_S3_SB_S9_S3_PS5_21rocsparse_index_base_SD_SD_SD_bbb.kd
    .uniform_work_group_size: 1
    .uses_dynamic_stack: false
    .vgpr_count:     27
    .vgpr_spill_count: 0
    .wavefront_size: 32
    .workgroup_processor_mode: 1
  - .args:
      - .offset:         0
        .size:           8
        .value_kind:     by_value
      - .actual_access:  read_only
        .address_space:  global
        .offset:         8
        .size:           8
        .value_kind:     global_buffer
      - .actual_access:  read_only
        .address_space:  global
        .offset:         16
        .size:           8
        .value_kind:     global_buffer
      - .offset:         24
        .size:           8
        .value_kind:     by_value
      - .actual_access:  read_only
        .address_space:  global
        .offset:         32
        .size:           8
        .value_kind:     global_buffer
      - .actual_access:  read_only
        .address_space:  global
        .offset:         40
        .size:           8
        .value_kind:     global_buffer
      - .actual_access:  read_only
        .address_space:  global
        .offset:         48
        .size:           8
        .value_kind:     global_buffer
      - .actual_access:  read_only
        .address_space:  global
        .offset:         56
        .size:           8
        .value_kind:     global_buffer
      - .actual_access:  read_only
        .address_space:  global
        .offset:         64
        .size:           8
        .value_kind:     global_buffer
      - .actual_access:  read_only
        .address_space:  global
        .offset:         72
        .size:           8
        .value_kind:     global_buffer
      - .offset:         80
        .size:           8
        .value_kind:     by_value
      - .actual_access:  read_only
        .address_space:  global
        .offset:         88
        .size:           8
        .value_kind:     global_buffer
      - .actual_access:  read_only
        .address_space:  global
        .offset:         96
        .size:           8
        .value_kind:     global_buffer
      - .actual_access:  read_only
        .address_space:  global
        .offset:         104
        .size:           8
        .value_kind:     global_buffer
      - .actual_access:  read_only
        .address_space:  global
        .offset:         112
        .size:           8
        .value_kind:     global_buffer
      - .actual_access:  read_only
        .address_space:  global
        .offset:         120
        .size:           8
        .value_kind:     global_buffer
      - .actual_access:  write_only
        .address_space:  global
        .offset:         128
        .size:           8
        .value_kind:     global_buffer
      - .offset:         136
        .size:           4
        .value_kind:     by_value
      - .offset:         140
        .size:           4
        .value_kind:     by_value
      - .offset:         144
        .size:           4
        .value_kind:     by_value
      - .offset:         148
        .size:           4
        .value_kind:     by_value
      - .offset:         152
        .size:           1
        .value_kind:     by_value
      - .offset:         153
        .size:           1
        .value_kind:     by_value
      - .offset:         154
        .size:           1
        .value_kind:     by_value
    .group_segment_fixed_size: 0
    .kernarg_segment_align: 8
    .kernarg_segment_size: 156
    .language:       OpenCL C
    .language_version:
      - 2
      - 0
    .max_flat_workgroup_size: 1024
    .name:           _ZN9rocsparseL41csrgemm_numeric_fill_block_per_row_kernelILj1024ELj64ELj32768ELj137ELj64ElldEEvT5_PKS1_S3_NS_24const_host_device_scalarIT6_EEPKT4_S3_PKS5_S9_S3_SB_S6_S9_S3_SB_S9_S3_PS5_21rocsparse_index_base_SD_SD_SD_bbb
    .private_segment_fixed_size: 0
    .sgpr_count:     46
    .sgpr_spill_count: 0
    .symbol:         _ZN9rocsparseL41csrgemm_numeric_fill_block_per_row_kernelILj1024ELj64ELj32768ELj137ELj64ElldEEvT5_PKS1_S3_NS_24const_host_device_scalarIT6_EEPKT4_S3_PKS5_S9_S3_SB_S6_S9_S3_SB_S9_S3_PS5_21rocsparse_index_base_SD_SD_SD_bbb.kd
    .uniform_work_group_size: 1
    .uses_dynamic_stack: false
    .vgpr_count:     28
    .vgpr_spill_count: 0
    .wavefront_size: 32
    .workgroup_processor_mode: 1
  - .args:
      - .offset:         0
        .size:           8
        .value_kind:     by_value
      - .actual_access:  read_only
        .address_space:  global
        .offset:         8
        .size:           8
        .value_kind:     global_buffer
      - .actual_access:  read_only
        .address_space:  global
        .offset:         16
        .size:           8
        .value_kind:     global_buffer
      - .offset:         24
        .size:           8
        .value_kind:     by_value
      - .actual_access:  read_only
        .address_space:  global
        .offset:         32
        .size:           8
        .value_kind:     global_buffer
      - .actual_access:  read_only
        .address_space:  global
        .offset:         40
        .size:           8
        .value_kind:     global_buffer
      - .actual_access:  read_only
        .address_space:  global
        .offset:         48
        .size:           8
        .value_kind:     global_buffer
      - .actual_access:  read_only
        .address_space:  global
        .offset:         56
        .size:           8
        .value_kind:     global_buffer
      - .actual_access:  read_only
        .address_space:  global
        .offset:         64
        .size:           8
        .value_kind:     global_buffer
      - .actual_access:  read_only
        .address_space:  global
        .offset:         72
        .size:           8
        .value_kind:     global_buffer
      - .offset:         80
        .size:           8
        .value_kind:     by_value
      - .actual_access:  read_only
        .address_space:  global
        .offset:         88
        .size:           8
        .value_kind:     global_buffer
      - .actual_access:  read_only
        .address_space:  global
        .offset:         96
        .size:           8
        .value_kind:     global_buffer
      - .actual_access:  read_only
        .address_space:  global
        .offset:         104
        .size:           8
        .value_kind:     global_buffer
      - .actual_access:  read_only
        .address_space:  global
        .offset:         112
        .size:           8
        .value_kind:     global_buffer
      - .actual_access:  read_only
        .address_space:  global
        .offset:         120
        .size:           8
        .value_kind:     global_buffer
      - .actual_access:  write_only
        .address_space:  global
        .offset:         128
        .size:           8
        .value_kind:     global_buffer
      - .address_space:  global
        .offset:         136
        .size:           8
        .value_kind:     global_buffer
      - .offset:         144
        .size:           4
        .value_kind:     by_value
      - .offset:         148
        .size:           4
        .value_kind:     by_value
      - .offset:         152
        .size:           4
        .value_kind:     by_value
      - .offset:         156
        .size:           4
        .value_kind:     by_value
      - .offset:         160
        .size:           1
        .value_kind:     by_value
      - .offset:         161
        .size:           1
        .value_kind:     by_value
      - .offset:         162
        .size:           1
        .value_kind:     by_value
    .group_segment_fixed_size: 18440
    .kernarg_segment_align: 8
    .kernarg_segment_size: 164
    .language:       OpenCL C
    .language_version:
      - 2
      - 0
    .max_flat_workgroup_size: 512
    .name:           _ZN9rocsparseL51csrgemm_numeric_fill_block_per_row_multipass_kernelILj512ELj16ELj2048ELj32ElldEEvT4_PKS1_S3_NS_24const_host_device_scalarIT5_EEPKT3_S3_PKS5_S9_S3_SB_S6_S9_S3_SB_S9_S3_PS5_PS7_21rocsparse_index_base_SE_SE_SE_bbb
    .private_segment_fixed_size: 0
    .sgpr_count:     63
    .sgpr_spill_count: 0
    .symbol:         _ZN9rocsparseL51csrgemm_numeric_fill_block_per_row_multipass_kernelILj512ELj16ELj2048ELj32ElldEEvT4_PKS1_S3_NS_24const_host_device_scalarIT5_EEPKT3_S3_PKS5_S9_S3_SB_S6_S9_S3_SB_S9_S3_PS5_PS7_21rocsparse_index_base_SE_SE_SE_bbb.kd
    .uniform_work_group_size: 1
    .uses_dynamic_stack: false
    .vgpr_count:     49
    .vgpr_spill_count: 0
    .wavefront_size: 32
    .workgroup_processor_mode: 1
  - .args:
      - .offset:         0
        .size:           8
        .value_kind:     by_value
      - .actual_access:  read_only
        .address_space:  global
        .offset:         8
        .size:           8
        .value_kind:     global_buffer
      - .actual_access:  read_only
        .address_space:  global
        .offset:         16
        .size:           8
        .value_kind:     global_buffer
      - .offset:         24
        .size:           8
        .value_kind:     by_value
      - .actual_access:  read_only
        .address_space:  global
        .offset:         32
        .size:           8
        .value_kind:     global_buffer
      - .actual_access:  read_only
        .address_space:  global
        .offset:         40
        .size:           8
        .value_kind:     global_buffer
      - .actual_access:  read_only
        .address_space:  global
        .offset:         48
        .size:           8
        .value_kind:     global_buffer
      - .actual_access:  read_only
        .address_space:  global
        .offset:         56
        .size:           8
        .value_kind:     global_buffer
      - .actual_access:  read_only
        .address_space:  global
        .offset:         64
        .size:           8
        .value_kind:     global_buffer
      - .actual_access:  read_only
        .address_space:  global
        .offset:         72
        .size:           8
        .value_kind:     global_buffer
      - .offset:         80
        .size:           8
        .value_kind:     by_value
      - .actual_access:  read_only
        .address_space:  global
        .offset:         88
        .size:           8
        .value_kind:     global_buffer
      - .actual_access:  read_only
        .address_space:  global
        .offset:         96
        .size:           8
        .value_kind:     global_buffer
      - .actual_access:  read_only
        .address_space:  global
        .offset:         104
        .size:           8
        .value_kind:     global_buffer
      - .actual_access:  read_only
        .address_space:  global
        .offset:         112
        .size:           8
        .value_kind:     global_buffer
      - .actual_access:  read_only
        .address_space:  global
        .offset:         120
        .size:           8
        .value_kind:     global_buffer
      - .actual_access:  write_only
        .address_space:  global
        .offset:         128
        .size:           8
        .value_kind:     global_buffer
      - .address_space:  global
        .offset:         136
        .size:           8
        .value_kind:     global_buffer
      - .offset:         144
        .size:           4
        .value_kind:     by_value
      - .offset:         148
        .size:           4
        .value_kind:     by_value
      - .offset:         152
        .size:           4
        .value_kind:     by_value
      - .offset:         156
        .size:           4
        .value_kind:     by_value
      - .offset:         160
        .size:           1
        .value_kind:     by_value
      - .offset:         161
        .size:           1
        .value_kind:     by_value
      - .offset:         162
        .size:           1
        .value_kind:     by_value
    .group_segment_fixed_size: 18440
    .kernarg_segment_align: 8
    .kernarg_segment_size: 164
    .language:       OpenCL C
    .language_version:
      - 2
      - 0
    .max_flat_workgroup_size: 512
    .name:           _ZN9rocsparseL51csrgemm_numeric_fill_block_per_row_multipass_kernelILj512ELj16ELj2048ELj64ElldEEvT4_PKS1_S3_NS_24const_host_device_scalarIT5_EEPKT3_S3_PKS5_S9_S3_SB_S6_S9_S3_SB_S9_S3_PS5_PS7_21rocsparse_index_base_SE_SE_SE_bbb
    .private_segment_fixed_size: 0
    .sgpr_count:     55
    .sgpr_spill_count: 0
    .symbol:         _ZN9rocsparseL51csrgemm_numeric_fill_block_per_row_multipass_kernelILj512ELj16ELj2048ELj64ElldEEvT4_PKS1_S3_NS_24const_host_device_scalarIT5_EEPKT3_S3_PKS5_S9_S3_SB_S6_S9_S3_SB_S9_S3_PS5_PS7_21rocsparse_index_base_SE_SE_SE_bbb.kd
    .uniform_work_group_size: 1
    .uses_dynamic_stack: false
    .vgpr_count:     49
    .vgpr_spill_count: 0
    .wavefront_size: 32
    .workgroup_processor_mode: 1
  - .args:
      - .offset:         0
        .size:           8
        .value_kind:     by_value
      - .offset:         8
        .size:           8
        .value_kind:     by_value
      - .actual_access:  read_only
        .address_space:  global
        .offset:         16
        .size:           8
        .value_kind:     global_buffer
      - .actual_access:  read_only
        .address_space:  global
        .offset:         24
        .size:           8
        .value_kind:     global_buffer
      - .offset:         32
        .size:           8
        .value_kind:     by_value
      - .actual_access:  read_only
        .address_space:  global
        .offset:         40
        .size:           8
        .value_kind:     global_buffer
      - .actual_access:  read_only
        .address_space:  global
        .offset:         48
        .size:           8
        .value_kind:     global_buffer
      - .actual_access:  read_only
        .address_space:  global
        .offset:         56
        .size:           8
        .value_kind:     global_buffer
      - .actual_access:  read_only
        .address_space:  global
        .offset:         64
        .size:           8
        .value_kind:     global_buffer
      - .actual_access:  read_only
        .address_space:  global
        .offset:         72
        .size:           8
        .value_kind:     global_buffer
      - .actual_access:  read_only
        .address_space:  global
        .offset:         80
        .size:           8
        .value_kind:     global_buffer
      - .offset:         88
        .size:           8
        .value_kind:     by_value
      - .actual_access:  read_only
        .address_space:  global
        .offset:         96
        .size:           8
        .value_kind:     global_buffer
      - .actual_access:  read_only
        .address_space:  global
        .offset:         104
        .size:           8
        .value_kind:     global_buffer
      - .actual_access:  read_only
        .address_space:  global
        .offset:         112
        .size:           8
        .value_kind:     global_buffer
      - .actual_access:  read_only
        .address_space:  global
        .offset:         120
        .size:           8
        .value_kind:     global_buffer
      - .actual_access:  read_only
        .address_space:  global
        .offset:         128
        .size:           8
        .value_kind:     global_buffer
      - .actual_access:  write_only
        .address_space:  global
        .offset:         136
        .size:           8
        .value_kind:     global_buffer
      - .offset:         144
        .size:           4
        .value_kind:     by_value
      - .offset:         148
        .size:           4
        .value_kind:     by_value
      - .offset:         152
        .size:           4
        .value_kind:     by_value
      - .offset:         156
        .size:           4
        .value_kind:     by_value
      - .offset:         160
        .size:           1
        .value_kind:     by_value
      - .offset:         161
        .size:           1
        .value_kind:     by_value
      - .offset:         162
        .size:           1
        .value_kind:     by_value
    .group_segment_fixed_size: 8192
    .kernarg_segment_align: 8
    .kernarg_segment_size: 164
    .language:       OpenCL C
    .language_version:
      - 2
      - 0
    .max_flat_workgroup_size: 256
    .name:           _ZN9rocsparseL38csrgemm_numeric_fill_wf_per_row_kernelILj256ELj8ELj16ELj137Ell21rocsparse_complex_numIfEEEvT4_S3_PKS3_S5_NS_24const_host_device_scalarIT5_EEPKT3_S5_PKS7_SB_S5_SD_S8_SB_S5_SD_SB_S5_PS7_21rocsparse_index_base_SF_SF_SF_bbb
    .private_segment_fixed_size: 0
    .sgpr_count:     46
    .sgpr_spill_count: 0
    .symbol:         _ZN9rocsparseL38csrgemm_numeric_fill_wf_per_row_kernelILj256ELj8ELj16ELj137Ell21rocsparse_complex_numIfEEEvT4_S3_PKS3_S5_NS_24const_host_device_scalarIT5_EEPKT3_S5_PKS7_SB_S5_SD_S8_SB_S5_SD_SB_S5_PS7_21rocsparse_index_base_SF_SF_SF_bbb.kd
    .uniform_work_group_size: 1
    .uses_dynamic_stack: false
    .vgpr_count:     41
    .vgpr_spill_count: 0
    .wavefront_size: 32
    .workgroup_processor_mode: 1
  - .args:
      - .offset:         0
        .size:           8
        .value_kind:     by_value
      - .offset:         8
        .size:           8
        .value_kind:     by_value
      - .actual_access:  read_only
        .address_space:  global
        .offset:         16
        .size:           8
        .value_kind:     global_buffer
      - .actual_access:  read_only
        .address_space:  global
        .offset:         24
        .size:           8
        .value_kind:     global_buffer
      - .offset:         32
        .size:           8
        .value_kind:     by_value
      - .actual_access:  read_only
        .address_space:  global
        .offset:         40
        .size:           8
        .value_kind:     global_buffer
      - .actual_access:  read_only
        .address_space:  global
        .offset:         48
        .size:           8
        .value_kind:     global_buffer
      - .actual_access:  read_only
        .address_space:  global
        .offset:         56
        .size:           8
        .value_kind:     global_buffer
      - .actual_access:  read_only
        .address_space:  global
        .offset:         64
        .size:           8
        .value_kind:     global_buffer
      - .actual_access:  read_only
        .address_space:  global
        .offset:         72
        .size:           8
        .value_kind:     global_buffer
      - .actual_access:  read_only
        .address_space:  global
        .offset:         80
        .size:           8
        .value_kind:     global_buffer
      - .offset:         88
        .size:           8
        .value_kind:     by_value
      - .actual_access:  read_only
        .address_space:  global
        .offset:         96
        .size:           8
        .value_kind:     global_buffer
      - .actual_access:  read_only
        .address_space:  global
        .offset:         104
        .size:           8
        .value_kind:     global_buffer
      - .actual_access:  read_only
        .address_space:  global
        .offset:         112
        .size:           8
        .value_kind:     global_buffer
      - .actual_access:  read_only
        .address_space:  global
        .offset:         120
        .size:           8
        .value_kind:     global_buffer
      - .actual_access:  read_only
        .address_space:  global
        .offset:         128
        .size:           8
        .value_kind:     global_buffer
      - .actual_access:  write_only
        .address_space:  global
        .offset:         136
        .size:           8
        .value_kind:     global_buffer
      - .offset:         144
        .size:           4
        .value_kind:     by_value
      - .offset:         148
        .size:           4
        .value_kind:     by_value
      - .offset:         152
        .size:           4
        .value_kind:     by_value
      - .offset:         156
        .size:           4
        .value_kind:     by_value
      - .offset:         160
        .size:           1
        .value_kind:     by_value
      - .offset:         161
        .size:           1
        .value_kind:     by_value
      - .offset:         162
        .size:           1
        .value_kind:     by_value
    .group_segment_fixed_size: 8192
    .kernarg_segment_align: 8
    .kernarg_segment_size: 164
    .language:       OpenCL C
    .language_version:
      - 2
      - 0
    .max_flat_workgroup_size: 256
    .name:           _ZN9rocsparseL38csrgemm_numeric_fill_wf_per_row_kernelILj256ELj16ELj32ELj137Ell21rocsparse_complex_numIfEEEvT4_S3_PKS3_S5_NS_24const_host_device_scalarIT5_EEPKT3_S5_PKS7_SB_S5_SD_S8_SB_S5_SD_SB_S5_PS7_21rocsparse_index_base_SF_SF_SF_bbb
    .private_segment_fixed_size: 0
    .sgpr_count:     46
    .sgpr_spill_count: 0
    .symbol:         _ZN9rocsparseL38csrgemm_numeric_fill_wf_per_row_kernelILj256ELj16ELj32ELj137Ell21rocsparse_complex_numIfEEEvT4_S3_PKS3_S5_NS_24const_host_device_scalarIT5_EEPKT3_S5_PKS7_SB_S5_SD_S8_SB_S5_SD_SB_S5_PS7_21rocsparse_index_base_SF_SF_SF_bbb.kd
    .uniform_work_group_size: 1
    .uses_dynamic_stack: false
    .vgpr_count:     73
    .vgpr_spill_count: 0
    .wavefront_size: 32
    .workgroup_processor_mode: 1
  - .args:
      - .offset:         0
        .size:           8
        .value_kind:     by_value
      - .actual_access:  read_only
        .address_space:  global
        .offset:         8
        .size:           8
        .value_kind:     global_buffer
      - .actual_access:  read_only
        .address_space:  global
        .offset:         16
        .size:           8
        .value_kind:     global_buffer
      - .offset:         24
        .size:           8
        .value_kind:     by_value
      - .actual_access:  read_only
        .address_space:  global
        .offset:         32
        .size:           8
        .value_kind:     global_buffer
      - .actual_access:  read_only
        .address_space:  global
        .offset:         40
        .size:           8
        .value_kind:     global_buffer
      - .actual_access:  read_only
        .address_space:  global
        .offset:         48
        .size:           8
        .value_kind:     global_buffer
      - .actual_access:  read_only
        .address_space:  global
        .offset:         56
        .size:           8
        .value_kind:     global_buffer
      - .actual_access:  read_only
        .address_space:  global
        .offset:         64
        .size:           8
        .value_kind:     global_buffer
      - .actual_access:  read_only
        .address_space:  global
        .offset:         72
        .size:           8
        .value_kind:     global_buffer
      - .offset:         80
        .size:           8
        .value_kind:     by_value
      - .actual_access:  read_only
        .address_space:  global
        .offset:         88
        .size:           8
        .value_kind:     global_buffer
      - .actual_access:  read_only
        .address_space:  global
        .offset:         96
        .size:           8
        .value_kind:     global_buffer
      - .actual_access:  read_only
        .address_space:  global
        .offset:         104
        .size:           8
        .value_kind:     global_buffer
      - .actual_access:  read_only
        .address_space:  global
        .offset:         112
        .size:           8
        .value_kind:     global_buffer
      - .actual_access:  read_only
        .address_space:  global
        .offset:         120
        .size:           8
        .value_kind:     global_buffer
      - .actual_access:  write_only
        .address_space:  global
        .offset:         128
        .size:           8
        .value_kind:     global_buffer
      - .offset:         136
        .size:           4
        .value_kind:     by_value
      - .offset:         140
        .size:           4
        .value_kind:     by_value
      - .offset:         144
        .size:           4
        .value_kind:     by_value
      - .offset:         148
        .size:           4
        .value_kind:     by_value
      - .offset:         152
        .size:           1
        .value_kind:     by_value
      - .offset:         153
        .size:           1
        .value_kind:     by_value
      - .offset:         154
        .size:           1
        .value_kind:     by_value
    .group_segment_fixed_size: 0
    .kernarg_segment_align: 8
    .kernarg_segment_size: 156
    .language:       OpenCL C
    .language_version:
      - 2
      - 0
    .max_flat_workgroup_size: 128
    .name:           _ZN9rocsparseL41csrgemm_numeric_fill_block_per_row_kernelILj128ELj16ELj256ELj137ELj32Ell21rocsparse_complex_numIfEEEvT5_PKS3_S5_NS_24const_host_device_scalarIT6_EEPKT4_S5_PKS7_SB_S5_SD_S8_SB_S5_SD_SB_S5_PS7_21rocsparse_index_base_SF_SF_SF_bbb
    .private_segment_fixed_size: 0
    .sgpr_count:     50
    .sgpr_spill_count: 0
    .symbol:         _ZN9rocsparseL41csrgemm_numeric_fill_block_per_row_kernelILj128ELj16ELj256ELj137ELj32Ell21rocsparse_complex_numIfEEEvT5_PKS3_S5_NS_24const_host_device_scalarIT6_EEPKT4_S5_PKS7_SB_S5_SD_S8_SB_S5_SD_SB_S5_PS7_21rocsparse_index_base_SF_SF_SF_bbb.kd
    .uniform_work_group_size: 1
    .uses_dynamic_stack: false
    .vgpr_count:     24
    .vgpr_spill_count: 0
    .wavefront_size: 32
    .workgroup_processor_mode: 1
  - .args:
      - .offset:         0
        .size:           8
        .value_kind:     by_value
      - .actual_access:  read_only
        .address_space:  global
        .offset:         8
        .size:           8
        .value_kind:     global_buffer
      - .actual_access:  read_only
        .address_space:  global
        .offset:         16
        .size:           8
        .value_kind:     global_buffer
      - .offset:         24
        .size:           8
        .value_kind:     by_value
      - .actual_access:  read_only
        .address_space:  global
        .offset:         32
        .size:           8
        .value_kind:     global_buffer
      - .actual_access:  read_only
        .address_space:  global
        .offset:         40
        .size:           8
        .value_kind:     global_buffer
      - .actual_access:  read_only
        .address_space:  global
        .offset:         48
        .size:           8
        .value_kind:     global_buffer
      - .actual_access:  read_only
        .address_space:  global
        .offset:         56
        .size:           8
        .value_kind:     global_buffer
      - .actual_access:  read_only
        .address_space:  global
        .offset:         64
        .size:           8
        .value_kind:     global_buffer
      - .actual_access:  read_only
        .address_space:  global
        .offset:         72
        .size:           8
        .value_kind:     global_buffer
      - .offset:         80
        .size:           8
        .value_kind:     by_value
      - .actual_access:  read_only
        .address_space:  global
        .offset:         88
        .size:           8
        .value_kind:     global_buffer
      - .actual_access:  read_only
        .address_space:  global
        .offset:         96
        .size:           8
        .value_kind:     global_buffer
      - .actual_access:  read_only
        .address_space:  global
        .offset:         104
        .size:           8
        .value_kind:     global_buffer
      - .actual_access:  read_only
        .address_space:  global
        .offset:         112
        .size:           8
        .value_kind:     global_buffer
      - .actual_access:  read_only
        .address_space:  global
        .offset:         120
        .size:           8
        .value_kind:     global_buffer
      - .actual_access:  write_only
        .address_space:  global
        .offset:         128
        .size:           8
        .value_kind:     global_buffer
      - .offset:         136
        .size:           4
        .value_kind:     by_value
      - .offset:         140
        .size:           4
        .value_kind:     by_value
      - .offset:         144
        .size:           4
        .value_kind:     by_value
      - .offset:         148
        .size:           4
        .value_kind:     by_value
      - .offset:         152
        .size:           1
        .value_kind:     by_value
      - .offset:         153
        .size:           1
        .value_kind:     by_value
      - .offset:         154
        .size:           1
        .value_kind:     by_value
    .group_segment_fixed_size: 0
    .kernarg_segment_align: 8
    .kernarg_segment_size: 156
    .language:       OpenCL C
    .language_version:
      - 2
      - 0
    .max_flat_workgroup_size: 128
    .name:           _ZN9rocsparseL41csrgemm_numeric_fill_block_per_row_kernelILj128ELj16ELj256ELj137ELj64Ell21rocsparse_complex_numIfEEEvT5_PKS3_S5_NS_24const_host_device_scalarIT6_EEPKT4_S5_PKS7_SB_S5_SD_S8_SB_S5_SD_SB_S5_PS7_21rocsparse_index_base_SF_SF_SF_bbb
    .private_segment_fixed_size: 0
    .sgpr_count:     50
    .sgpr_spill_count: 0
    .symbol:         _ZN9rocsparseL41csrgemm_numeric_fill_block_per_row_kernelILj128ELj16ELj256ELj137ELj64Ell21rocsparse_complex_numIfEEEvT5_PKS3_S5_NS_24const_host_device_scalarIT6_EEPKT4_S5_PKS7_SB_S5_SD_S8_SB_S5_SD_SB_S5_PS7_21rocsparse_index_base_SF_SF_SF_bbb.kd
    .uniform_work_group_size: 1
    .uses_dynamic_stack: false
    .vgpr_count:     24
    .vgpr_spill_count: 0
    .wavefront_size: 32
    .workgroup_processor_mode: 1
  - .args:
      - .offset:         0
        .size:           8
        .value_kind:     by_value
      - .actual_access:  read_only
        .address_space:  global
        .offset:         8
        .size:           8
        .value_kind:     global_buffer
      - .actual_access:  read_only
        .address_space:  global
        .offset:         16
        .size:           8
        .value_kind:     global_buffer
      - .offset:         24
        .size:           8
        .value_kind:     by_value
      - .actual_access:  read_only
        .address_space:  global
        .offset:         32
        .size:           8
        .value_kind:     global_buffer
      - .actual_access:  read_only
        .address_space:  global
        .offset:         40
        .size:           8
        .value_kind:     global_buffer
      - .actual_access:  read_only
        .address_space:  global
        .offset:         48
        .size:           8
        .value_kind:     global_buffer
      - .actual_access:  read_only
        .address_space:  global
        .offset:         56
        .size:           8
        .value_kind:     global_buffer
      - .actual_access:  read_only
        .address_space:  global
        .offset:         64
        .size:           8
        .value_kind:     global_buffer
      - .actual_access:  read_only
        .address_space:  global
        .offset:         72
        .size:           8
        .value_kind:     global_buffer
      - .offset:         80
        .size:           8
        .value_kind:     by_value
      - .actual_access:  read_only
        .address_space:  global
        .offset:         88
        .size:           8
        .value_kind:     global_buffer
      - .actual_access:  read_only
        .address_space:  global
        .offset:         96
        .size:           8
        .value_kind:     global_buffer
      - .actual_access:  read_only
        .address_space:  global
        .offset:         104
        .size:           8
        .value_kind:     global_buffer
      - .actual_access:  read_only
        .address_space:  global
        .offset:         112
        .size:           8
        .value_kind:     global_buffer
      - .actual_access:  read_only
        .address_space:  global
        .offset:         120
        .size:           8
        .value_kind:     global_buffer
      - .actual_access:  write_only
        .address_space:  global
        .offset:         128
        .size:           8
        .value_kind:     global_buffer
      - .offset:         136
        .size:           4
        .value_kind:     by_value
      - .offset:         140
        .size:           4
        .value_kind:     by_value
      - .offset:         144
        .size:           4
        .value_kind:     by_value
      - .offset:         148
        .size:           4
        .value_kind:     by_value
      - .offset:         152
        .size:           1
        .value_kind:     by_value
      - .offset:         153
        .size:           1
        .value_kind:     by_value
      - .offset:         154
        .size:           1
        .value_kind:     by_value
    .group_segment_fixed_size: 0
    .kernarg_segment_align: 8
    .kernarg_segment_size: 156
    .language:       OpenCL C
    .language_version:
      - 2
      - 0
    .max_flat_workgroup_size: 256
    .name:           _ZN9rocsparseL41csrgemm_numeric_fill_block_per_row_kernelILj256ELj32ELj512ELj137ELj32Ell21rocsparse_complex_numIfEEEvT5_PKS3_S5_NS_24const_host_device_scalarIT6_EEPKT4_S5_PKS7_SB_S5_SD_S8_SB_S5_SD_SB_S5_PS7_21rocsparse_index_base_SF_SF_SF_bbb
    .private_segment_fixed_size: 0
    .sgpr_count:     50
    .sgpr_spill_count: 0
    .symbol:         _ZN9rocsparseL41csrgemm_numeric_fill_block_per_row_kernelILj256ELj32ELj512ELj137ELj32Ell21rocsparse_complex_numIfEEEvT5_PKS3_S5_NS_24const_host_device_scalarIT6_EEPKT4_S5_PKS7_SB_S5_SD_S8_SB_S5_SD_SB_S5_PS7_21rocsparse_index_base_SF_SF_SF_bbb.kd
    .uniform_work_group_size: 1
    .uses_dynamic_stack: false
    .vgpr_count:     24
    .vgpr_spill_count: 0
    .wavefront_size: 32
    .workgroup_processor_mode: 1
  - .args:
      - .offset:         0
        .size:           8
        .value_kind:     by_value
      - .actual_access:  read_only
        .address_space:  global
        .offset:         8
        .size:           8
        .value_kind:     global_buffer
      - .actual_access:  read_only
        .address_space:  global
        .offset:         16
        .size:           8
        .value_kind:     global_buffer
      - .offset:         24
        .size:           8
        .value_kind:     by_value
      - .actual_access:  read_only
        .address_space:  global
        .offset:         32
        .size:           8
        .value_kind:     global_buffer
      - .actual_access:  read_only
        .address_space:  global
        .offset:         40
        .size:           8
        .value_kind:     global_buffer
      - .actual_access:  read_only
        .address_space:  global
        .offset:         48
        .size:           8
        .value_kind:     global_buffer
      - .actual_access:  read_only
        .address_space:  global
        .offset:         56
        .size:           8
        .value_kind:     global_buffer
      - .actual_access:  read_only
        .address_space:  global
        .offset:         64
        .size:           8
        .value_kind:     global_buffer
      - .actual_access:  read_only
        .address_space:  global
        .offset:         72
        .size:           8
        .value_kind:     global_buffer
      - .offset:         80
        .size:           8
        .value_kind:     by_value
      - .actual_access:  read_only
        .address_space:  global
        .offset:         88
        .size:           8
        .value_kind:     global_buffer
      - .actual_access:  read_only
        .address_space:  global
        .offset:         96
        .size:           8
        .value_kind:     global_buffer
      - .actual_access:  read_only
        .address_space:  global
        .offset:         104
        .size:           8
        .value_kind:     global_buffer
      - .actual_access:  read_only
        .address_space:  global
        .offset:         112
        .size:           8
        .value_kind:     global_buffer
      - .actual_access:  read_only
        .address_space:  global
        .offset:         120
        .size:           8
        .value_kind:     global_buffer
      - .actual_access:  write_only
        .address_space:  global
        .offset:         128
        .size:           8
        .value_kind:     global_buffer
      - .offset:         136
        .size:           4
        .value_kind:     by_value
      - .offset:         140
        .size:           4
        .value_kind:     by_value
      - .offset:         144
        .size:           4
        .value_kind:     by_value
      - .offset:         148
        .size:           4
        .value_kind:     by_value
      - .offset:         152
        .size:           1
        .value_kind:     by_value
      - .offset:         153
        .size:           1
        .value_kind:     by_value
      - .offset:         154
        .size:           1
        .value_kind:     by_value
    .group_segment_fixed_size: 0
    .kernarg_segment_align: 8
    .kernarg_segment_size: 156
    .language:       OpenCL C
    .language_version:
      - 2
      - 0
    .max_flat_workgroup_size: 256
    .name:           _ZN9rocsparseL41csrgemm_numeric_fill_block_per_row_kernelILj256ELj32ELj512ELj137ELj64Ell21rocsparse_complex_numIfEEEvT5_PKS3_S5_NS_24const_host_device_scalarIT6_EEPKT4_S5_PKS7_SB_S5_SD_S8_SB_S5_SD_SB_S5_PS7_21rocsparse_index_base_SF_SF_SF_bbb
    .private_segment_fixed_size: 0
    .sgpr_count:     50
    .sgpr_spill_count: 0
    .symbol:         _ZN9rocsparseL41csrgemm_numeric_fill_block_per_row_kernelILj256ELj32ELj512ELj137ELj64Ell21rocsparse_complex_numIfEEEvT5_PKS3_S5_NS_24const_host_device_scalarIT6_EEPKT4_S5_PKS7_SB_S5_SD_S8_SB_S5_SD_SB_S5_PS7_21rocsparse_index_base_SF_SF_SF_bbb.kd
    .uniform_work_group_size: 1
    .uses_dynamic_stack: false
    .vgpr_count:     24
    .vgpr_spill_count: 0
    .wavefront_size: 32
    .workgroup_processor_mode: 1
  - .args:
      - .offset:         0
        .size:           8
        .value_kind:     by_value
      - .actual_access:  read_only
        .address_space:  global
        .offset:         8
        .size:           8
        .value_kind:     global_buffer
      - .actual_access:  read_only
        .address_space:  global
        .offset:         16
        .size:           8
        .value_kind:     global_buffer
      - .offset:         24
        .size:           8
        .value_kind:     by_value
      - .actual_access:  read_only
        .address_space:  global
        .offset:         32
        .size:           8
        .value_kind:     global_buffer
      - .actual_access:  read_only
        .address_space:  global
        .offset:         40
        .size:           8
        .value_kind:     global_buffer
      - .actual_access:  read_only
        .address_space:  global
        .offset:         48
        .size:           8
        .value_kind:     global_buffer
      - .actual_access:  read_only
        .address_space:  global
        .offset:         56
        .size:           8
        .value_kind:     global_buffer
      - .actual_access:  read_only
        .address_space:  global
        .offset:         64
        .size:           8
        .value_kind:     global_buffer
      - .actual_access:  read_only
        .address_space:  global
        .offset:         72
        .size:           8
        .value_kind:     global_buffer
      - .offset:         80
        .size:           8
        .value_kind:     by_value
      - .actual_access:  read_only
        .address_space:  global
        .offset:         88
        .size:           8
        .value_kind:     global_buffer
      - .actual_access:  read_only
        .address_space:  global
        .offset:         96
        .size:           8
        .value_kind:     global_buffer
      - .actual_access:  read_only
        .address_space:  global
        .offset:         104
        .size:           8
        .value_kind:     global_buffer
      - .actual_access:  read_only
        .address_space:  global
        .offset:         112
        .size:           8
        .value_kind:     global_buffer
      - .actual_access:  read_only
        .address_space:  global
        .offset:         120
        .size:           8
        .value_kind:     global_buffer
      - .actual_access:  write_only
        .address_space:  global
        .offset:         128
        .size:           8
        .value_kind:     global_buffer
      - .offset:         136
        .size:           4
        .value_kind:     by_value
      - .offset:         140
        .size:           4
        .value_kind:     by_value
      - .offset:         144
        .size:           4
        .value_kind:     by_value
      - .offset:         148
        .size:           4
        .value_kind:     by_value
      - .offset:         152
        .size:           1
        .value_kind:     by_value
      - .offset:         153
        .size:           1
        .value_kind:     by_value
      - .offset:         154
        .size:           1
        .value_kind:     by_value
    .group_segment_fixed_size: 0
    .kernarg_segment_align: 8
    .kernarg_segment_size: 156
    .language:       OpenCL C
    .language_version:
      - 2
      - 0
    .max_flat_workgroup_size: 512
    .name:           _ZN9rocsparseL41csrgemm_numeric_fill_block_per_row_kernelILj512ELj32ELj1024ELj137ELj32Ell21rocsparse_complex_numIfEEEvT5_PKS3_S5_NS_24const_host_device_scalarIT6_EEPKT4_S5_PKS7_SB_S5_SD_S8_SB_S5_SD_SB_S5_PS7_21rocsparse_index_base_SF_SF_SF_bbb
    .private_segment_fixed_size: 0
    .sgpr_count:     50
    .sgpr_spill_count: 0
    .symbol:         _ZN9rocsparseL41csrgemm_numeric_fill_block_per_row_kernelILj512ELj32ELj1024ELj137ELj32Ell21rocsparse_complex_numIfEEEvT5_PKS3_S5_NS_24const_host_device_scalarIT6_EEPKT4_S5_PKS7_SB_S5_SD_S8_SB_S5_SD_SB_S5_PS7_21rocsparse_index_base_SF_SF_SF_bbb.kd
    .uniform_work_group_size: 1
    .uses_dynamic_stack: false
    .vgpr_count:     24
    .vgpr_spill_count: 0
    .wavefront_size: 32
    .workgroup_processor_mode: 1
  - .args:
      - .offset:         0
        .size:           8
        .value_kind:     by_value
      - .actual_access:  read_only
        .address_space:  global
        .offset:         8
        .size:           8
        .value_kind:     global_buffer
      - .actual_access:  read_only
        .address_space:  global
        .offset:         16
        .size:           8
        .value_kind:     global_buffer
      - .offset:         24
        .size:           8
        .value_kind:     by_value
      - .actual_access:  read_only
        .address_space:  global
        .offset:         32
        .size:           8
        .value_kind:     global_buffer
      - .actual_access:  read_only
        .address_space:  global
        .offset:         40
        .size:           8
        .value_kind:     global_buffer
      - .actual_access:  read_only
        .address_space:  global
        .offset:         48
        .size:           8
        .value_kind:     global_buffer
      - .actual_access:  read_only
        .address_space:  global
        .offset:         56
        .size:           8
        .value_kind:     global_buffer
      - .actual_access:  read_only
        .address_space:  global
        .offset:         64
        .size:           8
        .value_kind:     global_buffer
      - .actual_access:  read_only
        .address_space:  global
        .offset:         72
        .size:           8
        .value_kind:     global_buffer
      - .offset:         80
        .size:           8
        .value_kind:     by_value
      - .actual_access:  read_only
        .address_space:  global
        .offset:         88
        .size:           8
        .value_kind:     global_buffer
      - .actual_access:  read_only
        .address_space:  global
        .offset:         96
        .size:           8
        .value_kind:     global_buffer
      - .actual_access:  read_only
        .address_space:  global
        .offset:         104
        .size:           8
        .value_kind:     global_buffer
      - .actual_access:  read_only
        .address_space:  global
        .offset:         112
        .size:           8
        .value_kind:     global_buffer
      - .actual_access:  read_only
        .address_space:  global
        .offset:         120
        .size:           8
        .value_kind:     global_buffer
      - .actual_access:  write_only
        .address_space:  global
        .offset:         128
        .size:           8
        .value_kind:     global_buffer
      - .offset:         136
        .size:           4
        .value_kind:     by_value
      - .offset:         140
        .size:           4
        .value_kind:     by_value
      - .offset:         144
        .size:           4
        .value_kind:     by_value
      - .offset:         148
        .size:           4
        .value_kind:     by_value
      - .offset:         152
        .size:           1
        .value_kind:     by_value
      - .offset:         153
        .size:           1
        .value_kind:     by_value
      - .offset:         154
        .size:           1
        .value_kind:     by_value
    .group_segment_fixed_size: 0
    .kernarg_segment_align: 8
    .kernarg_segment_size: 156
    .language:       OpenCL C
    .language_version:
      - 2
      - 0
    .max_flat_workgroup_size: 512
    .name:           _ZN9rocsparseL41csrgemm_numeric_fill_block_per_row_kernelILj512ELj32ELj1024ELj137ELj64Ell21rocsparse_complex_numIfEEEvT5_PKS3_S5_NS_24const_host_device_scalarIT6_EEPKT4_S5_PKS7_SB_S5_SD_S8_SB_S5_SD_SB_S5_PS7_21rocsparse_index_base_SF_SF_SF_bbb
    .private_segment_fixed_size: 0
    .sgpr_count:     50
    .sgpr_spill_count: 0
    .symbol:         _ZN9rocsparseL41csrgemm_numeric_fill_block_per_row_kernelILj512ELj32ELj1024ELj137ELj64Ell21rocsparse_complex_numIfEEEvT5_PKS3_S5_NS_24const_host_device_scalarIT6_EEPKT4_S5_PKS7_SB_S5_SD_S8_SB_S5_SD_SB_S5_PS7_21rocsparse_index_base_SF_SF_SF_bbb.kd
    .uniform_work_group_size: 1
    .uses_dynamic_stack: false
    .vgpr_count:     24
    .vgpr_spill_count: 0
    .wavefront_size: 32
    .workgroup_processor_mode: 1
  - .args:
      - .offset:         0
        .size:           8
        .value_kind:     by_value
      - .actual_access:  read_only
        .address_space:  global
        .offset:         8
        .size:           8
        .value_kind:     global_buffer
      - .actual_access:  read_only
        .address_space:  global
        .offset:         16
        .size:           8
        .value_kind:     global_buffer
      - .offset:         24
        .size:           8
        .value_kind:     by_value
      - .actual_access:  read_only
        .address_space:  global
        .offset:         32
        .size:           8
        .value_kind:     global_buffer
      - .actual_access:  read_only
        .address_space:  global
        .offset:         40
        .size:           8
        .value_kind:     global_buffer
      - .actual_access:  read_only
        .address_space:  global
        .offset:         48
        .size:           8
        .value_kind:     global_buffer
      - .actual_access:  read_only
        .address_space:  global
        .offset:         56
        .size:           8
        .value_kind:     global_buffer
      - .actual_access:  read_only
        .address_space:  global
        .offset:         64
        .size:           8
        .value_kind:     global_buffer
      - .actual_access:  read_only
        .address_space:  global
        .offset:         72
        .size:           8
        .value_kind:     global_buffer
      - .offset:         80
        .size:           8
        .value_kind:     by_value
      - .actual_access:  read_only
        .address_space:  global
        .offset:         88
        .size:           8
        .value_kind:     global_buffer
      - .actual_access:  read_only
        .address_space:  global
        .offset:         96
        .size:           8
        .value_kind:     global_buffer
      - .actual_access:  read_only
        .address_space:  global
        .offset:         104
        .size:           8
        .value_kind:     global_buffer
      - .actual_access:  read_only
        .address_space:  global
        .offset:         112
        .size:           8
        .value_kind:     global_buffer
      - .actual_access:  read_only
        .address_space:  global
        .offset:         120
        .size:           8
        .value_kind:     global_buffer
      - .actual_access:  write_only
        .address_space:  global
        .offset:         128
        .size:           8
        .value_kind:     global_buffer
      - .offset:         136
        .size:           4
        .value_kind:     by_value
      - .offset:         140
        .size:           4
        .value_kind:     by_value
      - .offset:         144
        .size:           4
        .value_kind:     by_value
      - .offset:         148
        .size:           4
        .value_kind:     by_value
      - .offset:         152
        .size:           1
        .value_kind:     by_value
      - .offset:         153
        .size:           1
        .value_kind:     by_value
      - .offset:         154
        .size:           1
        .value_kind:     by_value
    .group_segment_fixed_size: 0
    .kernarg_segment_align: 8
    .kernarg_segment_size: 156
    .language:       OpenCL C
    .language_version:
      - 2
      - 0
    .max_flat_workgroup_size: 1024
    .name:           _ZN9rocsparseL41csrgemm_numeric_fill_block_per_row_kernelILj1024ELj32ELj2048ELj137ELj32Ell21rocsparse_complex_numIfEEEvT5_PKS3_S5_NS_24const_host_device_scalarIT6_EEPKT4_S5_PKS7_SB_S5_SD_S8_SB_S5_SD_SB_S5_PS7_21rocsparse_index_base_SF_SF_SF_bbb
    .private_segment_fixed_size: 0
    .sgpr_count:     49
    .sgpr_spill_count: 0
    .symbol:         _ZN9rocsparseL41csrgemm_numeric_fill_block_per_row_kernelILj1024ELj32ELj2048ELj137ELj32Ell21rocsparse_complex_numIfEEEvT5_PKS3_S5_NS_24const_host_device_scalarIT6_EEPKT4_S5_PKS7_SB_S5_SD_S8_SB_S5_SD_SB_S5_PS7_21rocsparse_index_base_SF_SF_SF_bbb.kd
    .uniform_work_group_size: 1
    .uses_dynamic_stack: false
    .vgpr_count:     24
    .vgpr_spill_count: 0
    .wavefront_size: 32
    .workgroup_processor_mode: 1
  - .args:
      - .offset:         0
        .size:           8
        .value_kind:     by_value
      - .actual_access:  read_only
        .address_space:  global
        .offset:         8
        .size:           8
        .value_kind:     global_buffer
      - .actual_access:  read_only
        .address_space:  global
        .offset:         16
        .size:           8
        .value_kind:     global_buffer
      - .offset:         24
        .size:           8
        .value_kind:     by_value
      - .actual_access:  read_only
        .address_space:  global
        .offset:         32
        .size:           8
        .value_kind:     global_buffer
      - .actual_access:  read_only
        .address_space:  global
        .offset:         40
        .size:           8
        .value_kind:     global_buffer
      - .actual_access:  read_only
        .address_space:  global
        .offset:         48
        .size:           8
        .value_kind:     global_buffer
      - .actual_access:  read_only
        .address_space:  global
        .offset:         56
        .size:           8
        .value_kind:     global_buffer
      - .actual_access:  read_only
        .address_space:  global
        .offset:         64
        .size:           8
        .value_kind:     global_buffer
      - .actual_access:  read_only
        .address_space:  global
        .offset:         72
        .size:           8
        .value_kind:     global_buffer
      - .offset:         80
        .size:           8
        .value_kind:     by_value
      - .actual_access:  read_only
        .address_space:  global
        .offset:         88
        .size:           8
        .value_kind:     global_buffer
      - .actual_access:  read_only
        .address_space:  global
        .offset:         96
        .size:           8
        .value_kind:     global_buffer
      - .actual_access:  read_only
        .address_space:  global
        .offset:         104
        .size:           8
        .value_kind:     global_buffer
      - .actual_access:  read_only
        .address_space:  global
        .offset:         112
        .size:           8
        .value_kind:     global_buffer
      - .actual_access:  read_only
        .address_space:  global
        .offset:         120
        .size:           8
        .value_kind:     global_buffer
      - .actual_access:  write_only
        .address_space:  global
        .offset:         128
        .size:           8
        .value_kind:     global_buffer
      - .offset:         136
        .size:           4
        .value_kind:     by_value
      - .offset:         140
        .size:           4
        .value_kind:     by_value
      - .offset:         144
        .size:           4
        .value_kind:     by_value
      - .offset:         148
        .size:           4
        .value_kind:     by_value
      - .offset:         152
        .size:           1
        .value_kind:     by_value
      - .offset:         153
        .size:           1
        .value_kind:     by_value
      - .offset:         154
        .size:           1
        .value_kind:     by_value
    .group_segment_fixed_size: 0
    .kernarg_segment_align: 8
    .kernarg_segment_size: 156
    .language:       OpenCL C
    .language_version:
      - 2
      - 0
    .max_flat_workgroup_size: 1024
    .name:           _ZN9rocsparseL41csrgemm_numeric_fill_block_per_row_kernelILj1024ELj32ELj2048ELj137ELj64Ell21rocsparse_complex_numIfEEEvT5_PKS3_S5_NS_24const_host_device_scalarIT6_EEPKT4_S5_PKS7_SB_S5_SD_S8_SB_S5_SD_SB_S5_PS7_21rocsparse_index_base_SF_SF_SF_bbb
    .private_segment_fixed_size: 0
    .sgpr_count:     50
    .sgpr_spill_count: 0
    .symbol:         _ZN9rocsparseL41csrgemm_numeric_fill_block_per_row_kernelILj1024ELj32ELj2048ELj137ELj64Ell21rocsparse_complex_numIfEEEvT5_PKS3_S5_NS_24const_host_device_scalarIT6_EEPKT4_S5_PKS7_SB_S5_SD_S8_SB_S5_SD_SB_S5_PS7_21rocsparse_index_base_SF_SF_SF_bbb.kd
    .uniform_work_group_size: 1
    .uses_dynamic_stack: false
    .vgpr_count:     24
    .vgpr_spill_count: 0
    .wavefront_size: 32
    .workgroup_processor_mode: 1
  - .args:
      - .offset:         0
        .size:           8
        .value_kind:     by_value
      - .actual_access:  read_only
        .address_space:  global
        .offset:         8
        .size:           8
        .value_kind:     global_buffer
      - .actual_access:  read_only
        .address_space:  global
        .offset:         16
        .size:           8
        .value_kind:     global_buffer
      - .offset:         24
        .size:           8
        .value_kind:     by_value
      - .actual_access:  read_only
        .address_space:  global
        .offset:         32
        .size:           8
        .value_kind:     global_buffer
      - .actual_access:  read_only
        .address_space:  global
        .offset:         40
        .size:           8
        .value_kind:     global_buffer
      - .actual_access:  read_only
        .address_space:  global
        .offset:         48
        .size:           8
        .value_kind:     global_buffer
      - .actual_access:  read_only
        .address_space:  global
        .offset:         56
        .size:           8
        .value_kind:     global_buffer
      - .actual_access:  read_only
        .address_space:  global
        .offset:         64
        .size:           8
        .value_kind:     global_buffer
      - .actual_access:  read_only
        .address_space:  global
        .offset:         72
        .size:           8
        .value_kind:     global_buffer
      - .offset:         80
        .size:           8
        .value_kind:     by_value
      - .actual_access:  read_only
        .address_space:  global
        .offset:         88
        .size:           8
        .value_kind:     global_buffer
      - .actual_access:  read_only
        .address_space:  global
        .offset:         96
        .size:           8
        .value_kind:     global_buffer
      - .actual_access:  read_only
        .address_space:  global
        .offset:         104
        .size:           8
        .value_kind:     global_buffer
      - .actual_access:  read_only
        .address_space:  global
        .offset:         112
        .size:           8
        .value_kind:     global_buffer
      - .actual_access:  read_only
        .address_space:  global
        .offset:         120
        .size:           8
        .value_kind:     global_buffer
      - .actual_access:  write_only
        .address_space:  global
        .offset:         128
        .size:           8
        .value_kind:     global_buffer
      - .offset:         136
        .size:           4
        .value_kind:     by_value
      - .offset:         140
        .size:           4
        .value_kind:     by_value
      - .offset:         144
        .size:           4
        .value_kind:     by_value
      - .offset:         148
        .size:           4
        .value_kind:     by_value
      - .offset:         152
        .size:           1
        .value_kind:     by_value
      - .offset:         153
        .size:           1
        .value_kind:     by_value
      - .offset:         154
        .size:           1
        .value_kind:     by_value
    .group_segment_fixed_size: 0
    .kernarg_segment_align: 8
    .kernarg_segment_size: 156
    .language:       OpenCL C
    .language_version:
      - 2
      - 0
    .max_flat_workgroup_size: 1024
    .name:           _ZN9rocsparseL41csrgemm_numeric_fill_block_per_row_kernelILj1024ELj64ELj4096ELj137ELj32Ell21rocsparse_complex_numIfEEEvT5_PKS3_S5_NS_24const_host_device_scalarIT6_EEPKT4_S5_PKS7_SB_S5_SD_S8_SB_S5_SD_SB_S5_PS7_21rocsparse_index_base_SF_SF_SF_bbb
    .private_segment_fixed_size: 0
    .sgpr_count:     78
    .sgpr_spill_count: 0
    .symbol:         _ZN9rocsparseL41csrgemm_numeric_fill_block_per_row_kernelILj1024ELj64ELj4096ELj137ELj32Ell21rocsparse_complex_numIfEEEvT5_PKS3_S5_NS_24const_host_device_scalarIT6_EEPKT4_S5_PKS7_SB_S5_SD_S8_SB_S5_SD_SB_S5_PS7_21rocsparse_index_base_SF_SF_SF_bbb.kd
    .uniform_work_group_size: 1
    .uses_dynamic_stack: false
    .vgpr_count:     24
    .vgpr_spill_count: 0
    .wavefront_size: 32
    .workgroup_processor_mode: 1
  - .args:
      - .offset:         0
        .size:           8
        .value_kind:     by_value
      - .actual_access:  read_only
        .address_space:  global
        .offset:         8
        .size:           8
        .value_kind:     global_buffer
      - .actual_access:  read_only
        .address_space:  global
        .offset:         16
        .size:           8
        .value_kind:     global_buffer
      - .offset:         24
        .size:           8
        .value_kind:     by_value
      - .actual_access:  read_only
        .address_space:  global
        .offset:         32
        .size:           8
        .value_kind:     global_buffer
      - .actual_access:  read_only
        .address_space:  global
        .offset:         40
        .size:           8
        .value_kind:     global_buffer
      - .actual_access:  read_only
        .address_space:  global
        .offset:         48
        .size:           8
        .value_kind:     global_buffer
      - .actual_access:  read_only
        .address_space:  global
        .offset:         56
        .size:           8
        .value_kind:     global_buffer
      - .actual_access:  read_only
        .address_space:  global
        .offset:         64
        .size:           8
        .value_kind:     global_buffer
      - .actual_access:  read_only
        .address_space:  global
        .offset:         72
        .size:           8
        .value_kind:     global_buffer
      - .offset:         80
        .size:           8
        .value_kind:     by_value
      - .actual_access:  read_only
        .address_space:  global
        .offset:         88
        .size:           8
        .value_kind:     global_buffer
      - .actual_access:  read_only
        .address_space:  global
        .offset:         96
        .size:           8
        .value_kind:     global_buffer
      - .actual_access:  read_only
        .address_space:  global
        .offset:         104
        .size:           8
        .value_kind:     global_buffer
      - .actual_access:  read_only
        .address_space:  global
        .offset:         112
        .size:           8
        .value_kind:     global_buffer
      - .actual_access:  read_only
        .address_space:  global
        .offset:         120
        .size:           8
        .value_kind:     global_buffer
      - .actual_access:  write_only
        .address_space:  global
        .offset:         128
        .size:           8
        .value_kind:     global_buffer
      - .offset:         136
        .size:           4
        .value_kind:     by_value
      - .offset:         140
        .size:           4
        .value_kind:     by_value
      - .offset:         144
        .size:           4
        .value_kind:     by_value
      - .offset:         148
        .size:           4
        .value_kind:     by_value
      - .offset:         152
        .size:           1
        .value_kind:     by_value
      - .offset:         153
        .size:           1
        .value_kind:     by_value
      - .offset:         154
        .size:           1
        .value_kind:     by_value
    .group_segment_fixed_size: 0
    .kernarg_segment_align: 8
    .kernarg_segment_size: 156
    .language:       OpenCL C
    .language_version:
      - 2
      - 0
    .max_flat_workgroup_size: 1024
    .name:           _ZN9rocsparseL41csrgemm_numeric_fill_block_per_row_kernelILj1024ELj64ELj4096ELj137ELj64Ell21rocsparse_complex_numIfEEEvT5_PKS3_S5_NS_24const_host_device_scalarIT6_EEPKT4_S5_PKS7_SB_S5_SD_S8_SB_S5_SD_SB_S5_PS7_21rocsparse_index_base_SF_SF_SF_bbb
    .private_segment_fixed_size: 0
    .sgpr_count:     50
    .sgpr_spill_count: 0
    .symbol:         _ZN9rocsparseL41csrgemm_numeric_fill_block_per_row_kernelILj1024ELj64ELj4096ELj137ELj64Ell21rocsparse_complex_numIfEEEvT5_PKS3_S5_NS_24const_host_device_scalarIT6_EEPKT4_S5_PKS7_SB_S5_SD_S8_SB_S5_SD_SB_S5_PS7_21rocsparse_index_base_SF_SF_SF_bbb.kd
    .uniform_work_group_size: 1
    .uses_dynamic_stack: false
    .vgpr_count:     24
    .vgpr_spill_count: 0
    .wavefront_size: 32
    .workgroup_processor_mode: 1
  - .args:
      - .offset:         0
        .size:           8
        .value_kind:     by_value
      - .actual_access:  read_only
        .address_space:  global
        .offset:         8
        .size:           8
        .value_kind:     global_buffer
      - .actual_access:  read_only
        .address_space:  global
        .offset:         16
        .size:           8
        .value_kind:     global_buffer
      - .offset:         24
        .size:           8
        .value_kind:     by_value
      - .actual_access:  read_only
        .address_space:  global
        .offset:         32
        .size:           8
        .value_kind:     global_buffer
      - .actual_access:  read_only
        .address_space:  global
        .offset:         40
        .size:           8
        .value_kind:     global_buffer
      - .actual_access:  read_only
        .address_space:  global
        .offset:         48
        .size:           8
        .value_kind:     global_buffer
      - .actual_access:  read_only
        .address_space:  global
        .offset:         56
        .size:           8
        .value_kind:     global_buffer
      - .actual_access:  read_only
        .address_space:  global
        .offset:         64
        .size:           8
        .value_kind:     global_buffer
      - .actual_access:  read_only
        .address_space:  global
        .offset:         72
        .size:           8
        .value_kind:     global_buffer
      - .offset:         80
        .size:           8
        .value_kind:     by_value
      - .actual_access:  read_only
        .address_space:  global
        .offset:         88
        .size:           8
        .value_kind:     global_buffer
      - .actual_access:  read_only
        .address_space:  global
        .offset:         96
        .size:           8
        .value_kind:     global_buffer
      - .actual_access:  read_only
        .address_space:  global
        .offset:         104
        .size:           8
        .value_kind:     global_buffer
      - .actual_access:  read_only
        .address_space:  global
        .offset:         112
        .size:           8
        .value_kind:     global_buffer
      - .actual_access:  read_only
        .address_space:  global
        .offset:         120
        .size:           8
        .value_kind:     global_buffer
      - .actual_access:  write_only
        .address_space:  global
        .offset:         128
        .size:           8
        .value_kind:     global_buffer
      - .offset:         136
        .size:           4
        .value_kind:     by_value
      - .offset:         140
        .size:           4
        .value_kind:     by_value
      - .offset:         144
        .size:           4
        .value_kind:     by_value
      - .offset:         148
        .size:           4
        .value_kind:     by_value
      - .offset:         152
        .size:           1
        .value_kind:     by_value
      - .offset:         153
        .size:           1
        .value_kind:     by_value
      - .offset:         154
        .size:           1
        .value_kind:     by_value
    .group_segment_fixed_size: 0
    .kernarg_segment_align: 8
    .kernarg_segment_size: 156
    .language:       OpenCL C
    .language_version:
      - 2
      - 0
    .max_flat_workgroup_size: 1024
    .name:           _ZN9rocsparseL41csrgemm_numeric_fill_block_per_row_kernelILj1024ELj64ELj8192ELj137ELj32Ell21rocsparse_complex_numIfEEEvT5_PKS3_S5_NS_24const_host_device_scalarIT6_EEPKT4_S5_PKS7_SB_S5_SD_S8_SB_S5_SD_SB_S5_PS7_21rocsparse_index_base_SF_SF_SF_bbb
    .private_segment_fixed_size: 0
    .sgpr_count:     78
    .sgpr_spill_count: 0
    .symbol:         _ZN9rocsparseL41csrgemm_numeric_fill_block_per_row_kernelILj1024ELj64ELj8192ELj137ELj32Ell21rocsparse_complex_numIfEEEvT5_PKS3_S5_NS_24const_host_device_scalarIT6_EEPKT4_S5_PKS7_SB_S5_SD_S8_SB_S5_SD_SB_S5_PS7_21rocsparse_index_base_SF_SF_SF_bbb.kd
    .uniform_work_group_size: 1
    .uses_dynamic_stack: false
    .vgpr_count:     27
    .vgpr_spill_count: 0
    .wavefront_size: 32
    .workgroup_processor_mode: 1
  - .args:
      - .offset:         0
        .size:           8
        .value_kind:     by_value
      - .actual_access:  read_only
        .address_space:  global
        .offset:         8
        .size:           8
        .value_kind:     global_buffer
      - .actual_access:  read_only
        .address_space:  global
        .offset:         16
        .size:           8
        .value_kind:     global_buffer
      - .offset:         24
        .size:           8
        .value_kind:     by_value
      - .actual_access:  read_only
        .address_space:  global
        .offset:         32
        .size:           8
        .value_kind:     global_buffer
      - .actual_access:  read_only
        .address_space:  global
        .offset:         40
        .size:           8
        .value_kind:     global_buffer
      - .actual_access:  read_only
        .address_space:  global
        .offset:         48
        .size:           8
        .value_kind:     global_buffer
      - .actual_access:  read_only
        .address_space:  global
        .offset:         56
        .size:           8
        .value_kind:     global_buffer
      - .actual_access:  read_only
        .address_space:  global
        .offset:         64
        .size:           8
        .value_kind:     global_buffer
      - .actual_access:  read_only
        .address_space:  global
        .offset:         72
        .size:           8
        .value_kind:     global_buffer
      - .offset:         80
        .size:           8
        .value_kind:     by_value
      - .actual_access:  read_only
        .address_space:  global
        .offset:         88
        .size:           8
        .value_kind:     global_buffer
      - .actual_access:  read_only
        .address_space:  global
        .offset:         96
        .size:           8
        .value_kind:     global_buffer
      - .actual_access:  read_only
        .address_space:  global
        .offset:         104
        .size:           8
        .value_kind:     global_buffer
      - .actual_access:  read_only
        .address_space:  global
        .offset:         112
        .size:           8
        .value_kind:     global_buffer
      - .actual_access:  read_only
        .address_space:  global
        .offset:         120
        .size:           8
        .value_kind:     global_buffer
      - .actual_access:  write_only
        .address_space:  global
        .offset:         128
        .size:           8
        .value_kind:     global_buffer
      - .offset:         136
        .size:           4
        .value_kind:     by_value
      - .offset:         140
        .size:           4
        .value_kind:     by_value
      - .offset:         144
        .size:           4
        .value_kind:     by_value
      - .offset:         148
        .size:           4
        .value_kind:     by_value
      - .offset:         152
        .size:           1
        .value_kind:     by_value
      - .offset:         153
        .size:           1
        .value_kind:     by_value
      - .offset:         154
        .size:           1
        .value_kind:     by_value
    .group_segment_fixed_size: 0
    .kernarg_segment_align: 8
    .kernarg_segment_size: 156
    .language:       OpenCL C
    .language_version:
      - 2
      - 0
    .max_flat_workgroup_size: 1024
    .name:           _ZN9rocsparseL41csrgemm_numeric_fill_block_per_row_kernelILj1024ELj64ELj8192ELj137ELj64Ell21rocsparse_complex_numIfEEEvT5_PKS3_S5_NS_24const_host_device_scalarIT6_EEPKT4_S5_PKS7_SB_S5_SD_S8_SB_S5_SD_SB_S5_PS7_21rocsparse_index_base_SF_SF_SF_bbb
    .private_segment_fixed_size: 0
    .sgpr_count:     50
    .sgpr_spill_count: 0
    .symbol:         _ZN9rocsparseL41csrgemm_numeric_fill_block_per_row_kernelILj1024ELj64ELj8192ELj137ELj64Ell21rocsparse_complex_numIfEEEvT5_PKS3_S5_NS_24const_host_device_scalarIT6_EEPKT4_S5_PKS7_SB_S5_SD_S8_SB_S5_SD_SB_S5_PS7_21rocsparse_index_base_SF_SF_SF_bbb.kd
    .uniform_work_group_size: 1
    .uses_dynamic_stack: false
    .vgpr_count:     27
    .vgpr_spill_count: 0
    .wavefront_size: 32
    .workgroup_processor_mode: 1
  - .args:
      - .offset:         0
        .size:           8
        .value_kind:     by_value
      - .actual_access:  read_only
        .address_space:  global
        .offset:         8
        .size:           8
        .value_kind:     global_buffer
      - .actual_access:  read_only
        .address_space:  global
        .offset:         16
        .size:           8
        .value_kind:     global_buffer
      - .offset:         24
        .size:           8
        .value_kind:     by_value
      - .actual_access:  read_only
        .address_space:  global
        .offset:         32
        .size:           8
        .value_kind:     global_buffer
      - .actual_access:  read_only
        .address_space:  global
        .offset:         40
        .size:           8
        .value_kind:     global_buffer
      - .actual_access:  read_only
        .address_space:  global
        .offset:         48
        .size:           8
        .value_kind:     global_buffer
      - .actual_access:  read_only
        .address_space:  global
        .offset:         56
        .size:           8
        .value_kind:     global_buffer
      - .actual_access:  read_only
        .address_space:  global
        .offset:         64
        .size:           8
        .value_kind:     global_buffer
      - .actual_access:  read_only
        .address_space:  global
        .offset:         72
        .size:           8
        .value_kind:     global_buffer
      - .offset:         80
        .size:           8
        .value_kind:     by_value
      - .actual_access:  read_only
        .address_space:  global
        .offset:         88
        .size:           8
        .value_kind:     global_buffer
      - .actual_access:  read_only
        .address_space:  global
        .offset:         96
        .size:           8
        .value_kind:     global_buffer
      - .actual_access:  read_only
        .address_space:  global
        .offset:         104
        .size:           8
        .value_kind:     global_buffer
      - .actual_access:  read_only
        .address_space:  global
        .offset:         112
        .size:           8
        .value_kind:     global_buffer
      - .actual_access:  read_only
        .address_space:  global
        .offset:         120
        .size:           8
        .value_kind:     global_buffer
      - .actual_access:  write_only
        .address_space:  global
        .offset:         128
        .size:           8
        .value_kind:     global_buffer
      - .offset:         136
        .size:           4
        .value_kind:     by_value
      - .offset:         140
        .size:           4
        .value_kind:     by_value
      - .offset:         144
        .size:           4
        .value_kind:     by_value
      - .offset:         148
        .size:           4
        .value_kind:     by_value
      - .offset:         152
        .size:           1
        .value_kind:     by_value
      - .offset:         153
        .size:           1
        .value_kind:     by_value
      - .offset:         154
        .size:           1
        .value_kind:     by_value
    .group_segment_fixed_size: 0
    .kernarg_segment_align: 8
    .kernarg_segment_size: 156
    .language:       OpenCL C
    .language_version:
      - 2
      - 0
    .max_flat_workgroup_size: 1024
    .name:           _ZN9rocsparseL41csrgemm_numeric_fill_block_per_row_kernelILj1024ELj64ELj16384ELj137ELj32Ell21rocsparse_complex_numIfEEEvT5_PKS3_S5_NS_24const_host_device_scalarIT6_EEPKT4_S5_PKS7_SB_S5_SD_S8_SB_S5_SD_SB_S5_PS7_21rocsparse_index_base_SF_SF_SF_bbb
    .private_segment_fixed_size: 0
    .sgpr_count:     78
    .sgpr_spill_count: 0
    .symbol:         _ZN9rocsparseL41csrgemm_numeric_fill_block_per_row_kernelILj1024ELj64ELj16384ELj137ELj32Ell21rocsparse_complex_numIfEEEvT5_PKS3_S5_NS_24const_host_device_scalarIT6_EEPKT4_S5_PKS7_SB_S5_SD_S8_SB_S5_SD_SB_S5_PS7_21rocsparse_index_base_SF_SF_SF_bbb.kd
    .uniform_work_group_size: 1
    .uses_dynamic_stack: false
    .vgpr_count:     24
    .vgpr_spill_count: 0
    .wavefront_size: 32
    .workgroup_processor_mode: 1
  - .args:
      - .offset:         0
        .size:           8
        .value_kind:     by_value
      - .actual_access:  read_only
        .address_space:  global
        .offset:         8
        .size:           8
        .value_kind:     global_buffer
      - .actual_access:  read_only
        .address_space:  global
        .offset:         16
        .size:           8
        .value_kind:     global_buffer
      - .offset:         24
        .size:           8
        .value_kind:     by_value
      - .actual_access:  read_only
        .address_space:  global
        .offset:         32
        .size:           8
        .value_kind:     global_buffer
      - .actual_access:  read_only
        .address_space:  global
        .offset:         40
        .size:           8
        .value_kind:     global_buffer
      - .actual_access:  read_only
        .address_space:  global
        .offset:         48
        .size:           8
        .value_kind:     global_buffer
      - .actual_access:  read_only
        .address_space:  global
        .offset:         56
        .size:           8
        .value_kind:     global_buffer
      - .actual_access:  read_only
        .address_space:  global
        .offset:         64
        .size:           8
        .value_kind:     global_buffer
      - .actual_access:  read_only
        .address_space:  global
        .offset:         72
        .size:           8
        .value_kind:     global_buffer
      - .offset:         80
        .size:           8
        .value_kind:     by_value
      - .actual_access:  read_only
        .address_space:  global
        .offset:         88
        .size:           8
        .value_kind:     global_buffer
      - .actual_access:  read_only
        .address_space:  global
        .offset:         96
        .size:           8
        .value_kind:     global_buffer
      - .actual_access:  read_only
        .address_space:  global
        .offset:         104
        .size:           8
        .value_kind:     global_buffer
      - .actual_access:  read_only
        .address_space:  global
        .offset:         112
        .size:           8
        .value_kind:     global_buffer
      - .actual_access:  read_only
        .address_space:  global
        .offset:         120
        .size:           8
        .value_kind:     global_buffer
      - .actual_access:  write_only
        .address_space:  global
        .offset:         128
        .size:           8
        .value_kind:     global_buffer
      - .offset:         136
        .size:           4
        .value_kind:     by_value
      - .offset:         140
        .size:           4
        .value_kind:     by_value
      - .offset:         144
        .size:           4
        .value_kind:     by_value
      - .offset:         148
        .size:           4
        .value_kind:     by_value
      - .offset:         152
        .size:           1
        .value_kind:     by_value
      - .offset:         153
        .size:           1
        .value_kind:     by_value
      - .offset:         154
        .size:           1
        .value_kind:     by_value
    .group_segment_fixed_size: 0
    .kernarg_segment_align: 8
    .kernarg_segment_size: 156
    .language:       OpenCL C
    .language_version:
      - 2
      - 0
    .max_flat_workgroup_size: 1024
    .name:           _ZN9rocsparseL41csrgemm_numeric_fill_block_per_row_kernelILj1024ELj64ELj16384ELj137ELj64Ell21rocsparse_complex_numIfEEEvT5_PKS3_S5_NS_24const_host_device_scalarIT6_EEPKT4_S5_PKS7_SB_S5_SD_S8_SB_S5_SD_SB_S5_PS7_21rocsparse_index_base_SF_SF_SF_bbb
    .private_segment_fixed_size: 0
    .sgpr_count:     50
    .sgpr_spill_count: 0
    .symbol:         _ZN9rocsparseL41csrgemm_numeric_fill_block_per_row_kernelILj1024ELj64ELj16384ELj137ELj64Ell21rocsparse_complex_numIfEEEvT5_PKS3_S5_NS_24const_host_device_scalarIT6_EEPKT4_S5_PKS7_SB_S5_SD_S8_SB_S5_SD_SB_S5_PS7_21rocsparse_index_base_SF_SF_SF_bbb.kd
    .uniform_work_group_size: 1
    .uses_dynamic_stack: false
    .vgpr_count:     24
    .vgpr_spill_count: 0
    .wavefront_size: 32
    .workgroup_processor_mode: 1
  - .args:
      - .offset:         0
        .size:           8
        .value_kind:     by_value
      - .actual_access:  read_only
        .address_space:  global
        .offset:         8
        .size:           8
        .value_kind:     global_buffer
      - .actual_access:  read_only
        .address_space:  global
        .offset:         16
        .size:           8
        .value_kind:     global_buffer
      - .offset:         24
        .size:           8
        .value_kind:     by_value
      - .actual_access:  read_only
        .address_space:  global
        .offset:         32
        .size:           8
        .value_kind:     global_buffer
      - .actual_access:  read_only
        .address_space:  global
        .offset:         40
        .size:           8
        .value_kind:     global_buffer
      - .actual_access:  read_only
        .address_space:  global
        .offset:         48
        .size:           8
        .value_kind:     global_buffer
      - .actual_access:  read_only
        .address_space:  global
        .offset:         56
        .size:           8
        .value_kind:     global_buffer
      - .actual_access:  read_only
        .address_space:  global
        .offset:         64
        .size:           8
        .value_kind:     global_buffer
      - .actual_access:  read_only
        .address_space:  global
        .offset:         72
        .size:           8
        .value_kind:     global_buffer
      - .offset:         80
        .size:           8
        .value_kind:     by_value
      - .actual_access:  read_only
        .address_space:  global
        .offset:         88
        .size:           8
        .value_kind:     global_buffer
      - .actual_access:  read_only
        .address_space:  global
        .offset:         96
        .size:           8
        .value_kind:     global_buffer
      - .actual_access:  read_only
        .address_space:  global
        .offset:         104
        .size:           8
        .value_kind:     global_buffer
      - .actual_access:  read_only
        .address_space:  global
        .offset:         112
        .size:           8
        .value_kind:     global_buffer
      - .actual_access:  read_only
        .address_space:  global
        .offset:         120
        .size:           8
        .value_kind:     global_buffer
      - .actual_access:  write_only
        .address_space:  global
        .offset:         128
        .size:           8
        .value_kind:     global_buffer
      - .offset:         136
        .size:           4
        .value_kind:     by_value
      - .offset:         140
        .size:           4
        .value_kind:     by_value
      - .offset:         144
        .size:           4
        .value_kind:     by_value
      - .offset:         148
        .size:           4
        .value_kind:     by_value
      - .offset:         152
        .size:           1
        .value_kind:     by_value
      - .offset:         153
        .size:           1
        .value_kind:     by_value
      - .offset:         154
        .size:           1
        .value_kind:     by_value
    .group_segment_fixed_size: 0
    .kernarg_segment_align: 8
    .kernarg_segment_size: 156
    .language:       OpenCL C
    .language_version:
      - 2
      - 0
    .max_flat_workgroup_size: 1024
    .name:           _ZN9rocsparseL41csrgemm_numeric_fill_block_per_row_kernelILj1024ELj64ELj32768ELj137ELj32Ell21rocsparse_complex_numIfEEEvT5_PKS3_S5_NS_24const_host_device_scalarIT6_EEPKT4_S5_PKS7_SB_S5_SD_S8_SB_S5_SD_SB_S5_PS7_21rocsparse_index_base_SF_SF_SF_bbb
    .private_segment_fixed_size: 0
    .sgpr_count:     78
    .sgpr_spill_count: 0
    .symbol:         _ZN9rocsparseL41csrgemm_numeric_fill_block_per_row_kernelILj1024ELj64ELj32768ELj137ELj32Ell21rocsparse_complex_numIfEEEvT5_PKS3_S5_NS_24const_host_device_scalarIT6_EEPKT4_S5_PKS7_SB_S5_SD_S8_SB_S5_SD_SB_S5_PS7_21rocsparse_index_base_SF_SF_SF_bbb.kd
    .uniform_work_group_size: 1
    .uses_dynamic_stack: false
    .vgpr_count:     24
    .vgpr_spill_count: 0
    .wavefront_size: 32
    .workgroup_processor_mode: 1
  - .args:
      - .offset:         0
        .size:           8
        .value_kind:     by_value
      - .actual_access:  read_only
        .address_space:  global
        .offset:         8
        .size:           8
        .value_kind:     global_buffer
      - .actual_access:  read_only
        .address_space:  global
        .offset:         16
        .size:           8
        .value_kind:     global_buffer
      - .offset:         24
        .size:           8
        .value_kind:     by_value
      - .actual_access:  read_only
        .address_space:  global
        .offset:         32
        .size:           8
        .value_kind:     global_buffer
      - .actual_access:  read_only
        .address_space:  global
        .offset:         40
        .size:           8
        .value_kind:     global_buffer
      - .actual_access:  read_only
        .address_space:  global
        .offset:         48
        .size:           8
        .value_kind:     global_buffer
      - .actual_access:  read_only
        .address_space:  global
        .offset:         56
        .size:           8
        .value_kind:     global_buffer
      - .actual_access:  read_only
        .address_space:  global
        .offset:         64
        .size:           8
        .value_kind:     global_buffer
      - .actual_access:  read_only
        .address_space:  global
        .offset:         72
        .size:           8
        .value_kind:     global_buffer
      - .offset:         80
        .size:           8
        .value_kind:     by_value
      - .actual_access:  read_only
        .address_space:  global
        .offset:         88
        .size:           8
        .value_kind:     global_buffer
      - .actual_access:  read_only
        .address_space:  global
        .offset:         96
        .size:           8
        .value_kind:     global_buffer
      - .actual_access:  read_only
        .address_space:  global
        .offset:         104
        .size:           8
        .value_kind:     global_buffer
      - .actual_access:  read_only
        .address_space:  global
        .offset:         112
        .size:           8
        .value_kind:     global_buffer
      - .actual_access:  read_only
        .address_space:  global
        .offset:         120
        .size:           8
        .value_kind:     global_buffer
      - .actual_access:  write_only
        .address_space:  global
        .offset:         128
        .size:           8
        .value_kind:     global_buffer
      - .offset:         136
        .size:           4
        .value_kind:     by_value
      - .offset:         140
        .size:           4
        .value_kind:     by_value
      - .offset:         144
        .size:           4
        .value_kind:     by_value
      - .offset:         148
        .size:           4
        .value_kind:     by_value
      - .offset:         152
        .size:           1
        .value_kind:     by_value
      - .offset:         153
        .size:           1
        .value_kind:     by_value
      - .offset:         154
        .size:           1
        .value_kind:     by_value
    .group_segment_fixed_size: 0
    .kernarg_segment_align: 8
    .kernarg_segment_size: 156
    .language:       OpenCL C
    .language_version:
      - 2
      - 0
    .max_flat_workgroup_size: 1024
    .name:           _ZN9rocsparseL41csrgemm_numeric_fill_block_per_row_kernelILj1024ELj64ELj32768ELj137ELj64Ell21rocsparse_complex_numIfEEEvT5_PKS3_S5_NS_24const_host_device_scalarIT6_EEPKT4_S5_PKS7_SB_S5_SD_S8_SB_S5_SD_SB_S5_PS7_21rocsparse_index_base_SF_SF_SF_bbb
    .private_segment_fixed_size: 0
    .sgpr_count:     50
    .sgpr_spill_count: 0
    .symbol:         _ZN9rocsparseL41csrgemm_numeric_fill_block_per_row_kernelILj1024ELj64ELj32768ELj137ELj64Ell21rocsparse_complex_numIfEEEvT5_PKS3_S5_NS_24const_host_device_scalarIT6_EEPKT4_S5_PKS7_SB_S5_SD_S8_SB_S5_SD_SB_S5_PS7_21rocsparse_index_base_SF_SF_SF_bbb.kd
    .uniform_work_group_size: 1
    .uses_dynamic_stack: false
    .vgpr_count:     24
    .vgpr_spill_count: 0
    .wavefront_size: 32
    .workgroup_processor_mode: 1
  - .args:
      - .offset:         0
        .size:           8
        .value_kind:     by_value
      - .actual_access:  read_only
        .address_space:  global
        .offset:         8
        .size:           8
        .value_kind:     global_buffer
      - .actual_access:  read_only
        .address_space:  global
        .offset:         16
        .size:           8
        .value_kind:     global_buffer
      - .offset:         24
        .size:           8
        .value_kind:     by_value
      - .actual_access:  read_only
        .address_space:  global
        .offset:         32
        .size:           8
        .value_kind:     global_buffer
      - .actual_access:  read_only
        .address_space:  global
        .offset:         40
        .size:           8
        .value_kind:     global_buffer
      - .actual_access:  read_only
        .address_space:  global
        .offset:         48
        .size:           8
        .value_kind:     global_buffer
      - .actual_access:  read_only
        .address_space:  global
        .offset:         56
        .size:           8
        .value_kind:     global_buffer
      - .actual_access:  read_only
        .address_space:  global
        .offset:         64
        .size:           8
        .value_kind:     global_buffer
      - .actual_access:  read_only
        .address_space:  global
        .offset:         72
        .size:           8
        .value_kind:     global_buffer
      - .offset:         80
        .size:           8
        .value_kind:     by_value
      - .actual_access:  read_only
        .address_space:  global
        .offset:         88
        .size:           8
        .value_kind:     global_buffer
      - .actual_access:  read_only
        .address_space:  global
        .offset:         96
        .size:           8
        .value_kind:     global_buffer
      - .actual_access:  read_only
        .address_space:  global
        .offset:         104
        .size:           8
        .value_kind:     global_buffer
      - .actual_access:  read_only
        .address_space:  global
        .offset:         112
        .size:           8
        .value_kind:     global_buffer
      - .actual_access:  read_only
        .address_space:  global
        .offset:         120
        .size:           8
        .value_kind:     global_buffer
      - .actual_access:  write_only
        .address_space:  global
        .offset:         128
        .size:           8
        .value_kind:     global_buffer
      - .address_space:  global
        .offset:         136
        .size:           8
        .value_kind:     global_buffer
      - .offset:         144
        .size:           4
        .value_kind:     by_value
      - .offset:         148
        .size:           4
        .value_kind:     by_value
      - .offset:         152
        .size:           4
        .value_kind:     by_value
      - .offset:         156
        .size:           4
        .value_kind:     by_value
      - .offset:         160
        .size:           1
        .value_kind:     by_value
      - .offset:         161
        .size:           1
        .value_kind:     by_value
      - .offset:         162
        .size:           1
        .value_kind:     by_value
    .group_segment_fixed_size: 18440
    .kernarg_segment_align: 8
    .kernarg_segment_size: 164
    .language:       OpenCL C
    .language_version:
      - 2
      - 0
    .max_flat_workgroup_size: 512
    .name:           _ZN9rocsparseL51csrgemm_numeric_fill_block_per_row_multipass_kernelILj512ELj16ELj2048ELj32Ell21rocsparse_complex_numIfEEEvT4_PKS3_S5_NS_24const_host_device_scalarIT5_EEPKT3_S5_PKS7_SB_S5_SD_S8_SB_S5_SD_SB_S5_PS7_PS9_21rocsparse_index_base_SG_SG_SG_bbb
    .private_segment_fixed_size: 0
    .sgpr_count:     67
    .sgpr_spill_count: 0
    .symbol:         _ZN9rocsparseL51csrgemm_numeric_fill_block_per_row_multipass_kernelILj512ELj16ELj2048ELj32Ell21rocsparse_complex_numIfEEEvT4_PKS3_S5_NS_24const_host_device_scalarIT5_EEPKT3_S5_PKS7_SB_S5_SD_S8_SB_S5_SD_SB_S5_PS7_PS9_21rocsparse_index_base_SG_SG_SG_bbb.kd
    .uniform_work_group_size: 1
    .uses_dynamic_stack: false
    .vgpr_count:     47
    .vgpr_spill_count: 0
    .wavefront_size: 32
    .workgroup_processor_mode: 1
  - .args:
      - .offset:         0
        .size:           8
        .value_kind:     by_value
      - .actual_access:  read_only
        .address_space:  global
        .offset:         8
        .size:           8
        .value_kind:     global_buffer
      - .actual_access:  read_only
        .address_space:  global
        .offset:         16
        .size:           8
        .value_kind:     global_buffer
      - .offset:         24
        .size:           8
        .value_kind:     by_value
      - .actual_access:  read_only
        .address_space:  global
        .offset:         32
        .size:           8
        .value_kind:     global_buffer
      - .actual_access:  read_only
        .address_space:  global
        .offset:         40
        .size:           8
        .value_kind:     global_buffer
      - .actual_access:  read_only
        .address_space:  global
        .offset:         48
        .size:           8
        .value_kind:     global_buffer
      - .actual_access:  read_only
        .address_space:  global
        .offset:         56
        .size:           8
        .value_kind:     global_buffer
      - .actual_access:  read_only
        .address_space:  global
        .offset:         64
        .size:           8
        .value_kind:     global_buffer
      - .actual_access:  read_only
        .address_space:  global
        .offset:         72
        .size:           8
        .value_kind:     global_buffer
      - .offset:         80
        .size:           8
        .value_kind:     by_value
      - .actual_access:  read_only
        .address_space:  global
        .offset:         88
        .size:           8
        .value_kind:     global_buffer
      - .actual_access:  read_only
        .address_space:  global
        .offset:         96
        .size:           8
        .value_kind:     global_buffer
      - .actual_access:  read_only
        .address_space:  global
        .offset:         104
        .size:           8
        .value_kind:     global_buffer
      - .actual_access:  read_only
        .address_space:  global
        .offset:         112
        .size:           8
        .value_kind:     global_buffer
      - .actual_access:  read_only
        .address_space:  global
        .offset:         120
        .size:           8
        .value_kind:     global_buffer
      - .actual_access:  write_only
        .address_space:  global
        .offset:         128
        .size:           8
        .value_kind:     global_buffer
      - .address_space:  global
        .offset:         136
        .size:           8
        .value_kind:     global_buffer
      - .offset:         144
        .size:           4
        .value_kind:     by_value
      - .offset:         148
        .size:           4
        .value_kind:     by_value
      - .offset:         152
        .size:           4
        .value_kind:     by_value
      - .offset:         156
        .size:           4
        .value_kind:     by_value
      - .offset:         160
        .size:           1
        .value_kind:     by_value
      - .offset:         161
        .size:           1
        .value_kind:     by_value
      - .offset:         162
        .size:           1
        .value_kind:     by_value
    .group_segment_fixed_size: 18440
    .kernarg_segment_align: 8
    .kernarg_segment_size: 164
    .language:       OpenCL C
    .language_version:
      - 2
      - 0
    .max_flat_workgroup_size: 512
    .name:           _ZN9rocsparseL51csrgemm_numeric_fill_block_per_row_multipass_kernelILj512ELj16ELj2048ELj64Ell21rocsparse_complex_numIfEEEvT4_PKS3_S5_NS_24const_host_device_scalarIT5_EEPKT3_S5_PKS7_SB_S5_SD_S8_SB_S5_SD_SB_S5_PS7_PS9_21rocsparse_index_base_SG_SG_SG_bbb
    .private_segment_fixed_size: 0
    .sgpr_count:     59
    .sgpr_spill_count: 0
    .symbol:         _ZN9rocsparseL51csrgemm_numeric_fill_block_per_row_multipass_kernelILj512ELj16ELj2048ELj64Ell21rocsparse_complex_numIfEEEvT4_PKS3_S5_NS_24const_host_device_scalarIT5_EEPKT3_S5_PKS7_SB_S5_SD_S8_SB_S5_SD_SB_S5_PS7_PS9_21rocsparse_index_base_SG_SG_SG_bbb.kd
    .uniform_work_group_size: 1
    .uses_dynamic_stack: false
    .vgpr_count:     47
    .vgpr_spill_count: 0
    .wavefront_size: 32
    .workgroup_processor_mode: 1
  - .args:
      - .offset:         0
        .size:           8
        .value_kind:     by_value
      - .offset:         8
        .size:           8
        .value_kind:     by_value
      - .actual_access:  read_only
        .address_space:  global
        .offset:         16
        .size:           8
        .value_kind:     global_buffer
      - .actual_access:  read_only
        .address_space:  global
        .offset:         24
        .size:           8
        .value_kind:     global_buffer
      - .offset:         32
        .size:           16
        .value_kind:     by_value
      - .actual_access:  read_only
        .address_space:  global
        .offset:         48
        .size:           8
        .value_kind:     global_buffer
      - .actual_access:  read_only
        .address_space:  global
        .offset:         56
        .size:           8
        .value_kind:     global_buffer
      - .actual_access:  read_only
        .address_space:  global
        .offset:         64
        .size:           8
        .value_kind:     global_buffer
      - .actual_access:  read_only
        .address_space:  global
        .offset:         72
        .size:           8
        .value_kind:     global_buffer
      - .actual_access:  read_only
        .address_space:  global
        .offset:         80
        .size:           8
        .value_kind:     global_buffer
      - .actual_access:  read_only
        .address_space:  global
        .offset:         88
        .size:           8
        .value_kind:     global_buffer
      - .offset:         96
        .size:           16
        .value_kind:     by_value
      - .actual_access:  read_only
        .address_space:  global
        .offset:         112
        .size:           8
        .value_kind:     global_buffer
      - .actual_access:  read_only
        .address_space:  global
        .offset:         120
        .size:           8
        .value_kind:     global_buffer
      - .actual_access:  read_only
        .address_space:  global
        .offset:         128
        .size:           8
        .value_kind:     global_buffer
      - .actual_access:  read_only
        .address_space:  global
        .offset:         136
        .size:           8
        .value_kind:     global_buffer
      - .actual_access:  read_only
        .address_space:  global
        .offset:         144
        .size:           8
        .value_kind:     global_buffer
      - .actual_access:  write_only
        .address_space:  global
        .offset:         152
        .size:           8
        .value_kind:     global_buffer
      - .offset:         160
        .size:           4
        .value_kind:     by_value
      - .offset:         164
        .size:           4
        .value_kind:     by_value
      - .offset:         168
        .size:           4
        .value_kind:     by_value
      - .offset:         172
        .size:           4
        .value_kind:     by_value
      - .offset:         176
        .size:           1
        .value_kind:     by_value
      - .offset:         177
        .size:           1
        .value_kind:     by_value
      - .offset:         178
        .size:           1
        .value_kind:     by_value
    .group_segment_fixed_size: 16384
    .kernarg_segment_align: 8
    .kernarg_segment_size: 180
    .language:       OpenCL C
    .language_version:
      - 2
      - 0
    .max_flat_workgroup_size: 256
    .name:           _ZN9rocsparseL38csrgemm_numeric_fill_wf_per_row_kernelILj256ELj8ELj16ELj137Ell21rocsparse_complex_numIdEEEvT4_S3_PKS3_S5_NS_24const_host_device_scalarIT5_EEPKT3_S5_PKS7_SB_S5_SD_S8_SB_S5_SD_SB_S5_PS7_21rocsparse_index_base_SF_SF_SF_bbb
    .private_segment_fixed_size: 0
    .sgpr_count:     46
    .sgpr_spill_count: 0
    .symbol:         _ZN9rocsparseL38csrgemm_numeric_fill_wf_per_row_kernelILj256ELj8ELj16ELj137Ell21rocsparse_complex_numIdEEEvT4_S3_PKS3_S5_NS_24const_host_device_scalarIT5_EEPKT3_S5_PKS7_SB_S5_SD_S8_SB_S5_SD_SB_S5_PS7_21rocsparse_index_base_SF_SF_SF_bbb.kd
    .uniform_work_group_size: 1
    .uses_dynamic_stack: false
    .vgpr_count:     42
    .vgpr_spill_count: 0
    .wavefront_size: 32
    .workgroup_processor_mode: 1
  - .args:
      - .offset:         0
        .size:           8
        .value_kind:     by_value
      - .offset:         8
        .size:           8
        .value_kind:     by_value
      - .actual_access:  read_only
        .address_space:  global
        .offset:         16
        .size:           8
        .value_kind:     global_buffer
      - .actual_access:  read_only
        .address_space:  global
        .offset:         24
        .size:           8
        .value_kind:     global_buffer
      - .offset:         32
        .size:           16
        .value_kind:     by_value
      - .actual_access:  read_only
        .address_space:  global
        .offset:         48
        .size:           8
        .value_kind:     global_buffer
      - .actual_access:  read_only
        .address_space:  global
        .offset:         56
        .size:           8
        .value_kind:     global_buffer
      - .actual_access:  read_only
        .address_space:  global
        .offset:         64
        .size:           8
        .value_kind:     global_buffer
      - .actual_access:  read_only
        .address_space:  global
        .offset:         72
        .size:           8
        .value_kind:     global_buffer
      - .actual_access:  read_only
        .address_space:  global
        .offset:         80
        .size:           8
        .value_kind:     global_buffer
      - .actual_access:  read_only
        .address_space:  global
        .offset:         88
        .size:           8
        .value_kind:     global_buffer
      - .offset:         96
        .size:           16
        .value_kind:     by_value
      - .actual_access:  read_only
        .address_space:  global
        .offset:         112
        .size:           8
        .value_kind:     global_buffer
      - .actual_access:  read_only
        .address_space:  global
        .offset:         120
        .size:           8
        .value_kind:     global_buffer
      - .actual_access:  read_only
        .address_space:  global
        .offset:         128
        .size:           8
        .value_kind:     global_buffer
      - .actual_access:  read_only
        .address_space:  global
        .offset:         136
        .size:           8
        .value_kind:     global_buffer
      - .actual_access:  read_only
        .address_space:  global
        .offset:         144
        .size:           8
        .value_kind:     global_buffer
      - .actual_access:  write_only
        .address_space:  global
        .offset:         152
        .size:           8
        .value_kind:     global_buffer
      - .offset:         160
        .size:           4
        .value_kind:     by_value
      - .offset:         164
        .size:           4
        .value_kind:     by_value
      - .offset:         168
        .size:           4
        .value_kind:     by_value
      - .offset:         172
        .size:           4
        .value_kind:     by_value
      - .offset:         176
        .size:           1
        .value_kind:     by_value
      - .offset:         177
        .size:           1
        .value_kind:     by_value
      - .offset:         178
        .size:           1
        .value_kind:     by_value
    .group_segment_fixed_size: 16384
    .kernarg_segment_align: 8
    .kernarg_segment_size: 180
    .language:       OpenCL C
    .language_version:
      - 2
      - 0
    .max_flat_workgroup_size: 256
    .name:           _ZN9rocsparseL38csrgemm_numeric_fill_wf_per_row_kernelILj256ELj16ELj32ELj137Ell21rocsparse_complex_numIdEEEvT4_S3_PKS3_S5_NS_24const_host_device_scalarIT5_EEPKT3_S5_PKS7_SB_S5_SD_S8_SB_S5_SD_SB_S5_PS7_21rocsparse_index_base_SF_SF_SF_bbb
    .private_segment_fixed_size: 0
    .sgpr_count:     46
    .sgpr_spill_count: 0
    .symbol:         _ZN9rocsparseL38csrgemm_numeric_fill_wf_per_row_kernelILj256ELj16ELj32ELj137Ell21rocsparse_complex_numIdEEEvT4_S3_PKS3_S5_NS_24const_host_device_scalarIT5_EEPKT3_S5_PKS7_SB_S5_SD_S8_SB_S5_SD_SB_S5_PS7_21rocsparse_index_base_SF_SF_SF_bbb.kd
    .uniform_work_group_size: 1
    .uses_dynamic_stack: false
    .vgpr_count:     74
    .vgpr_spill_count: 0
    .wavefront_size: 32
    .workgroup_processor_mode: 1
  - .args:
      - .offset:         0
        .size:           8
        .value_kind:     by_value
      - .actual_access:  read_only
        .address_space:  global
        .offset:         8
        .size:           8
        .value_kind:     global_buffer
      - .actual_access:  read_only
        .address_space:  global
        .offset:         16
        .size:           8
        .value_kind:     global_buffer
      - .offset:         24
        .size:           16
        .value_kind:     by_value
      - .actual_access:  read_only
        .address_space:  global
        .offset:         40
        .size:           8
        .value_kind:     global_buffer
      - .actual_access:  read_only
        .address_space:  global
        .offset:         48
        .size:           8
        .value_kind:     global_buffer
      - .actual_access:  read_only
        .address_space:  global
        .offset:         56
        .size:           8
        .value_kind:     global_buffer
      - .actual_access:  read_only
        .address_space:  global
        .offset:         64
        .size:           8
        .value_kind:     global_buffer
      - .actual_access:  read_only
        .address_space:  global
        .offset:         72
        .size:           8
        .value_kind:     global_buffer
      - .actual_access:  read_only
        .address_space:  global
        .offset:         80
        .size:           8
        .value_kind:     global_buffer
      - .offset:         88
        .size:           16
        .value_kind:     by_value
      - .actual_access:  read_only
        .address_space:  global
        .offset:         104
        .size:           8
        .value_kind:     global_buffer
      - .actual_access:  read_only
        .address_space:  global
        .offset:         112
        .size:           8
        .value_kind:     global_buffer
      - .actual_access:  read_only
        .address_space:  global
        .offset:         120
        .size:           8
        .value_kind:     global_buffer
      - .actual_access:  read_only
        .address_space:  global
        .offset:         128
        .size:           8
        .value_kind:     global_buffer
      - .actual_access:  read_only
        .address_space:  global
        .offset:         136
        .size:           8
        .value_kind:     global_buffer
      - .actual_access:  write_only
        .address_space:  global
        .offset:         144
        .size:           8
        .value_kind:     global_buffer
      - .offset:         152
        .size:           4
        .value_kind:     by_value
      - .offset:         156
        .size:           4
        .value_kind:     by_value
      - .offset:         160
        .size:           4
        .value_kind:     by_value
      - .offset:         164
        .size:           4
        .value_kind:     by_value
      - .offset:         168
        .size:           1
        .value_kind:     by_value
      - .offset:         169
        .size:           1
        .value_kind:     by_value
      - .offset:         170
        .size:           1
        .value_kind:     by_value
    .group_segment_fixed_size: 0
    .kernarg_segment_align: 8
    .kernarg_segment_size: 172
    .language:       OpenCL C
    .language_version:
      - 2
      - 0
    .max_flat_workgroup_size: 128
    .name:           _ZN9rocsparseL41csrgemm_numeric_fill_block_per_row_kernelILj128ELj16ELj256ELj137ELj32Ell21rocsparse_complex_numIdEEEvT5_PKS3_S5_NS_24const_host_device_scalarIT6_EEPKT4_S5_PKS7_SB_S5_SD_S8_SB_S5_SD_SB_S5_PS7_21rocsparse_index_base_SF_SF_SF_bbb
    .private_segment_fixed_size: 40
    .sgpr_count:     46
    .sgpr_spill_count: 0
    .symbol:         _ZN9rocsparseL41csrgemm_numeric_fill_block_per_row_kernelILj128ELj16ELj256ELj137ELj32Ell21rocsparse_complex_numIdEEEvT5_PKS3_S5_NS_24const_host_device_scalarIT6_EEPKT4_S5_PKS7_SB_S5_SD_S8_SB_S5_SD_SB_S5_PS7_21rocsparse_index_base_SF_SF_SF_bbb.kd
    .uniform_work_group_size: 1
    .uses_dynamic_stack: false
    .vgpr_count:     36
    .vgpr_spill_count: 0
    .wavefront_size: 32
    .workgroup_processor_mode: 1
  - .args:
      - .offset:         0
        .size:           8
        .value_kind:     by_value
      - .actual_access:  read_only
        .address_space:  global
        .offset:         8
        .size:           8
        .value_kind:     global_buffer
      - .actual_access:  read_only
        .address_space:  global
        .offset:         16
        .size:           8
        .value_kind:     global_buffer
      - .offset:         24
        .size:           16
        .value_kind:     by_value
      - .actual_access:  read_only
        .address_space:  global
        .offset:         40
        .size:           8
        .value_kind:     global_buffer
      - .actual_access:  read_only
        .address_space:  global
        .offset:         48
        .size:           8
        .value_kind:     global_buffer
      - .actual_access:  read_only
        .address_space:  global
        .offset:         56
        .size:           8
        .value_kind:     global_buffer
      - .actual_access:  read_only
        .address_space:  global
        .offset:         64
        .size:           8
        .value_kind:     global_buffer
      - .actual_access:  read_only
        .address_space:  global
        .offset:         72
        .size:           8
        .value_kind:     global_buffer
      - .actual_access:  read_only
        .address_space:  global
        .offset:         80
        .size:           8
        .value_kind:     global_buffer
      - .offset:         88
        .size:           16
        .value_kind:     by_value
      - .actual_access:  read_only
        .address_space:  global
        .offset:         104
        .size:           8
        .value_kind:     global_buffer
      - .actual_access:  read_only
        .address_space:  global
        .offset:         112
        .size:           8
        .value_kind:     global_buffer
      - .actual_access:  read_only
        .address_space:  global
        .offset:         120
        .size:           8
        .value_kind:     global_buffer
      - .actual_access:  read_only
        .address_space:  global
        .offset:         128
        .size:           8
        .value_kind:     global_buffer
      - .actual_access:  read_only
        .address_space:  global
        .offset:         136
        .size:           8
        .value_kind:     global_buffer
      - .actual_access:  write_only
        .address_space:  global
        .offset:         144
        .size:           8
        .value_kind:     global_buffer
      - .offset:         152
        .size:           4
        .value_kind:     by_value
      - .offset:         156
        .size:           4
        .value_kind:     by_value
      - .offset:         160
        .size:           4
        .value_kind:     by_value
      - .offset:         164
        .size:           4
        .value_kind:     by_value
      - .offset:         168
        .size:           1
        .value_kind:     by_value
      - .offset:         169
        .size:           1
        .value_kind:     by_value
      - .offset:         170
        .size:           1
        .value_kind:     by_value
    .group_segment_fixed_size: 0
    .kernarg_segment_align: 8
    .kernarg_segment_size: 172
    .language:       OpenCL C
    .language_version:
      - 2
      - 0
    .max_flat_workgroup_size: 128
    .name:           _ZN9rocsparseL41csrgemm_numeric_fill_block_per_row_kernelILj128ELj16ELj256ELj137ELj64Ell21rocsparse_complex_numIdEEEvT5_PKS3_S5_NS_24const_host_device_scalarIT6_EEPKT4_S5_PKS7_SB_S5_SD_S8_SB_S5_SD_SB_S5_PS7_21rocsparse_index_base_SF_SF_SF_bbb
    .private_segment_fixed_size: 40
    .sgpr_count:     46
    .sgpr_spill_count: 0
    .symbol:         _ZN9rocsparseL41csrgemm_numeric_fill_block_per_row_kernelILj128ELj16ELj256ELj137ELj64Ell21rocsparse_complex_numIdEEEvT5_PKS3_S5_NS_24const_host_device_scalarIT6_EEPKT4_S5_PKS7_SB_S5_SD_S8_SB_S5_SD_SB_S5_PS7_21rocsparse_index_base_SF_SF_SF_bbb.kd
    .uniform_work_group_size: 1
    .uses_dynamic_stack: false
    .vgpr_count:     36
    .vgpr_spill_count: 0
    .wavefront_size: 32
    .workgroup_processor_mode: 1
  - .args:
      - .offset:         0
        .size:           8
        .value_kind:     by_value
      - .actual_access:  read_only
        .address_space:  global
        .offset:         8
        .size:           8
        .value_kind:     global_buffer
      - .actual_access:  read_only
        .address_space:  global
        .offset:         16
        .size:           8
        .value_kind:     global_buffer
      - .offset:         24
        .size:           16
        .value_kind:     by_value
      - .actual_access:  read_only
        .address_space:  global
        .offset:         40
        .size:           8
        .value_kind:     global_buffer
      - .actual_access:  read_only
        .address_space:  global
        .offset:         48
        .size:           8
        .value_kind:     global_buffer
      - .actual_access:  read_only
        .address_space:  global
        .offset:         56
        .size:           8
        .value_kind:     global_buffer
      - .actual_access:  read_only
        .address_space:  global
        .offset:         64
        .size:           8
        .value_kind:     global_buffer
      - .actual_access:  read_only
        .address_space:  global
        .offset:         72
        .size:           8
        .value_kind:     global_buffer
      - .actual_access:  read_only
        .address_space:  global
        .offset:         80
        .size:           8
        .value_kind:     global_buffer
      - .offset:         88
        .size:           16
        .value_kind:     by_value
      - .actual_access:  read_only
        .address_space:  global
        .offset:         104
        .size:           8
        .value_kind:     global_buffer
      - .actual_access:  read_only
        .address_space:  global
        .offset:         112
        .size:           8
        .value_kind:     global_buffer
      - .actual_access:  read_only
        .address_space:  global
        .offset:         120
        .size:           8
        .value_kind:     global_buffer
      - .actual_access:  read_only
        .address_space:  global
        .offset:         128
        .size:           8
        .value_kind:     global_buffer
      - .actual_access:  read_only
        .address_space:  global
        .offset:         136
        .size:           8
        .value_kind:     global_buffer
      - .actual_access:  write_only
        .address_space:  global
        .offset:         144
        .size:           8
        .value_kind:     global_buffer
      - .offset:         152
        .size:           4
        .value_kind:     by_value
      - .offset:         156
        .size:           4
        .value_kind:     by_value
      - .offset:         160
        .size:           4
        .value_kind:     by_value
      - .offset:         164
        .size:           4
        .value_kind:     by_value
      - .offset:         168
        .size:           1
        .value_kind:     by_value
      - .offset:         169
        .size:           1
        .value_kind:     by_value
      - .offset:         170
        .size:           1
        .value_kind:     by_value
    .group_segment_fixed_size: 0
    .kernarg_segment_align: 8
    .kernarg_segment_size: 172
    .language:       OpenCL C
    .language_version:
      - 2
      - 0
    .max_flat_workgroup_size: 256
    .name:           _ZN9rocsparseL41csrgemm_numeric_fill_block_per_row_kernelILj256ELj32ELj512ELj137ELj32Ell21rocsparse_complex_numIdEEEvT5_PKS3_S5_NS_24const_host_device_scalarIT6_EEPKT4_S5_PKS7_SB_S5_SD_S8_SB_S5_SD_SB_S5_PS7_21rocsparse_index_base_SF_SF_SF_bbb
    .private_segment_fixed_size: 40
    .sgpr_count:     46
    .sgpr_spill_count: 0
    .symbol:         _ZN9rocsparseL41csrgemm_numeric_fill_block_per_row_kernelILj256ELj32ELj512ELj137ELj32Ell21rocsparse_complex_numIdEEEvT5_PKS3_S5_NS_24const_host_device_scalarIT6_EEPKT4_S5_PKS7_SB_S5_SD_S8_SB_S5_SD_SB_S5_PS7_21rocsparse_index_base_SF_SF_SF_bbb.kd
    .uniform_work_group_size: 1
    .uses_dynamic_stack: false
    .vgpr_count:     37
    .vgpr_spill_count: 0
    .wavefront_size: 32
    .workgroup_processor_mode: 1
  - .args:
      - .offset:         0
        .size:           8
        .value_kind:     by_value
      - .actual_access:  read_only
        .address_space:  global
        .offset:         8
        .size:           8
        .value_kind:     global_buffer
      - .actual_access:  read_only
        .address_space:  global
        .offset:         16
        .size:           8
        .value_kind:     global_buffer
      - .offset:         24
        .size:           16
        .value_kind:     by_value
      - .actual_access:  read_only
        .address_space:  global
        .offset:         40
        .size:           8
        .value_kind:     global_buffer
      - .actual_access:  read_only
        .address_space:  global
        .offset:         48
        .size:           8
        .value_kind:     global_buffer
      - .actual_access:  read_only
        .address_space:  global
        .offset:         56
        .size:           8
        .value_kind:     global_buffer
      - .actual_access:  read_only
        .address_space:  global
        .offset:         64
        .size:           8
        .value_kind:     global_buffer
      - .actual_access:  read_only
        .address_space:  global
        .offset:         72
        .size:           8
        .value_kind:     global_buffer
      - .actual_access:  read_only
        .address_space:  global
        .offset:         80
        .size:           8
        .value_kind:     global_buffer
      - .offset:         88
        .size:           16
        .value_kind:     by_value
      - .actual_access:  read_only
        .address_space:  global
        .offset:         104
        .size:           8
        .value_kind:     global_buffer
      - .actual_access:  read_only
        .address_space:  global
        .offset:         112
        .size:           8
        .value_kind:     global_buffer
      - .actual_access:  read_only
        .address_space:  global
        .offset:         120
        .size:           8
        .value_kind:     global_buffer
      - .actual_access:  read_only
        .address_space:  global
        .offset:         128
        .size:           8
        .value_kind:     global_buffer
      - .actual_access:  read_only
        .address_space:  global
        .offset:         136
        .size:           8
        .value_kind:     global_buffer
      - .actual_access:  write_only
        .address_space:  global
        .offset:         144
        .size:           8
        .value_kind:     global_buffer
      - .offset:         152
        .size:           4
        .value_kind:     by_value
      - .offset:         156
        .size:           4
        .value_kind:     by_value
      - .offset:         160
        .size:           4
        .value_kind:     by_value
      - .offset:         164
        .size:           4
        .value_kind:     by_value
      - .offset:         168
        .size:           1
        .value_kind:     by_value
      - .offset:         169
        .size:           1
        .value_kind:     by_value
      - .offset:         170
        .size:           1
        .value_kind:     by_value
    .group_segment_fixed_size: 0
    .kernarg_segment_align: 8
    .kernarg_segment_size: 172
    .language:       OpenCL C
    .language_version:
      - 2
      - 0
    .max_flat_workgroup_size: 256
    .name:           _ZN9rocsparseL41csrgemm_numeric_fill_block_per_row_kernelILj256ELj32ELj512ELj137ELj64Ell21rocsparse_complex_numIdEEEvT5_PKS3_S5_NS_24const_host_device_scalarIT6_EEPKT4_S5_PKS7_SB_S5_SD_S8_SB_S5_SD_SB_S5_PS7_21rocsparse_index_base_SF_SF_SF_bbb
    .private_segment_fixed_size: 40
    .sgpr_count:     46
    .sgpr_spill_count: 0
    .symbol:         _ZN9rocsparseL41csrgemm_numeric_fill_block_per_row_kernelILj256ELj32ELj512ELj137ELj64Ell21rocsparse_complex_numIdEEEvT5_PKS3_S5_NS_24const_host_device_scalarIT6_EEPKT4_S5_PKS7_SB_S5_SD_S8_SB_S5_SD_SB_S5_PS7_21rocsparse_index_base_SF_SF_SF_bbb.kd
    .uniform_work_group_size: 1
    .uses_dynamic_stack: false
    .vgpr_count:     36
    .vgpr_spill_count: 0
    .wavefront_size: 32
    .workgroup_processor_mode: 1
  - .args:
      - .offset:         0
        .size:           8
        .value_kind:     by_value
      - .actual_access:  read_only
        .address_space:  global
        .offset:         8
        .size:           8
        .value_kind:     global_buffer
      - .actual_access:  read_only
        .address_space:  global
        .offset:         16
        .size:           8
        .value_kind:     global_buffer
      - .offset:         24
        .size:           16
        .value_kind:     by_value
      - .actual_access:  read_only
        .address_space:  global
        .offset:         40
        .size:           8
        .value_kind:     global_buffer
      - .actual_access:  read_only
        .address_space:  global
        .offset:         48
        .size:           8
        .value_kind:     global_buffer
      - .actual_access:  read_only
        .address_space:  global
        .offset:         56
        .size:           8
        .value_kind:     global_buffer
      - .actual_access:  read_only
        .address_space:  global
        .offset:         64
        .size:           8
        .value_kind:     global_buffer
      - .actual_access:  read_only
        .address_space:  global
        .offset:         72
        .size:           8
        .value_kind:     global_buffer
      - .actual_access:  read_only
        .address_space:  global
        .offset:         80
        .size:           8
        .value_kind:     global_buffer
      - .offset:         88
        .size:           16
        .value_kind:     by_value
      - .actual_access:  read_only
        .address_space:  global
        .offset:         104
        .size:           8
        .value_kind:     global_buffer
      - .actual_access:  read_only
        .address_space:  global
        .offset:         112
        .size:           8
        .value_kind:     global_buffer
      - .actual_access:  read_only
        .address_space:  global
        .offset:         120
        .size:           8
        .value_kind:     global_buffer
      - .actual_access:  read_only
        .address_space:  global
        .offset:         128
        .size:           8
        .value_kind:     global_buffer
      - .actual_access:  read_only
        .address_space:  global
        .offset:         136
        .size:           8
        .value_kind:     global_buffer
      - .actual_access:  write_only
        .address_space:  global
        .offset:         144
        .size:           8
        .value_kind:     global_buffer
      - .offset:         152
        .size:           4
        .value_kind:     by_value
      - .offset:         156
        .size:           4
        .value_kind:     by_value
      - .offset:         160
        .size:           4
        .value_kind:     by_value
      - .offset:         164
        .size:           4
        .value_kind:     by_value
      - .offset:         168
        .size:           1
        .value_kind:     by_value
      - .offset:         169
        .size:           1
        .value_kind:     by_value
      - .offset:         170
        .size:           1
        .value_kind:     by_value
    .group_segment_fixed_size: 0
    .kernarg_segment_align: 8
    .kernarg_segment_size: 172
    .language:       OpenCL C
    .language_version:
      - 2
      - 0
    .max_flat_workgroup_size: 512
    .name:           _ZN9rocsparseL41csrgemm_numeric_fill_block_per_row_kernelILj512ELj32ELj1024ELj137ELj32Ell21rocsparse_complex_numIdEEEvT5_PKS3_S5_NS_24const_host_device_scalarIT6_EEPKT4_S5_PKS7_SB_S5_SD_S8_SB_S5_SD_SB_S5_PS7_21rocsparse_index_base_SF_SF_SF_bbb
    .private_segment_fixed_size: 40
    .sgpr_count:     46
    .sgpr_spill_count: 0
    .symbol:         _ZN9rocsparseL41csrgemm_numeric_fill_block_per_row_kernelILj512ELj32ELj1024ELj137ELj32Ell21rocsparse_complex_numIdEEEvT5_PKS3_S5_NS_24const_host_device_scalarIT6_EEPKT4_S5_PKS7_SB_S5_SD_S8_SB_S5_SD_SB_S5_PS7_21rocsparse_index_base_SF_SF_SF_bbb.kd
    .uniform_work_group_size: 1
    .uses_dynamic_stack: false
    .vgpr_count:     37
    .vgpr_spill_count: 0
    .wavefront_size: 32
    .workgroup_processor_mode: 1
  - .args:
      - .offset:         0
        .size:           8
        .value_kind:     by_value
      - .actual_access:  read_only
        .address_space:  global
        .offset:         8
        .size:           8
        .value_kind:     global_buffer
      - .actual_access:  read_only
        .address_space:  global
        .offset:         16
        .size:           8
        .value_kind:     global_buffer
      - .offset:         24
        .size:           16
        .value_kind:     by_value
      - .actual_access:  read_only
        .address_space:  global
        .offset:         40
        .size:           8
        .value_kind:     global_buffer
      - .actual_access:  read_only
        .address_space:  global
        .offset:         48
        .size:           8
        .value_kind:     global_buffer
      - .actual_access:  read_only
        .address_space:  global
        .offset:         56
        .size:           8
        .value_kind:     global_buffer
      - .actual_access:  read_only
        .address_space:  global
        .offset:         64
        .size:           8
        .value_kind:     global_buffer
      - .actual_access:  read_only
        .address_space:  global
        .offset:         72
        .size:           8
        .value_kind:     global_buffer
      - .actual_access:  read_only
        .address_space:  global
        .offset:         80
        .size:           8
        .value_kind:     global_buffer
      - .offset:         88
        .size:           16
        .value_kind:     by_value
      - .actual_access:  read_only
        .address_space:  global
        .offset:         104
        .size:           8
        .value_kind:     global_buffer
      - .actual_access:  read_only
        .address_space:  global
        .offset:         112
        .size:           8
        .value_kind:     global_buffer
      - .actual_access:  read_only
        .address_space:  global
        .offset:         120
        .size:           8
        .value_kind:     global_buffer
      - .actual_access:  read_only
        .address_space:  global
        .offset:         128
        .size:           8
        .value_kind:     global_buffer
      - .actual_access:  read_only
        .address_space:  global
        .offset:         136
        .size:           8
        .value_kind:     global_buffer
      - .actual_access:  write_only
        .address_space:  global
        .offset:         144
        .size:           8
        .value_kind:     global_buffer
      - .offset:         152
        .size:           4
        .value_kind:     by_value
      - .offset:         156
        .size:           4
        .value_kind:     by_value
      - .offset:         160
        .size:           4
        .value_kind:     by_value
      - .offset:         164
        .size:           4
        .value_kind:     by_value
      - .offset:         168
        .size:           1
        .value_kind:     by_value
      - .offset:         169
        .size:           1
        .value_kind:     by_value
      - .offset:         170
        .size:           1
        .value_kind:     by_value
    .group_segment_fixed_size: 0
    .kernarg_segment_align: 8
    .kernarg_segment_size: 172
    .language:       OpenCL C
    .language_version:
      - 2
      - 0
    .max_flat_workgroup_size: 512
    .name:           _ZN9rocsparseL41csrgemm_numeric_fill_block_per_row_kernelILj512ELj32ELj1024ELj137ELj64Ell21rocsparse_complex_numIdEEEvT5_PKS3_S5_NS_24const_host_device_scalarIT6_EEPKT4_S5_PKS7_SB_S5_SD_S8_SB_S5_SD_SB_S5_PS7_21rocsparse_index_base_SF_SF_SF_bbb
    .private_segment_fixed_size: 40
    .sgpr_count:     46
    .sgpr_spill_count: 0
    .symbol:         _ZN9rocsparseL41csrgemm_numeric_fill_block_per_row_kernelILj512ELj32ELj1024ELj137ELj64Ell21rocsparse_complex_numIdEEEvT5_PKS3_S5_NS_24const_host_device_scalarIT6_EEPKT4_S5_PKS7_SB_S5_SD_S8_SB_S5_SD_SB_S5_PS7_21rocsparse_index_base_SF_SF_SF_bbb.kd
    .uniform_work_group_size: 1
    .uses_dynamic_stack: false
    .vgpr_count:     36
    .vgpr_spill_count: 0
    .wavefront_size: 32
    .workgroup_processor_mode: 1
  - .args:
      - .offset:         0
        .size:           8
        .value_kind:     by_value
      - .actual_access:  read_only
        .address_space:  global
        .offset:         8
        .size:           8
        .value_kind:     global_buffer
      - .actual_access:  read_only
        .address_space:  global
        .offset:         16
        .size:           8
        .value_kind:     global_buffer
      - .offset:         24
        .size:           16
        .value_kind:     by_value
      - .actual_access:  read_only
        .address_space:  global
        .offset:         40
        .size:           8
        .value_kind:     global_buffer
      - .actual_access:  read_only
        .address_space:  global
        .offset:         48
        .size:           8
        .value_kind:     global_buffer
      - .actual_access:  read_only
        .address_space:  global
        .offset:         56
        .size:           8
        .value_kind:     global_buffer
      - .actual_access:  read_only
        .address_space:  global
        .offset:         64
        .size:           8
        .value_kind:     global_buffer
      - .actual_access:  read_only
        .address_space:  global
        .offset:         72
        .size:           8
        .value_kind:     global_buffer
      - .actual_access:  read_only
        .address_space:  global
        .offset:         80
        .size:           8
        .value_kind:     global_buffer
      - .offset:         88
        .size:           16
        .value_kind:     by_value
      - .actual_access:  read_only
        .address_space:  global
        .offset:         104
        .size:           8
        .value_kind:     global_buffer
      - .actual_access:  read_only
        .address_space:  global
        .offset:         112
        .size:           8
        .value_kind:     global_buffer
      - .actual_access:  read_only
        .address_space:  global
        .offset:         120
        .size:           8
        .value_kind:     global_buffer
      - .actual_access:  read_only
        .address_space:  global
        .offset:         128
        .size:           8
        .value_kind:     global_buffer
      - .actual_access:  read_only
        .address_space:  global
        .offset:         136
        .size:           8
        .value_kind:     global_buffer
      - .actual_access:  write_only
        .address_space:  global
        .offset:         144
        .size:           8
        .value_kind:     global_buffer
      - .offset:         152
        .size:           4
        .value_kind:     by_value
      - .offset:         156
        .size:           4
        .value_kind:     by_value
      - .offset:         160
        .size:           4
        .value_kind:     by_value
      - .offset:         164
        .size:           4
        .value_kind:     by_value
      - .offset:         168
        .size:           1
        .value_kind:     by_value
      - .offset:         169
        .size:           1
        .value_kind:     by_value
      - .offset:         170
        .size:           1
        .value_kind:     by_value
    .group_segment_fixed_size: 0
    .kernarg_segment_align: 8
    .kernarg_segment_size: 172
    .language:       OpenCL C
    .language_version:
      - 2
      - 0
    .max_flat_workgroup_size: 1024
    .name:           _ZN9rocsparseL41csrgemm_numeric_fill_block_per_row_kernelILj1024ELj32ELj2048ELj137ELj32Ell21rocsparse_complex_numIdEEEvT5_PKS3_S5_NS_24const_host_device_scalarIT6_EEPKT4_S5_PKS7_SB_S5_SD_S8_SB_S5_SD_SB_S5_PS7_21rocsparse_index_base_SF_SF_SF_bbb
    .private_segment_fixed_size: 40
    .sgpr_count:     54
    .sgpr_spill_count: 0
    .symbol:         _ZN9rocsparseL41csrgemm_numeric_fill_block_per_row_kernelILj1024ELj32ELj2048ELj137ELj32Ell21rocsparse_complex_numIdEEEvT5_PKS3_S5_NS_24const_host_device_scalarIT6_EEPKT4_S5_PKS7_SB_S5_SD_S8_SB_S5_SD_SB_S5_PS7_21rocsparse_index_base_SF_SF_SF_bbb.kd
    .uniform_work_group_size: 1
    .uses_dynamic_stack: false
    .vgpr_count:     37
    .vgpr_spill_count: 0
    .wavefront_size: 32
    .workgroup_processor_mode: 1
  - .args:
      - .offset:         0
        .size:           8
        .value_kind:     by_value
      - .actual_access:  read_only
        .address_space:  global
        .offset:         8
        .size:           8
        .value_kind:     global_buffer
      - .actual_access:  read_only
        .address_space:  global
        .offset:         16
        .size:           8
        .value_kind:     global_buffer
      - .offset:         24
        .size:           16
        .value_kind:     by_value
      - .actual_access:  read_only
        .address_space:  global
        .offset:         40
        .size:           8
        .value_kind:     global_buffer
      - .actual_access:  read_only
        .address_space:  global
        .offset:         48
        .size:           8
        .value_kind:     global_buffer
      - .actual_access:  read_only
        .address_space:  global
        .offset:         56
        .size:           8
        .value_kind:     global_buffer
      - .actual_access:  read_only
        .address_space:  global
        .offset:         64
        .size:           8
        .value_kind:     global_buffer
      - .actual_access:  read_only
        .address_space:  global
        .offset:         72
        .size:           8
        .value_kind:     global_buffer
      - .actual_access:  read_only
        .address_space:  global
        .offset:         80
        .size:           8
        .value_kind:     global_buffer
      - .offset:         88
        .size:           16
        .value_kind:     by_value
      - .actual_access:  read_only
        .address_space:  global
        .offset:         104
        .size:           8
        .value_kind:     global_buffer
      - .actual_access:  read_only
        .address_space:  global
        .offset:         112
        .size:           8
        .value_kind:     global_buffer
      - .actual_access:  read_only
        .address_space:  global
        .offset:         120
        .size:           8
        .value_kind:     global_buffer
      - .actual_access:  read_only
        .address_space:  global
        .offset:         128
        .size:           8
        .value_kind:     global_buffer
      - .actual_access:  read_only
        .address_space:  global
        .offset:         136
        .size:           8
        .value_kind:     global_buffer
      - .actual_access:  write_only
        .address_space:  global
        .offset:         144
        .size:           8
        .value_kind:     global_buffer
      - .offset:         152
        .size:           4
        .value_kind:     by_value
      - .offset:         156
        .size:           4
        .value_kind:     by_value
      - .offset:         160
        .size:           4
        .value_kind:     by_value
      - .offset:         164
        .size:           4
        .value_kind:     by_value
      - .offset:         168
        .size:           1
        .value_kind:     by_value
      - .offset:         169
        .size:           1
        .value_kind:     by_value
      - .offset:         170
        .size:           1
        .value_kind:     by_value
    .group_segment_fixed_size: 0
    .kernarg_segment_align: 8
    .kernarg_segment_size: 172
    .language:       OpenCL C
    .language_version:
      - 2
      - 0
    .max_flat_workgroup_size: 1024
    .name:           _ZN9rocsparseL41csrgemm_numeric_fill_block_per_row_kernelILj1024ELj32ELj2048ELj137ELj64Ell21rocsparse_complex_numIdEEEvT5_PKS3_S5_NS_24const_host_device_scalarIT6_EEPKT4_S5_PKS7_SB_S5_SD_S8_SB_S5_SD_SB_S5_PS7_21rocsparse_index_base_SF_SF_SF_bbb
    .private_segment_fixed_size: 40
    .sgpr_count:     46
    .sgpr_spill_count: 0
    .symbol:         _ZN9rocsparseL41csrgemm_numeric_fill_block_per_row_kernelILj1024ELj32ELj2048ELj137ELj64Ell21rocsparse_complex_numIdEEEvT5_PKS3_S5_NS_24const_host_device_scalarIT6_EEPKT4_S5_PKS7_SB_S5_SD_S8_SB_S5_SD_SB_S5_PS7_21rocsparse_index_base_SF_SF_SF_bbb.kd
    .uniform_work_group_size: 1
    .uses_dynamic_stack: false
    .vgpr_count:     36
    .vgpr_spill_count: 0
    .wavefront_size: 32
    .workgroup_processor_mode: 1
  - .args:
      - .offset:         0
        .size:           8
        .value_kind:     by_value
      - .actual_access:  read_only
        .address_space:  global
        .offset:         8
        .size:           8
        .value_kind:     global_buffer
      - .actual_access:  read_only
        .address_space:  global
        .offset:         16
        .size:           8
        .value_kind:     global_buffer
      - .offset:         24
        .size:           16
        .value_kind:     by_value
      - .actual_access:  read_only
        .address_space:  global
        .offset:         40
        .size:           8
        .value_kind:     global_buffer
      - .actual_access:  read_only
        .address_space:  global
        .offset:         48
        .size:           8
        .value_kind:     global_buffer
      - .actual_access:  read_only
        .address_space:  global
        .offset:         56
        .size:           8
        .value_kind:     global_buffer
      - .actual_access:  read_only
        .address_space:  global
        .offset:         64
        .size:           8
        .value_kind:     global_buffer
      - .actual_access:  read_only
        .address_space:  global
        .offset:         72
        .size:           8
        .value_kind:     global_buffer
      - .actual_access:  read_only
        .address_space:  global
        .offset:         80
        .size:           8
        .value_kind:     global_buffer
      - .offset:         88
        .size:           16
        .value_kind:     by_value
      - .actual_access:  read_only
        .address_space:  global
        .offset:         104
        .size:           8
        .value_kind:     global_buffer
      - .actual_access:  read_only
        .address_space:  global
        .offset:         112
        .size:           8
        .value_kind:     global_buffer
      - .actual_access:  read_only
        .address_space:  global
        .offset:         120
        .size:           8
        .value_kind:     global_buffer
      - .actual_access:  read_only
        .address_space:  global
        .offset:         128
        .size:           8
        .value_kind:     global_buffer
      - .actual_access:  read_only
        .address_space:  global
        .offset:         136
        .size:           8
        .value_kind:     global_buffer
      - .actual_access:  write_only
        .address_space:  global
        .offset:         144
        .size:           8
        .value_kind:     global_buffer
      - .offset:         152
        .size:           4
        .value_kind:     by_value
      - .offset:         156
        .size:           4
        .value_kind:     by_value
      - .offset:         160
        .size:           4
        .value_kind:     by_value
      - .offset:         164
        .size:           4
        .value_kind:     by_value
      - .offset:         168
        .size:           1
        .value_kind:     by_value
      - .offset:         169
        .size:           1
        .value_kind:     by_value
      - .offset:         170
        .size:           1
        .value_kind:     by_value
    .group_segment_fixed_size: 0
    .kernarg_segment_align: 8
    .kernarg_segment_size: 172
    .language:       OpenCL C
    .language_version:
      - 2
      - 0
    .max_flat_workgroup_size: 1024
    .name:           _ZN9rocsparseL41csrgemm_numeric_fill_block_per_row_kernelILj1024ELj64ELj4096ELj137ELj32Ell21rocsparse_complex_numIdEEEvT5_PKS3_S5_NS_24const_host_device_scalarIT6_EEPKT4_S5_PKS7_SB_S5_SD_S8_SB_S5_SD_SB_S5_PS7_21rocsparse_index_base_SF_SF_SF_bbb
    .private_segment_fixed_size: 40
    .sgpr_count:     78
    .sgpr_spill_count: 0
    .symbol:         _ZN9rocsparseL41csrgemm_numeric_fill_block_per_row_kernelILj1024ELj64ELj4096ELj137ELj32Ell21rocsparse_complex_numIdEEEvT5_PKS3_S5_NS_24const_host_device_scalarIT6_EEPKT4_S5_PKS7_SB_S5_SD_S8_SB_S5_SD_SB_S5_PS7_21rocsparse_index_base_SF_SF_SF_bbb.kd
    .uniform_work_group_size: 1
    .uses_dynamic_stack: false
    .vgpr_count:     36
    .vgpr_spill_count: 0
    .wavefront_size: 32
    .workgroup_processor_mode: 1
  - .args:
      - .offset:         0
        .size:           8
        .value_kind:     by_value
      - .actual_access:  read_only
        .address_space:  global
        .offset:         8
        .size:           8
        .value_kind:     global_buffer
      - .actual_access:  read_only
        .address_space:  global
        .offset:         16
        .size:           8
        .value_kind:     global_buffer
      - .offset:         24
        .size:           16
        .value_kind:     by_value
      - .actual_access:  read_only
        .address_space:  global
        .offset:         40
        .size:           8
        .value_kind:     global_buffer
      - .actual_access:  read_only
        .address_space:  global
        .offset:         48
        .size:           8
        .value_kind:     global_buffer
      - .actual_access:  read_only
        .address_space:  global
        .offset:         56
        .size:           8
        .value_kind:     global_buffer
      - .actual_access:  read_only
        .address_space:  global
        .offset:         64
        .size:           8
        .value_kind:     global_buffer
      - .actual_access:  read_only
        .address_space:  global
        .offset:         72
        .size:           8
        .value_kind:     global_buffer
      - .actual_access:  read_only
        .address_space:  global
        .offset:         80
        .size:           8
        .value_kind:     global_buffer
      - .offset:         88
        .size:           16
        .value_kind:     by_value
      - .actual_access:  read_only
        .address_space:  global
        .offset:         104
        .size:           8
        .value_kind:     global_buffer
      - .actual_access:  read_only
        .address_space:  global
        .offset:         112
        .size:           8
        .value_kind:     global_buffer
      - .actual_access:  read_only
        .address_space:  global
        .offset:         120
        .size:           8
        .value_kind:     global_buffer
      - .actual_access:  read_only
        .address_space:  global
        .offset:         128
        .size:           8
        .value_kind:     global_buffer
      - .actual_access:  read_only
        .address_space:  global
        .offset:         136
        .size:           8
        .value_kind:     global_buffer
      - .actual_access:  write_only
        .address_space:  global
        .offset:         144
        .size:           8
        .value_kind:     global_buffer
      - .offset:         152
        .size:           4
        .value_kind:     by_value
      - .offset:         156
        .size:           4
        .value_kind:     by_value
      - .offset:         160
        .size:           4
        .value_kind:     by_value
      - .offset:         164
        .size:           4
        .value_kind:     by_value
      - .offset:         168
        .size:           1
        .value_kind:     by_value
      - .offset:         169
        .size:           1
        .value_kind:     by_value
      - .offset:         170
        .size:           1
        .value_kind:     by_value
    .group_segment_fixed_size: 0
    .kernarg_segment_align: 8
    .kernarg_segment_size: 172
    .language:       OpenCL C
    .language_version:
      - 2
      - 0
    .max_flat_workgroup_size: 1024
    .name:           _ZN9rocsparseL41csrgemm_numeric_fill_block_per_row_kernelILj1024ELj64ELj4096ELj137ELj64Ell21rocsparse_complex_numIdEEEvT5_PKS3_S5_NS_24const_host_device_scalarIT6_EEPKT4_S5_PKS7_SB_S5_SD_S8_SB_S5_SD_SB_S5_PS7_21rocsparse_index_base_SF_SF_SF_bbb
    .private_segment_fixed_size: 40
    .sgpr_count:     46
    .sgpr_spill_count: 0
    .symbol:         _ZN9rocsparseL41csrgemm_numeric_fill_block_per_row_kernelILj1024ELj64ELj4096ELj137ELj64Ell21rocsparse_complex_numIdEEEvT5_PKS3_S5_NS_24const_host_device_scalarIT6_EEPKT4_S5_PKS7_SB_S5_SD_S8_SB_S5_SD_SB_S5_PS7_21rocsparse_index_base_SF_SF_SF_bbb.kd
    .uniform_work_group_size: 1
    .uses_dynamic_stack: false
    .vgpr_count:     37
    .vgpr_spill_count: 0
    .wavefront_size: 32
    .workgroup_processor_mode: 1
  - .args:
      - .offset:         0
        .size:           8
        .value_kind:     by_value
      - .actual_access:  read_only
        .address_space:  global
        .offset:         8
        .size:           8
        .value_kind:     global_buffer
      - .actual_access:  read_only
        .address_space:  global
        .offset:         16
        .size:           8
        .value_kind:     global_buffer
      - .offset:         24
        .size:           16
        .value_kind:     by_value
      - .actual_access:  read_only
        .address_space:  global
        .offset:         40
        .size:           8
        .value_kind:     global_buffer
      - .actual_access:  read_only
        .address_space:  global
        .offset:         48
        .size:           8
        .value_kind:     global_buffer
      - .actual_access:  read_only
        .address_space:  global
        .offset:         56
        .size:           8
        .value_kind:     global_buffer
      - .actual_access:  read_only
        .address_space:  global
        .offset:         64
        .size:           8
        .value_kind:     global_buffer
      - .actual_access:  read_only
        .address_space:  global
        .offset:         72
        .size:           8
        .value_kind:     global_buffer
      - .actual_access:  read_only
        .address_space:  global
        .offset:         80
        .size:           8
        .value_kind:     global_buffer
      - .offset:         88
        .size:           16
        .value_kind:     by_value
      - .actual_access:  read_only
        .address_space:  global
        .offset:         104
        .size:           8
        .value_kind:     global_buffer
      - .actual_access:  read_only
        .address_space:  global
        .offset:         112
        .size:           8
        .value_kind:     global_buffer
      - .actual_access:  read_only
        .address_space:  global
        .offset:         120
        .size:           8
        .value_kind:     global_buffer
      - .actual_access:  read_only
        .address_space:  global
        .offset:         128
        .size:           8
        .value_kind:     global_buffer
      - .actual_access:  read_only
        .address_space:  global
        .offset:         136
        .size:           8
        .value_kind:     global_buffer
      - .actual_access:  write_only
        .address_space:  global
        .offset:         144
        .size:           8
        .value_kind:     global_buffer
      - .offset:         152
        .size:           4
        .value_kind:     by_value
      - .offset:         156
        .size:           4
        .value_kind:     by_value
      - .offset:         160
        .size:           4
        .value_kind:     by_value
      - .offset:         164
        .size:           4
        .value_kind:     by_value
      - .offset:         168
        .size:           1
        .value_kind:     by_value
      - .offset:         169
        .size:           1
        .value_kind:     by_value
      - .offset:         170
        .size:           1
        .value_kind:     by_value
    .group_segment_fixed_size: 0
    .kernarg_segment_align: 8
    .kernarg_segment_size: 172
    .language:       OpenCL C
    .language_version:
      - 2
      - 0
    .max_flat_workgroup_size: 1024
    .name:           _ZN9rocsparseL41csrgemm_numeric_fill_block_per_row_kernelILj1024ELj64ELj8192ELj137ELj32Ell21rocsparse_complex_numIdEEEvT5_PKS3_S5_NS_24const_host_device_scalarIT6_EEPKT4_S5_PKS7_SB_S5_SD_S8_SB_S5_SD_SB_S5_PS7_21rocsparse_index_base_SF_SF_SF_bbb
    .private_segment_fixed_size: 40
    .sgpr_count:     78
    .sgpr_spill_count: 0
    .symbol:         _ZN9rocsparseL41csrgemm_numeric_fill_block_per_row_kernelILj1024ELj64ELj8192ELj137ELj32Ell21rocsparse_complex_numIdEEEvT5_PKS3_S5_NS_24const_host_device_scalarIT6_EEPKT4_S5_PKS7_SB_S5_SD_S8_SB_S5_SD_SB_S5_PS7_21rocsparse_index_base_SF_SF_SF_bbb.kd
    .uniform_work_group_size: 1
    .uses_dynamic_stack: false
    .vgpr_count:     34
    .vgpr_spill_count: 0
    .wavefront_size: 32
    .workgroup_processor_mode: 1
  - .args:
      - .offset:         0
        .size:           8
        .value_kind:     by_value
      - .actual_access:  read_only
        .address_space:  global
        .offset:         8
        .size:           8
        .value_kind:     global_buffer
      - .actual_access:  read_only
        .address_space:  global
        .offset:         16
        .size:           8
        .value_kind:     global_buffer
      - .offset:         24
        .size:           16
        .value_kind:     by_value
      - .actual_access:  read_only
        .address_space:  global
        .offset:         40
        .size:           8
        .value_kind:     global_buffer
      - .actual_access:  read_only
        .address_space:  global
        .offset:         48
        .size:           8
        .value_kind:     global_buffer
      - .actual_access:  read_only
        .address_space:  global
        .offset:         56
        .size:           8
        .value_kind:     global_buffer
      - .actual_access:  read_only
        .address_space:  global
        .offset:         64
        .size:           8
        .value_kind:     global_buffer
      - .actual_access:  read_only
        .address_space:  global
        .offset:         72
        .size:           8
        .value_kind:     global_buffer
      - .actual_access:  read_only
        .address_space:  global
        .offset:         80
        .size:           8
        .value_kind:     global_buffer
      - .offset:         88
        .size:           16
        .value_kind:     by_value
      - .actual_access:  read_only
        .address_space:  global
        .offset:         104
        .size:           8
        .value_kind:     global_buffer
      - .actual_access:  read_only
        .address_space:  global
        .offset:         112
        .size:           8
        .value_kind:     global_buffer
      - .actual_access:  read_only
        .address_space:  global
        .offset:         120
        .size:           8
        .value_kind:     global_buffer
      - .actual_access:  read_only
        .address_space:  global
        .offset:         128
        .size:           8
        .value_kind:     global_buffer
      - .actual_access:  read_only
        .address_space:  global
        .offset:         136
        .size:           8
        .value_kind:     global_buffer
      - .actual_access:  write_only
        .address_space:  global
        .offset:         144
        .size:           8
        .value_kind:     global_buffer
      - .offset:         152
        .size:           4
        .value_kind:     by_value
      - .offset:         156
        .size:           4
        .value_kind:     by_value
      - .offset:         160
        .size:           4
        .value_kind:     by_value
      - .offset:         164
        .size:           4
        .value_kind:     by_value
      - .offset:         168
        .size:           1
        .value_kind:     by_value
      - .offset:         169
        .size:           1
        .value_kind:     by_value
      - .offset:         170
        .size:           1
        .value_kind:     by_value
    .group_segment_fixed_size: 0
    .kernarg_segment_align: 8
    .kernarg_segment_size: 172
    .language:       OpenCL C
    .language_version:
      - 2
      - 0
    .max_flat_workgroup_size: 1024
    .name:           _ZN9rocsparseL41csrgemm_numeric_fill_block_per_row_kernelILj1024ELj64ELj8192ELj137ELj64Ell21rocsparse_complex_numIdEEEvT5_PKS3_S5_NS_24const_host_device_scalarIT6_EEPKT4_S5_PKS7_SB_S5_SD_S8_SB_S5_SD_SB_S5_PS7_21rocsparse_index_base_SF_SF_SF_bbb
    .private_segment_fixed_size: 40
    .sgpr_count:     46
    .sgpr_spill_count: 0
    .symbol:         _ZN9rocsparseL41csrgemm_numeric_fill_block_per_row_kernelILj1024ELj64ELj8192ELj137ELj64Ell21rocsparse_complex_numIdEEEvT5_PKS3_S5_NS_24const_host_device_scalarIT6_EEPKT4_S5_PKS7_SB_S5_SD_S8_SB_S5_SD_SB_S5_PS7_21rocsparse_index_base_SF_SF_SF_bbb.kd
    .uniform_work_group_size: 1
    .uses_dynamic_stack: false
    .vgpr_count:     35
    .vgpr_spill_count: 0
    .wavefront_size: 32
    .workgroup_processor_mode: 1
  - .args:
      - .offset:         0
        .size:           8
        .value_kind:     by_value
      - .actual_access:  read_only
        .address_space:  global
        .offset:         8
        .size:           8
        .value_kind:     global_buffer
      - .actual_access:  read_only
        .address_space:  global
        .offset:         16
        .size:           8
        .value_kind:     global_buffer
      - .offset:         24
        .size:           16
        .value_kind:     by_value
      - .actual_access:  read_only
        .address_space:  global
        .offset:         40
        .size:           8
        .value_kind:     global_buffer
      - .actual_access:  read_only
        .address_space:  global
        .offset:         48
        .size:           8
        .value_kind:     global_buffer
      - .actual_access:  read_only
        .address_space:  global
        .offset:         56
        .size:           8
        .value_kind:     global_buffer
      - .actual_access:  read_only
        .address_space:  global
        .offset:         64
        .size:           8
        .value_kind:     global_buffer
      - .actual_access:  read_only
        .address_space:  global
        .offset:         72
        .size:           8
        .value_kind:     global_buffer
      - .actual_access:  read_only
        .address_space:  global
        .offset:         80
        .size:           8
        .value_kind:     global_buffer
      - .offset:         88
        .size:           16
        .value_kind:     by_value
      - .actual_access:  read_only
        .address_space:  global
        .offset:         104
        .size:           8
        .value_kind:     global_buffer
      - .actual_access:  read_only
        .address_space:  global
        .offset:         112
        .size:           8
        .value_kind:     global_buffer
      - .actual_access:  read_only
        .address_space:  global
        .offset:         120
        .size:           8
        .value_kind:     global_buffer
      - .actual_access:  read_only
        .address_space:  global
        .offset:         128
        .size:           8
        .value_kind:     global_buffer
      - .actual_access:  read_only
        .address_space:  global
        .offset:         136
        .size:           8
        .value_kind:     global_buffer
      - .actual_access:  write_only
        .address_space:  global
        .offset:         144
        .size:           8
        .value_kind:     global_buffer
      - .offset:         152
        .size:           4
        .value_kind:     by_value
      - .offset:         156
        .size:           4
        .value_kind:     by_value
      - .offset:         160
        .size:           4
        .value_kind:     by_value
      - .offset:         164
        .size:           4
        .value_kind:     by_value
      - .offset:         168
        .size:           1
        .value_kind:     by_value
      - .offset:         169
        .size:           1
        .value_kind:     by_value
      - .offset:         170
        .size:           1
        .value_kind:     by_value
    .group_segment_fixed_size: 0
    .kernarg_segment_align: 8
    .kernarg_segment_size: 172
    .language:       OpenCL C
    .language_version:
      - 2
      - 0
    .max_flat_workgroup_size: 1024
    .name:           _ZN9rocsparseL41csrgemm_numeric_fill_block_per_row_kernelILj1024ELj64ELj16384ELj137ELj32Ell21rocsparse_complex_numIdEEEvT5_PKS3_S5_NS_24const_host_device_scalarIT6_EEPKT4_S5_PKS7_SB_S5_SD_S8_SB_S5_SD_SB_S5_PS7_21rocsparse_index_base_SF_SF_SF_bbb
    .private_segment_fixed_size: 40
    .sgpr_count:     78
    .sgpr_spill_count: 0
    .symbol:         _ZN9rocsparseL41csrgemm_numeric_fill_block_per_row_kernelILj1024ELj64ELj16384ELj137ELj32Ell21rocsparse_complex_numIdEEEvT5_PKS3_S5_NS_24const_host_device_scalarIT6_EEPKT4_S5_PKS7_SB_S5_SD_S8_SB_S5_SD_SB_S5_PS7_21rocsparse_index_base_SF_SF_SF_bbb.kd
    .uniform_work_group_size: 1
    .uses_dynamic_stack: false
    .vgpr_count:     36
    .vgpr_spill_count: 0
    .wavefront_size: 32
    .workgroup_processor_mode: 1
  - .args:
      - .offset:         0
        .size:           8
        .value_kind:     by_value
      - .actual_access:  read_only
        .address_space:  global
        .offset:         8
        .size:           8
        .value_kind:     global_buffer
      - .actual_access:  read_only
        .address_space:  global
        .offset:         16
        .size:           8
        .value_kind:     global_buffer
      - .offset:         24
        .size:           16
        .value_kind:     by_value
      - .actual_access:  read_only
        .address_space:  global
        .offset:         40
        .size:           8
        .value_kind:     global_buffer
      - .actual_access:  read_only
        .address_space:  global
        .offset:         48
        .size:           8
        .value_kind:     global_buffer
      - .actual_access:  read_only
        .address_space:  global
        .offset:         56
        .size:           8
        .value_kind:     global_buffer
      - .actual_access:  read_only
        .address_space:  global
        .offset:         64
        .size:           8
        .value_kind:     global_buffer
      - .actual_access:  read_only
        .address_space:  global
        .offset:         72
        .size:           8
        .value_kind:     global_buffer
      - .actual_access:  read_only
        .address_space:  global
        .offset:         80
        .size:           8
        .value_kind:     global_buffer
      - .offset:         88
        .size:           16
        .value_kind:     by_value
      - .actual_access:  read_only
        .address_space:  global
        .offset:         104
        .size:           8
        .value_kind:     global_buffer
      - .actual_access:  read_only
        .address_space:  global
        .offset:         112
        .size:           8
        .value_kind:     global_buffer
      - .actual_access:  read_only
        .address_space:  global
        .offset:         120
        .size:           8
        .value_kind:     global_buffer
      - .actual_access:  read_only
        .address_space:  global
        .offset:         128
        .size:           8
        .value_kind:     global_buffer
      - .actual_access:  read_only
        .address_space:  global
        .offset:         136
        .size:           8
        .value_kind:     global_buffer
      - .actual_access:  write_only
        .address_space:  global
        .offset:         144
        .size:           8
        .value_kind:     global_buffer
      - .offset:         152
        .size:           4
        .value_kind:     by_value
      - .offset:         156
        .size:           4
        .value_kind:     by_value
      - .offset:         160
        .size:           4
        .value_kind:     by_value
      - .offset:         164
        .size:           4
        .value_kind:     by_value
      - .offset:         168
        .size:           1
        .value_kind:     by_value
      - .offset:         169
        .size:           1
        .value_kind:     by_value
      - .offset:         170
        .size:           1
        .value_kind:     by_value
    .group_segment_fixed_size: 0
    .kernarg_segment_align: 8
    .kernarg_segment_size: 172
    .language:       OpenCL C
    .language_version:
      - 2
      - 0
    .max_flat_workgroup_size: 1024
    .name:           _ZN9rocsparseL41csrgemm_numeric_fill_block_per_row_kernelILj1024ELj64ELj16384ELj137ELj64Ell21rocsparse_complex_numIdEEEvT5_PKS3_S5_NS_24const_host_device_scalarIT6_EEPKT4_S5_PKS7_SB_S5_SD_S8_SB_S5_SD_SB_S5_PS7_21rocsparse_index_base_SF_SF_SF_bbb
    .private_segment_fixed_size: 40
    .sgpr_count:     46
    .sgpr_spill_count: 0
    .symbol:         _ZN9rocsparseL41csrgemm_numeric_fill_block_per_row_kernelILj1024ELj64ELj16384ELj137ELj64Ell21rocsparse_complex_numIdEEEvT5_PKS3_S5_NS_24const_host_device_scalarIT6_EEPKT4_S5_PKS7_SB_S5_SD_S8_SB_S5_SD_SB_S5_PS7_21rocsparse_index_base_SF_SF_SF_bbb.kd
    .uniform_work_group_size: 1
    .uses_dynamic_stack: false
    .vgpr_count:     37
    .vgpr_spill_count: 0
    .wavefront_size: 32
    .workgroup_processor_mode: 1
  - .args:
      - .offset:         0
        .size:           8
        .value_kind:     by_value
      - .actual_access:  read_only
        .address_space:  global
        .offset:         8
        .size:           8
        .value_kind:     global_buffer
      - .actual_access:  read_only
        .address_space:  global
        .offset:         16
        .size:           8
        .value_kind:     global_buffer
      - .offset:         24
        .size:           16
        .value_kind:     by_value
      - .actual_access:  read_only
        .address_space:  global
        .offset:         40
        .size:           8
        .value_kind:     global_buffer
      - .actual_access:  read_only
        .address_space:  global
        .offset:         48
        .size:           8
        .value_kind:     global_buffer
      - .actual_access:  read_only
        .address_space:  global
        .offset:         56
        .size:           8
        .value_kind:     global_buffer
      - .actual_access:  read_only
        .address_space:  global
        .offset:         64
        .size:           8
        .value_kind:     global_buffer
      - .actual_access:  read_only
        .address_space:  global
        .offset:         72
        .size:           8
        .value_kind:     global_buffer
      - .actual_access:  read_only
        .address_space:  global
        .offset:         80
        .size:           8
        .value_kind:     global_buffer
      - .offset:         88
        .size:           16
        .value_kind:     by_value
      - .actual_access:  read_only
        .address_space:  global
        .offset:         104
        .size:           8
        .value_kind:     global_buffer
      - .actual_access:  read_only
        .address_space:  global
        .offset:         112
        .size:           8
        .value_kind:     global_buffer
      - .actual_access:  read_only
        .address_space:  global
        .offset:         120
        .size:           8
        .value_kind:     global_buffer
      - .actual_access:  read_only
        .address_space:  global
        .offset:         128
        .size:           8
        .value_kind:     global_buffer
      - .actual_access:  read_only
        .address_space:  global
        .offset:         136
        .size:           8
        .value_kind:     global_buffer
      - .actual_access:  write_only
        .address_space:  global
        .offset:         144
        .size:           8
        .value_kind:     global_buffer
      - .offset:         152
        .size:           4
        .value_kind:     by_value
      - .offset:         156
        .size:           4
        .value_kind:     by_value
      - .offset:         160
        .size:           4
        .value_kind:     by_value
      - .offset:         164
        .size:           4
        .value_kind:     by_value
      - .offset:         168
        .size:           1
        .value_kind:     by_value
      - .offset:         169
        .size:           1
        .value_kind:     by_value
      - .offset:         170
        .size:           1
        .value_kind:     by_value
    .group_segment_fixed_size: 0
    .kernarg_segment_align: 8
    .kernarg_segment_size: 172
    .language:       OpenCL C
    .language_version:
      - 2
      - 0
    .max_flat_workgroup_size: 1024
    .name:           _ZN9rocsparseL41csrgemm_numeric_fill_block_per_row_kernelILj1024ELj64ELj32768ELj137ELj32Ell21rocsparse_complex_numIdEEEvT5_PKS3_S5_NS_24const_host_device_scalarIT6_EEPKT4_S5_PKS7_SB_S5_SD_S8_SB_S5_SD_SB_S5_PS7_21rocsparse_index_base_SF_SF_SF_bbb
    .private_segment_fixed_size: 40
    .sgpr_count:     78
    .sgpr_spill_count: 0
    .symbol:         _ZN9rocsparseL41csrgemm_numeric_fill_block_per_row_kernelILj1024ELj64ELj32768ELj137ELj32Ell21rocsparse_complex_numIdEEEvT5_PKS3_S5_NS_24const_host_device_scalarIT6_EEPKT4_S5_PKS7_SB_S5_SD_S8_SB_S5_SD_SB_S5_PS7_21rocsparse_index_base_SF_SF_SF_bbb.kd
    .uniform_work_group_size: 1
    .uses_dynamic_stack: false
    .vgpr_count:     36
    .vgpr_spill_count: 0
    .wavefront_size: 32
    .workgroup_processor_mode: 1
  - .args:
      - .offset:         0
        .size:           8
        .value_kind:     by_value
      - .actual_access:  read_only
        .address_space:  global
        .offset:         8
        .size:           8
        .value_kind:     global_buffer
      - .actual_access:  read_only
        .address_space:  global
        .offset:         16
        .size:           8
        .value_kind:     global_buffer
      - .offset:         24
        .size:           16
        .value_kind:     by_value
      - .actual_access:  read_only
        .address_space:  global
        .offset:         40
        .size:           8
        .value_kind:     global_buffer
      - .actual_access:  read_only
        .address_space:  global
        .offset:         48
        .size:           8
        .value_kind:     global_buffer
      - .actual_access:  read_only
        .address_space:  global
        .offset:         56
        .size:           8
        .value_kind:     global_buffer
      - .actual_access:  read_only
        .address_space:  global
        .offset:         64
        .size:           8
        .value_kind:     global_buffer
      - .actual_access:  read_only
        .address_space:  global
        .offset:         72
        .size:           8
        .value_kind:     global_buffer
      - .actual_access:  read_only
        .address_space:  global
        .offset:         80
        .size:           8
        .value_kind:     global_buffer
      - .offset:         88
        .size:           16
        .value_kind:     by_value
      - .actual_access:  read_only
        .address_space:  global
        .offset:         104
        .size:           8
        .value_kind:     global_buffer
      - .actual_access:  read_only
        .address_space:  global
        .offset:         112
        .size:           8
        .value_kind:     global_buffer
      - .actual_access:  read_only
        .address_space:  global
        .offset:         120
        .size:           8
        .value_kind:     global_buffer
      - .actual_access:  read_only
        .address_space:  global
        .offset:         128
        .size:           8
        .value_kind:     global_buffer
      - .actual_access:  read_only
        .address_space:  global
        .offset:         136
        .size:           8
        .value_kind:     global_buffer
      - .actual_access:  write_only
        .address_space:  global
        .offset:         144
        .size:           8
        .value_kind:     global_buffer
      - .offset:         152
        .size:           4
        .value_kind:     by_value
      - .offset:         156
        .size:           4
        .value_kind:     by_value
      - .offset:         160
        .size:           4
        .value_kind:     by_value
      - .offset:         164
        .size:           4
        .value_kind:     by_value
      - .offset:         168
        .size:           1
        .value_kind:     by_value
      - .offset:         169
        .size:           1
        .value_kind:     by_value
      - .offset:         170
        .size:           1
        .value_kind:     by_value
    .group_segment_fixed_size: 0
    .kernarg_segment_align: 8
    .kernarg_segment_size: 172
    .language:       OpenCL C
    .language_version:
      - 2
      - 0
    .max_flat_workgroup_size: 1024
    .name:           _ZN9rocsparseL41csrgemm_numeric_fill_block_per_row_kernelILj1024ELj64ELj32768ELj137ELj64Ell21rocsparse_complex_numIdEEEvT5_PKS3_S5_NS_24const_host_device_scalarIT6_EEPKT4_S5_PKS7_SB_S5_SD_S8_SB_S5_SD_SB_S5_PS7_21rocsparse_index_base_SF_SF_SF_bbb
    .private_segment_fixed_size: 40
    .sgpr_count:     46
    .sgpr_spill_count: 0
    .symbol:         _ZN9rocsparseL41csrgemm_numeric_fill_block_per_row_kernelILj1024ELj64ELj32768ELj137ELj64Ell21rocsparse_complex_numIdEEEvT5_PKS3_S5_NS_24const_host_device_scalarIT6_EEPKT4_S5_PKS7_SB_S5_SD_S8_SB_S5_SD_SB_S5_PS7_21rocsparse_index_base_SF_SF_SF_bbb.kd
    .uniform_work_group_size: 1
    .uses_dynamic_stack: false
    .vgpr_count:     37
    .vgpr_spill_count: 0
    .wavefront_size: 32
    .workgroup_processor_mode: 1
  - .args:
      - .offset:         0
        .size:           8
        .value_kind:     by_value
      - .actual_access:  read_only
        .address_space:  global
        .offset:         8
        .size:           8
        .value_kind:     global_buffer
      - .actual_access:  read_only
        .address_space:  global
        .offset:         16
        .size:           8
        .value_kind:     global_buffer
      - .offset:         24
        .size:           16
        .value_kind:     by_value
      - .actual_access:  read_only
        .address_space:  global
        .offset:         40
        .size:           8
        .value_kind:     global_buffer
      - .actual_access:  read_only
        .address_space:  global
        .offset:         48
        .size:           8
        .value_kind:     global_buffer
      - .actual_access:  read_only
        .address_space:  global
        .offset:         56
        .size:           8
        .value_kind:     global_buffer
      - .actual_access:  read_only
        .address_space:  global
        .offset:         64
        .size:           8
        .value_kind:     global_buffer
      - .actual_access:  read_only
        .address_space:  global
        .offset:         72
        .size:           8
        .value_kind:     global_buffer
      - .actual_access:  read_only
        .address_space:  global
        .offset:         80
        .size:           8
        .value_kind:     global_buffer
      - .offset:         88
        .size:           16
        .value_kind:     by_value
      - .actual_access:  read_only
        .address_space:  global
        .offset:         104
        .size:           8
        .value_kind:     global_buffer
      - .actual_access:  read_only
        .address_space:  global
        .offset:         112
        .size:           8
        .value_kind:     global_buffer
      - .actual_access:  read_only
        .address_space:  global
        .offset:         120
        .size:           8
        .value_kind:     global_buffer
      - .actual_access:  read_only
        .address_space:  global
        .offset:         128
        .size:           8
        .value_kind:     global_buffer
      - .actual_access:  read_only
        .address_space:  global
        .offset:         136
        .size:           8
        .value_kind:     global_buffer
      - .actual_access:  write_only
        .address_space:  global
        .offset:         144
        .size:           8
        .value_kind:     global_buffer
      - .address_space:  global
        .offset:         152
        .size:           8
        .value_kind:     global_buffer
      - .offset:         160
        .size:           4
        .value_kind:     by_value
      - .offset:         164
        .size:           4
        .value_kind:     by_value
      - .offset:         168
        .size:           4
        .value_kind:     by_value
      - .offset:         172
        .size:           4
        .value_kind:     by_value
      - .offset:         176
        .size:           1
        .value_kind:     by_value
      - .offset:         177
        .size:           1
        .value_kind:     by_value
      - .offset:         178
        .size:           1
        .value_kind:     by_value
    .group_segment_fixed_size: 43016
    .kernarg_segment_align: 8
    .kernarg_segment_size: 180
    .language:       OpenCL C
    .language_version:
      - 2
      - 0
    .max_flat_workgroup_size: 512
    .name:           _ZN9rocsparseL51csrgemm_numeric_fill_block_per_row_multipass_kernelILj512ELj16ELj2048ELj32Ell21rocsparse_complex_numIdEEEvT4_PKS3_S5_NS_24const_host_device_scalarIT5_EEPKT3_S5_PKS7_SB_S5_SD_S8_SB_S5_SD_SB_S5_PS7_PS9_21rocsparse_index_base_SG_SG_SG_bbb
    .private_segment_fixed_size: 24
    .sgpr_count:     63
    .sgpr_spill_count: 0
    .symbol:         _ZN9rocsparseL51csrgemm_numeric_fill_block_per_row_multipass_kernelILj512ELj16ELj2048ELj32Ell21rocsparse_complex_numIdEEEvT4_PKS3_S5_NS_24const_host_device_scalarIT5_EEPKT3_S5_PKS7_SB_S5_SD_S8_SB_S5_SD_SB_S5_PS7_PS9_21rocsparse_index_base_SG_SG_SG_bbb.kd
    .uniform_work_group_size: 1
    .uses_dynamic_stack: false
    .vgpr_count:     62
    .vgpr_spill_count: 0
    .wavefront_size: 32
    .workgroup_processor_mode: 1
  - .args:
      - .offset:         0
        .size:           8
        .value_kind:     by_value
      - .actual_access:  read_only
        .address_space:  global
        .offset:         8
        .size:           8
        .value_kind:     global_buffer
      - .actual_access:  read_only
        .address_space:  global
        .offset:         16
        .size:           8
        .value_kind:     global_buffer
      - .offset:         24
        .size:           16
        .value_kind:     by_value
      - .actual_access:  read_only
        .address_space:  global
        .offset:         40
        .size:           8
        .value_kind:     global_buffer
      - .actual_access:  read_only
        .address_space:  global
        .offset:         48
        .size:           8
        .value_kind:     global_buffer
      - .actual_access:  read_only
        .address_space:  global
        .offset:         56
        .size:           8
        .value_kind:     global_buffer
      - .actual_access:  read_only
        .address_space:  global
        .offset:         64
        .size:           8
        .value_kind:     global_buffer
      - .actual_access:  read_only
        .address_space:  global
        .offset:         72
        .size:           8
        .value_kind:     global_buffer
      - .actual_access:  read_only
        .address_space:  global
        .offset:         80
        .size:           8
        .value_kind:     global_buffer
      - .offset:         88
        .size:           16
        .value_kind:     by_value
      - .actual_access:  read_only
        .address_space:  global
        .offset:         104
        .size:           8
        .value_kind:     global_buffer
      - .actual_access:  read_only
        .address_space:  global
        .offset:         112
        .size:           8
        .value_kind:     global_buffer
      - .actual_access:  read_only
        .address_space:  global
        .offset:         120
        .size:           8
        .value_kind:     global_buffer
      - .actual_access:  read_only
        .address_space:  global
        .offset:         128
        .size:           8
        .value_kind:     global_buffer
      - .actual_access:  read_only
        .address_space:  global
        .offset:         136
        .size:           8
        .value_kind:     global_buffer
      - .actual_access:  write_only
        .address_space:  global
        .offset:         144
        .size:           8
        .value_kind:     global_buffer
      - .address_space:  global
        .offset:         152
        .size:           8
        .value_kind:     global_buffer
      - .offset:         160
        .size:           4
        .value_kind:     by_value
      - .offset:         164
        .size:           4
        .value_kind:     by_value
      - .offset:         168
        .size:           4
        .value_kind:     by_value
      - .offset:         172
        .size:           4
        .value_kind:     by_value
      - .offset:         176
        .size:           1
        .value_kind:     by_value
      - .offset:         177
        .size:           1
        .value_kind:     by_value
      - .offset:         178
        .size:           1
        .value_kind:     by_value
    .group_segment_fixed_size: 43016
    .kernarg_segment_align: 8
    .kernarg_segment_size: 180
    .language:       OpenCL C
    .language_version:
      - 2
      - 0
    .max_flat_workgroup_size: 512
    .name:           _ZN9rocsparseL51csrgemm_numeric_fill_block_per_row_multipass_kernelILj512ELj16ELj2048ELj64Ell21rocsparse_complex_numIdEEEvT4_PKS3_S5_NS_24const_host_device_scalarIT5_EEPKT3_S5_PKS7_SB_S5_SD_S8_SB_S5_SD_SB_S5_PS7_PS9_21rocsparse_index_base_SG_SG_SG_bbb
    .private_segment_fixed_size: 24
    .sgpr_count:     55
    .sgpr_spill_count: 0
    .symbol:         _ZN9rocsparseL51csrgemm_numeric_fill_block_per_row_multipass_kernelILj512ELj16ELj2048ELj64Ell21rocsparse_complex_numIdEEEvT4_PKS3_S5_NS_24const_host_device_scalarIT5_EEPKT3_S5_PKS7_SB_S5_SD_S8_SB_S5_SD_SB_S5_PS7_PS9_21rocsparse_index_base_SG_SG_SG_bbb.kd
    .uniform_work_group_size: 1
    .uses_dynamic_stack: false
    .vgpr_count:     62
    .vgpr_spill_count: 0
    .wavefront_size: 32
    .workgroup_processor_mode: 1
  - .args:
      - .offset:         0
        .size:           4
        .value_kind:     by_value
      - .offset:         4
        .size:           4
        .value_kind:     by_value
      - .actual_access:  read_only
        .address_space:  global
        .offset:         8
        .size:           8
        .value_kind:     global_buffer
      - .actual_access:  read_only
        .address_space:  global
        .offset:         16
        .size:           8
        .value_kind:     global_buffer
      - .offset:         24
        .size:           8
        .value_kind:     by_value
      - .actual_access:  read_only
        .address_space:  global
        .offset:         32
        .size:           8
        .value_kind:     global_buffer
      - .actual_access:  read_only
        .address_space:  global
        .offset:         40
        .size:           8
        .value_kind:     global_buffer
      - .actual_access:  read_only
        .address_space:  global
        .offset:         48
        .size:           8
        .value_kind:     global_buffer
      - .actual_access:  read_only
        .address_space:  global
        .offset:         56
        .size:           8
        .value_kind:     global_buffer
      - .actual_access:  read_only
        .address_space:  global
        .offset:         64
        .size:           8
        .value_kind:     global_buffer
      - .actual_access:  read_only
        .address_space:  global
        .offset:         72
        .size:           8
        .value_kind:     global_buffer
      - .offset:         80
        .size:           8
        .value_kind:     by_value
      - .actual_access:  read_only
        .address_space:  global
        .offset:         88
        .size:           8
        .value_kind:     global_buffer
      - .actual_access:  read_only
        .address_space:  global
        .offset:         96
        .size:           8
        .value_kind:     global_buffer
      - .actual_access:  read_only
        .address_space:  global
        .offset:         104
        .size:           8
        .value_kind:     global_buffer
      - .actual_access:  read_only
        .address_space:  global
        .offset:         112
        .size:           8
        .value_kind:     global_buffer
      - .actual_access:  read_only
        .address_space:  global
        .offset:         120
        .size:           8
        .value_kind:     global_buffer
      - .actual_access:  write_only
        .address_space:  global
        .offset:         128
        .size:           8
        .value_kind:     global_buffer
      - .offset:         136
        .size:           4
        .value_kind:     by_value
      - .offset:         140
        .size:           4
        .value_kind:     by_value
      - .offset:         144
        .size:           4
        .value_kind:     by_value
      - .offset:         148
        .size:           4
        .value_kind:     by_value
      - .offset:         152
        .size:           1
        .value_kind:     by_value
      - .offset:         153
        .size:           1
        .value_kind:     by_value
      - .offset:         154
        .size:           1
        .value_kind:     by_value
    .group_segment_fixed_size: 4096
    .kernarg_segment_align: 8
    .kernarg_segment_size: 156
    .language:       OpenCL C
    .language_version:
      - 2
      - 0
    .max_flat_workgroup_size: 256
    .name:           _ZN9rocsparseL38csrgemm_numeric_fill_wf_per_row_kernelILj256ELj8ELj16ELj137ElifEEvT4_S1_PKS1_S3_NS_24const_host_device_scalarIT5_EEPKT3_S3_PKS5_S9_S3_SB_S6_S9_S3_SB_S9_S3_PS5_21rocsparse_index_base_SD_SD_SD_bbb
    .private_segment_fixed_size: 0
    .sgpr_count:     42
    .sgpr_spill_count: 0
    .symbol:         _ZN9rocsparseL38csrgemm_numeric_fill_wf_per_row_kernelILj256ELj8ELj16ELj137ElifEEvT4_S1_PKS1_S3_NS_24const_host_device_scalarIT5_EEPKT3_S3_PKS5_S9_S3_SB_S6_S9_S3_SB_S9_S3_PS5_21rocsparse_index_base_SD_SD_SD_bbb.kd
    .uniform_work_group_size: 1
    .uses_dynamic_stack: false
    .vgpr_count:     24
    .vgpr_spill_count: 0
    .wavefront_size: 32
    .workgroup_processor_mode: 1
  - .args:
      - .offset:         0
        .size:           4
        .value_kind:     by_value
      - .offset:         4
        .size:           4
        .value_kind:     by_value
      - .actual_access:  read_only
        .address_space:  global
        .offset:         8
        .size:           8
        .value_kind:     global_buffer
      - .actual_access:  read_only
        .address_space:  global
        .offset:         16
        .size:           8
        .value_kind:     global_buffer
      - .offset:         24
        .size:           8
        .value_kind:     by_value
      - .actual_access:  read_only
        .address_space:  global
        .offset:         32
        .size:           8
        .value_kind:     global_buffer
      - .actual_access:  read_only
        .address_space:  global
        .offset:         40
        .size:           8
        .value_kind:     global_buffer
      - .actual_access:  read_only
        .address_space:  global
        .offset:         48
        .size:           8
        .value_kind:     global_buffer
      - .actual_access:  read_only
        .address_space:  global
        .offset:         56
        .size:           8
        .value_kind:     global_buffer
      - .actual_access:  read_only
        .address_space:  global
        .offset:         64
        .size:           8
        .value_kind:     global_buffer
      - .actual_access:  read_only
        .address_space:  global
        .offset:         72
        .size:           8
        .value_kind:     global_buffer
      - .offset:         80
        .size:           8
        .value_kind:     by_value
      - .actual_access:  read_only
        .address_space:  global
        .offset:         88
        .size:           8
        .value_kind:     global_buffer
      - .actual_access:  read_only
        .address_space:  global
        .offset:         96
        .size:           8
        .value_kind:     global_buffer
      - .actual_access:  read_only
        .address_space:  global
        .offset:         104
        .size:           8
        .value_kind:     global_buffer
      - .actual_access:  read_only
        .address_space:  global
        .offset:         112
        .size:           8
        .value_kind:     global_buffer
      - .actual_access:  read_only
        .address_space:  global
        .offset:         120
        .size:           8
        .value_kind:     global_buffer
      - .actual_access:  write_only
        .address_space:  global
        .offset:         128
        .size:           8
        .value_kind:     global_buffer
      - .offset:         136
        .size:           4
        .value_kind:     by_value
      - .offset:         140
        .size:           4
        .value_kind:     by_value
      - .offset:         144
        .size:           4
        .value_kind:     by_value
      - .offset:         148
        .size:           4
        .value_kind:     by_value
      - .offset:         152
        .size:           1
        .value_kind:     by_value
      - .offset:         153
        .size:           1
        .value_kind:     by_value
      - .offset:         154
        .size:           1
        .value_kind:     by_value
    .group_segment_fixed_size: 4096
    .kernarg_segment_align: 8
    .kernarg_segment_size: 156
    .language:       OpenCL C
    .language_version:
      - 2
      - 0
    .max_flat_workgroup_size: 256
    .name:           _ZN9rocsparseL38csrgemm_numeric_fill_wf_per_row_kernelILj256ELj16ELj32ELj137ElifEEvT4_S1_PKS1_S3_NS_24const_host_device_scalarIT5_EEPKT3_S3_PKS5_S9_S3_SB_S6_S9_S3_SB_S9_S3_PS5_21rocsparse_index_base_SD_SD_SD_bbb
    .private_segment_fixed_size: 0
    .sgpr_count:     42
    .sgpr_spill_count: 0
    .symbol:         _ZN9rocsparseL38csrgemm_numeric_fill_wf_per_row_kernelILj256ELj16ELj32ELj137ElifEEvT4_S1_PKS1_S3_NS_24const_host_device_scalarIT5_EEPKT3_S3_PKS5_S9_S3_SB_S6_S9_S3_SB_S9_S3_PS5_21rocsparse_index_base_SD_SD_SD_bbb.kd
    .uniform_work_group_size: 1
    .uses_dynamic_stack: false
    .vgpr_count:     40
    .vgpr_spill_count: 0
    .wavefront_size: 32
    .workgroup_processor_mode: 1
  - .args:
      - .offset:         0
        .size:           4
        .value_kind:     by_value
      - .actual_access:  read_only
        .address_space:  global
        .offset:         8
        .size:           8
        .value_kind:     global_buffer
      - .actual_access:  read_only
        .address_space:  global
        .offset:         16
        .size:           8
        .value_kind:     global_buffer
      - .offset:         24
        .size:           8
        .value_kind:     by_value
      - .actual_access:  read_only
        .address_space:  global
        .offset:         32
        .size:           8
        .value_kind:     global_buffer
      - .actual_access:  read_only
        .address_space:  global
        .offset:         40
        .size:           8
        .value_kind:     global_buffer
      - .actual_access:  read_only
        .address_space:  global
        .offset:         48
        .size:           8
        .value_kind:     global_buffer
      - .actual_access:  read_only
        .address_space:  global
        .offset:         56
        .size:           8
        .value_kind:     global_buffer
      - .actual_access:  read_only
        .address_space:  global
        .offset:         64
        .size:           8
        .value_kind:     global_buffer
      - .actual_access:  read_only
        .address_space:  global
        .offset:         72
        .size:           8
        .value_kind:     global_buffer
      - .offset:         80
        .size:           8
        .value_kind:     by_value
      - .actual_access:  read_only
        .address_space:  global
        .offset:         88
        .size:           8
        .value_kind:     global_buffer
      - .actual_access:  read_only
        .address_space:  global
        .offset:         96
        .size:           8
        .value_kind:     global_buffer
      - .actual_access:  read_only
        .address_space:  global
        .offset:         104
        .size:           8
        .value_kind:     global_buffer
      - .actual_access:  read_only
        .address_space:  global
        .offset:         112
        .size:           8
        .value_kind:     global_buffer
      - .actual_access:  read_only
        .address_space:  global
        .offset:         120
        .size:           8
        .value_kind:     global_buffer
      - .actual_access:  write_only
        .address_space:  global
        .offset:         128
        .size:           8
        .value_kind:     global_buffer
      - .offset:         136
        .size:           4
        .value_kind:     by_value
      - .offset:         140
        .size:           4
        .value_kind:     by_value
      - .offset:         144
        .size:           4
        .value_kind:     by_value
      - .offset:         148
        .size:           4
        .value_kind:     by_value
      - .offset:         152
        .size:           1
        .value_kind:     by_value
      - .offset:         153
        .size:           1
        .value_kind:     by_value
      - .offset:         154
        .size:           1
        .value_kind:     by_value
    .group_segment_fixed_size: 0
    .kernarg_segment_align: 8
    .kernarg_segment_size: 156
    .language:       OpenCL C
    .language_version:
      - 2
      - 0
    .max_flat_workgroup_size: 128
    .name:           _ZN9rocsparseL41csrgemm_numeric_fill_block_per_row_kernelILj128ELj16ELj256ELj137ELj32ElifEEvT5_PKS1_S3_NS_24const_host_device_scalarIT6_EEPKT4_S3_PKS5_S9_S3_SB_S6_S9_S3_SB_S9_S3_PS5_21rocsparse_index_base_SD_SD_SD_bbb
    .private_segment_fixed_size: 0
    .sgpr_count:     44
    .sgpr_spill_count: 0
    .symbol:         _ZN9rocsparseL41csrgemm_numeric_fill_block_per_row_kernelILj128ELj16ELj256ELj137ELj32ElifEEvT5_PKS1_S3_NS_24const_host_device_scalarIT6_EEPKT4_S3_PKS5_S9_S3_SB_S6_S9_S3_SB_S9_S3_PS5_21rocsparse_index_base_SD_SD_SD_bbb.kd
    .uniform_work_group_size: 1
    .uses_dynamic_stack: false
    .vgpr_count:     19
    .vgpr_spill_count: 0
    .wavefront_size: 32
    .workgroup_processor_mode: 1
  - .args:
      - .offset:         0
        .size:           4
        .value_kind:     by_value
      - .actual_access:  read_only
        .address_space:  global
        .offset:         8
        .size:           8
        .value_kind:     global_buffer
      - .actual_access:  read_only
        .address_space:  global
        .offset:         16
        .size:           8
        .value_kind:     global_buffer
      - .offset:         24
        .size:           8
        .value_kind:     by_value
      - .actual_access:  read_only
        .address_space:  global
        .offset:         32
        .size:           8
        .value_kind:     global_buffer
      - .actual_access:  read_only
        .address_space:  global
        .offset:         40
        .size:           8
        .value_kind:     global_buffer
      - .actual_access:  read_only
        .address_space:  global
        .offset:         48
        .size:           8
        .value_kind:     global_buffer
      - .actual_access:  read_only
        .address_space:  global
        .offset:         56
        .size:           8
        .value_kind:     global_buffer
      - .actual_access:  read_only
        .address_space:  global
        .offset:         64
        .size:           8
        .value_kind:     global_buffer
      - .actual_access:  read_only
        .address_space:  global
        .offset:         72
        .size:           8
        .value_kind:     global_buffer
      - .offset:         80
        .size:           8
        .value_kind:     by_value
      - .actual_access:  read_only
        .address_space:  global
        .offset:         88
        .size:           8
        .value_kind:     global_buffer
      - .actual_access:  read_only
        .address_space:  global
        .offset:         96
        .size:           8
        .value_kind:     global_buffer
      - .actual_access:  read_only
        .address_space:  global
        .offset:         104
        .size:           8
        .value_kind:     global_buffer
      - .actual_access:  read_only
        .address_space:  global
        .offset:         112
        .size:           8
        .value_kind:     global_buffer
      - .actual_access:  read_only
        .address_space:  global
        .offset:         120
        .size:           8
        .value_kind:     global_buffer
      - .actual_access:  write_only
        .address_space:  global
        .offset:         128
        .size:           8
        .value_kind:     global_buffer
      - .offset:         136
        .size:           4
        .value_kind:     by_value
      - .offset:         140
        .size:           4
        .value_kind:     by_value
      - .offset:         144
        .size:           4
        .value_kind:     by_value
      - .offset:         148
        .size:           4
        .value_kind:     by_value
      - .offset:         152
        .size:           1
        .value_kind:     by_value
      - .offset:         153
        .size:           1
        .value_kind:     by_value
      - .offset:         154
        .size:           1
        .value_kind:     by_value
    .group_segment_fixed_size: 0
    .kernarg_segment_align: 8
    .kernarg_segment_size: 156
    .language:       OpenCL C
    .language_version:
      - 2
      - 0
    .max_flat_workgroup_size: 128
    .name:           _ZN9rocsparseL41csrgemm_numeric_fill_block_per_row_kernelILj128ELj16ELj256ELj137ELj64ElifEEvT5_PKS1_S3_NS_24const_host_device_scalarIT6_EEPKT4_S3_PKS5_S9_S3_SB_S6_S9_S3_SB_S9_S3_PS5_21rocsparse_index_base_SD_SD_SD_bbb
    .private_segment_fixed_size: 0
    .sgpr_count:     44
    .sgpr_spill_count: 0
    .symbol:         _ZN9rocsparseL41csrgemm_numeric_fill_block_per_row_kernelILj128ELj16ELj256ELj137ELj64ElifEEvT5_PKS1_S3_NS_24const_host_device_scalarIT6_EEPKT4_S3_PKS5_S9_S3_SB_S6_S9_S3_SB_S9_S3_PS5_21rocsparse_index_base_SD_SD_SD_bbb.kd
    .uniform_work_group_size: 1
    .uses_dynamic_stack: false
    .vgpr_count:     20
    .vgpr_spill_count: 0
    .wavefront_size: 32
    .workgroup_processor_mode: 1
  - .args:
      - .offset:         0
        .size:           4
        .value_kind:     by_value
      - .actual_access:  read_only
        .address_space:  global
        .offset:         8
        .size:           8
        .value_kind:     global_buffer
      - .actual_access:  read_only
        .address_space:  global
        .offset:         16
        .size:           8
        .value_kind:     global_buffer
      - .offset:         24
        .size:           8
        .value_kind:     by_value
      - .actual_access:  read_only
        .address_space:  global
        .offset:         32
        .size:           8
        .value_kind:     global_buffer
      - .actual_access:  read_only
        .address_space:  global
        .offset:         40
        .size:           8
        .value_kind:     global_buffer
      - .actual_access:  read_only
        .address_space:  global
        .offset:         48
        .size:           8
        .value_kind:     global_buffer
      - .actual_access:  read_only
        .address_space:  global
        .offset:         56
        .size:           8
        .value_kind:     global_buffer
      - .actual_access:  read_only
        .address_space:  global
        .offset:         64
        .size:           8
        .value_kind:     global_buffer
      - .actual_access:  read_only
        .address_space:  global
        .offset:         72
        .size:           8
        .value_kind:     global_buffer
      - .offset:         80
        .size:           8
        .value_kind:     by_value
      - .actual_access:  read_only
        .address_space:  global
        .offset:         88
        .size:           8
        .value_kind:     global_buffer
      - .actual_access:  read_only
        .address_space:  global
        .offset:         96
        .size:           8
        .value_kind:     global_buffer
      - .actual_access:  read_only
        .address_space:  global
        .offset:         104
        .size:           8
        .value_kind:     global_buffer
      - .actual_access:  read_only
        .address_space:  global
        .offset:         112
        .size:           8
        .value_kind:     global_buffer
      - .actual_access:  read_only
        .address_space:  global
        .offset:         120
        .size:           8
        .value_kind:     global_buffer
      - .actual_access:  write_only
        .address_space:  global
        .offset:         128
        .size:           8
        .value_kind:     global_buffer
      - .offset:         136
        .size:           4
        .value_kind:     by_value
      - .offset:         140
        .size:           4
        .value_kind:     by_value
      - .offset:         144
        .size:           4
        .value_kind:     by_value
      - .offset:         148
        .size:           4
        .value_kind:     by_value
      - .offset:         152
        .size:           1
        .value_kind:     by_value
      - .offset:         153
        .size:           1
        .value_kind:     by_value
      - .offset:         154
        .size:           1
        .value_kind:     by_value
    .group_segment_fixed_size: 0
    .kernarg_segment_align: 8
    .kernarg_segment_size: 156
    .language:       OpenCL C
    .language_version:
      - 2
      - 0
    .max_flat_workgroup_size: 256
    .name:           _ZN9rocsparseL41csrgemm_numeric_fill_block_per_row_kernelILj256ELj32ELj512ELj137ELj32ElifEEvT5_PKS1_S3_NS_24const_host_device_scalarIT6_EEPKT4_S3_PKS5_S9_S3_SB_S6_S9_S3_SB_S9_S3_PS5_21rocsparse_index_base_SD_SD_SD_bbb
    .private_segment_fixed_size: 0
    .sgpr_count:     44
    .sgpr_spill_count: 0
    .symbol:         _ZN9rocsparseL41csrgemm_numeric_fill_block_per_row_kernelILj256ELj32ELj512ELj137ELj32ElifEEvT5_PKS1_S3_NS_24const_host_device_scalarIT6_EEPKT4_S3_PKS5_S9_S3_SB_S6_S9_S3_SB_S9_S3_PS5_21rocsparse_index_base_SD_SD_SD_bbb.kd
    .uniform_work_group_size: 1
    .uses_dynamic_stack: false
    .vgpr_count:     20
    .vgpr_spill_count: 0
    .wavefront_size: 32
    .workgroup_processor_mode: 1
  - .args:
      - .offset:         0
        .size:           4
        .value_kind:     by_value
      - .actual_access:  read_only
        .address_space:  global
        .offset:         8
        .size:           8
        .value_kind:     global_buffer
      - .actual_access:  read_only
        .address_space:  global
        .offset:         16
        .size:           8
        .value_kind:     global_buffer
      - .offset:         24
        .size:           8
        .value_kind:     by_value
      - .actual_access:  read_only
        .address_space:  global
        .offset:         32
        .size:           8
        .value_kind:     global_buffer
      - .actual_access:  read_only
        .address_space:  global
        .offset:         40
        .size:           8
        .value_kind:     global_buffer
      - .actual_access:  read_only
        .address_space:  global
        .offset:         48
        .size:           8
        .value_kind:     global_buffer
      - .actual_access:  read_only
        .address_space:  global
        .offset:         56
        .size:           8
        .value_kind:     global_buffer
      - .actual_access:  read_only
        .address_space:  global
        .offset:         64
        .size:           8
        .value_kind:     global_buffer
      - .actual_access:  read_only
        .address_space:  global
        .offset:         72
        .size:           8
        .value_kind:     global_buffer
      - .offset:         80
        .size:           8
        .value_kind:     by_value
      - .actual_access:  read_only
        .address_space:  global
        .offset:         88
        .size:           8
        .value_kind:     global_buffer
      - .actual_access:  read_only
        .address_space:  global
        .offset:         96
        .size:           8
        .value_kind:     global_buffer
      - .actual_access:  read_only
        .address_space:  global
        .offset:         104
        .size:           8
        .value_kind:     global_buffer
      - .actual_access:  read_only
        .address_space:  global
        .offset:         112
        .size:           8
        .value_kind:     global_buffer
      - .actual_access:  read_only
        .address_space:  global
        .offset:         120
        .size:           8
        .value_kind:     global_buffer
      - .actual_access:  write_only
        .address_space:  global
        .offset:         128
        .size:           8
        .value_kind:     global_buffer
      - .offset:         136
        .size:           4
        .value_kind:     by_value
      - .offset:         140
        .size:           4
        .value_kind:     by_value
      - .offset:         144
        .size:           4
        .value_kind:     by_value
      - .offset:         148
        .size:           4
        .value_kind:     by_value
      - .offset:         152
        .size:           1
        .value_kind:     by_value
      - .offset:         153
        .size:           1
        .value_kind:     by_value
      - .offset:         154
        .size:           1
        .value_kind:     by_value
    .group_segment_fixed_size: 0
    .kernarg_segment_align: 8
    .kernarg_segment_size: 156
    .language:       OpenCL C
    .language_version:
      - 2
      - 0
    .max_flat_workgroup_size: 256
    .name:           _ZN9rocsparseL41csrgemm_numeric_fill_block_per_row_kernelILj256ELj32ELj512ELj137ELj64ElifEEvT5_PKS1_S3_NS_24const_host_device_scalarIT6_EEPKT4_S3_PKS5_S9_S3_SB_S6_S9_S3_SB_S9_S3_PS5_21rocsparse_index_base_SD_SD_SD_bbb
    .private_segment_fixed_size: 0
    .sgpr_count:     44
    .sgpr_spill_count: 0
    .symbol:         _ZN9rocsparseL41csrgemm_numeric_fill_block_per_row_kernelILj256ELj32ELj512ELj137ELj64ElifEEvT5_PKS1_S3_NS_24const_host_device_scalarIT6_EEPKT4_S3_PKS5_S9_S3_SB_S6_S9_S3_SB_S9_S3_PS5_21rocsparse_index_base_SD_SD_SD_bbb.kd
    .uniform_work_group_size: 1
    .uses_dynamic_stack: false
    .vgpr_count:     19
    .vgpr_spill_count: 0
    .wavefront_size: 32
    .workgroup_processor_mode: 1
  - .args:
      - .offset:         0
        .size:           4
        .value_kind:     by_value
      - .actual_access:  read_only
        .address_space:  global
        .offset:         8
        .size:           8
        .value_kind:     global_buffer
      - .actual_access:  read_only
        .address_space:  global
        .offset:         16
        .size:           8
        .value_kind:     global_buffer
      - .offset:         24
        .size:           8
        .value_kind:     by_value
      - .actual_access:  read_only
        .address_space:  global
        .offset:         32
        .size:           8
        .value_kind:     global_buffer
      - .actual_access:  read_only
        .address_space:  global
        .offset:         40
        .size:           8
        .value_kind:     global_buffer
      - .actual_access:  read_only
        .address_space:  global
        .offset:         48
        .size:           8
        .value_kind:     global_buffer
      - .actual_access:  read_only
        .address_space:  global
        .offset:         56
        .size:           8
        .value_kind:     global_buffer
      - .actual_access:  read_only
        .address_space:  global
        .offset:         64
        .size:           8
        .value_kind:     global_buffer
      - .actual_access:  read_only
        .address_space:  global
        .offset:         72
        .size:           8
        .value_kind:     global_buffer
      - .offset:         80
        .size:           8
        .value_kind:     by_value
      - .actual_access:  read_only
        .address_space:  global
        .offset:         88
        .size:           8
        .value_kind:     global_buffer
      - .actual_access:  read_only
        .address_space:  global
        .offset:         96
        .size:           8
        .value_kind:     global_buffer
      - .actual_access:  read_only
        .address_space:  global
        .offset:         104
        .size:           8
        .value_kind:     global_buffer
      - .actual_access:  read_only
        .address_space:  global
        .offset:         112
        .size:           8
        .value_kind:     global_buffer
      - .actual_access:  read_only
        .address_space:  global
        .offset:         120
        .size:           8
        .value_kind:     global_buffer
      - .actual_access:  write_only
        .address_space:  global
        .offset:         128
        .size:           8
        .value_kind:     global_buffer
      - .offset:         136
        .size:           4
        .value_kind:     by_value
      - .offset:         140
        .size:           4
        .value_kind:     by_value
      - .offset:         144
        .size:           4
        .value_kind:     by_value
      - .offset:         148
        .size:           4
        .value_kind:     by_value
      - .offset:         152
        .size:           1
        .value_kind:     by_value
      - .offset:         153
        .size:           1
        .value_kind:     by_value
      - .offset:         154
        .size:           1
        .value_kind:     by_value
    .group_segment_fixed_size: 0
    .kernarg_segment_align: 8
    .kernarg_segment_size: 156
    .language:       OpenCL C
    .language_version:
      - 2
      - 0
    .max_flat_workgroup_size: 512
    .name:           _ZN9rocsparseL41csrgemm_numeric_fill_block_per_row_kernelILj512ELj32ELj1024ELj137ELj32ElifEEvT5_PKS1_S3_NS_24const_host_device_scalarIT6_EEPKT4_S3_PKS5_S9_S3_SB_S6_S9_S3_SB_S9_S3_PS5_21rocsparse_index_base_SD_SD_SD_bbb
    .private_segment_fixed_size: 0
    .sgpr_count:     43
    .sgpr_spill_count: 0
    .symbol:         _ZN9rocsparseL41csrgemm_numeric_fill_block_per_row_kernelILj512ELj32ELj1024ELj137ELj32ElifEEvT5_PKS1_S3_NS_24const_host_device_scalarIT6_EEPKT4_S3_PKS5_S9_S3_SB_S6_S9_S3_SB_S9_S3_PS5_21rocsparse_index_base_SD_SD_SD_bbb.kd
    .uniform_work_group_size: 1
    .uses_dynamic_stack: false
    .vgpr_count:     20
    .vgpr_spill_count: 0
    .wavefront_size: 32
    .workgroup_processor_mode: 1
  - .args:
      - .offset:         0
        .size:           4
        .value_kind:     by_value
      - .actual_access:  read_only
        .address_space:  global
        .offset:         8
        .size:           8
        .value_kind:     global_buffer
      - .actual_access:  read_only
        .address_space:  global
        .offset:         16
        .size:           8
        .value_kind:     global_buffer
      - .offset:         24
        .size:           8
        .value_kind:     by_value
      - .actual_access:  read_only
        .address_space:  global
        .offset:         32
        .size:           8
        .value_kind:     global_buffer
      - .actual_access:  read_only
        .address_space:  global
        .offset:         40
        .size:           8
        .value_kind:     global_buffer
      - .actual_access:  read_only
        .address_space:  global
        .offset:         48
        .size:           8
        .value_kind:     global_buffer
      - .actual_access:  read_only
        .address_space:  global
        .offset:         56
        .size:           8
        .value_kind:     global_buffer
      - .actual_access:  read_only
        .address_space:  global
        .offset:         64
        .size:           8
        .value_kind:     global_buffer
      - .actual_access:  read_only
        .address_space:  global
        .offset:         72
        .size:           8
        .value_kind:     global_buffer
      - .offset:         80
        .size:           8
        .value_kind:     by_value
      - .actual_access:  read_only
        .address_space:  global
        .offset:         88
        .size:           8
        .value_kind:     global_buffer
      - .actual_access:  read_only
        .address_space:  global
        .offset:         96
        .size:           8
        .value_kind:     global_buffer
      - .actual_access:  read_only
        .address_space:  global
        .offset:         104
        .size:           8
        .value_kind:     global_buffer
      - .actual_access:  read_only
        .address_space:  global
        .offset:         112
        .size:           8
        .value_kind:     global_buffer
      - .actual_access:  read_only
        .address_space:  global
        .offset:         120
        .size:           8
        .value_kind:     global_buffer
      - .actual_access:  write_only
        .address_space:  global
        .offset:         128
        .size:           8
        .value_kind:     global_buffer
      - .offset:         136
        .size:           4
        .value_kind:     by_value
      - .offset:         140
        .size:           4
        .value_kind:     by_value
      - .offset:         144
        .size:           4
        .value_kind:     by_value
      - .offset:         148
        .size:           4
        .value_kind:     by_value
      - .offset:         152
        .size:           1
        .value_kind:     by_value
      - .offset:         153
        .size:           1
        .value_kind:     by_value
      - .offset:         154
        .size:           1
        .value_kind:     by_value
    .group_segment_fixed_size: 0
    .kernarg_segment_align: 8
    .kernarg_segment_size: 156
    .language:       OpenCL C
    .language_version:
      - 2
      - 0
    .max_flat_workgroup_size: 512
    .name:           _ZN9rocsparseL41csrgemm_numeric_fill_block_per_row_kernelILj512ELj32ELj1024ELj137ELj64ElifEEvT5_PKS1_S3_NS_24const_host_device_scalarIT6_EEPKT4_S3_PKS5_S9_S3_SB_S6_S9_S3_SB_S9_S3_PS5_21rocsparse_index_base_SD_SD_SD_bbb
    .private_segment_fixed_size: 0
    .sgpr_count:     43
    .sgpr_spill_count: 0
    .symbol:         _ZN9rocsparseL41csrgemm_numeric_fill_block_per_row_kernelILj512ELj32ELj1024ELj137ELj64ElifEEvT5_PKS1_S3_NS_24const_host_device_scalarIT6_EEPKT4_S3_PKS5_S9_S3_SB_S6_S9_S3_SB_S9_S3_PS5_21rocsparse_index_base_SD_SD_SD_bbb.kd
    .uniform_work_group_size: 1
    .uses_dynamic_stack: false
    .vgpr_count:     19
    .vgpr_spill_count: 0
    .wavefront_size: 32
    .workgroup_processor_mode: 1
  - .args:
      - .offset:         0
        .size:           4
        .value_kind:     by_value
      - .actual_access:  read_only
        .address_space:  global
        .offset:         8
        .size:           8
        .value_kind:     global_buffer
      - .actual_access:  read_only
        .address_space:  global
        .offset:         16
        .size:           8
        .value_kind:     global_buffer
      - .offset:         24
        .size:           8
        .value_kind:     by_value
      - .actual_access:  read_only
        .address_space:  global
        .offset:         32
        .size:           8
        .value_kind:     global_buffer
      - .actual_access:  read_only
        .address_space:  global
        .offset:         40
        .size:           8
        .value_kind:     global_buffer
      - .actual_access:  read_only
        .address_space:  global
        .offset:         48
        .size:           8
        .value_kind:     global_buffer
      - .actual_access:  read_only
        .address_space:  global
        .offset:         56
        .size:           8
        .value_kind:     global_buffer
      - .actual_access:  read_only
        .address_space:  global
        .offset:         64
        .size:           8
        .value_kind:     global_buffer
      - .actual_access:  read_only
        .address_space:  global
        .offset:         72
        .size:           8
        .value_kind:     global_buffer
      - .offset:         80
        .size:           8
        .value_kind:     by_value
      - .actual_access:  read_only
        .address_space:  global
        .offset:         88
        .size:           8
        .value_kind:     global_buffer
      - .actual_access:  read_only
        .address_space:  global
        .offset:         96
        .size:           8
        .value_kind:     global_buffer
      - .actual_access:  read_only
        .address_space:  global
        .offset:         104
        .size:           8
        .value_kind:     global_buffer
      - .actual_access:  read_only
        .address_space:  global
        .offset:         112
        .size:           8
        .value_kind:     global_buffer
      - .actual_access:  read_only
        .address_space:  global
        .offset:         120
        .size:           8
        .value_kind:     global_buffer
      - .actual_access:  write_only
        .address_space:  global
        .offset:         128
        .size:           8
        .value_kind:     global_buffer
      - .offset:         136
        .size:           4
        .value_kind:     by_value
      - .offset:         140
        .size:           4
        .value_kind:     by_value
      - .offset:         144
        .size:           4
        .value_kind:     by_value
      - .offset:         148
        .size:           4
        .value_kind:     by_value
      - .offset:         152
        .size:           1
        .value_kind:     by_value
      - .offset:         153
        .size:           1
        .value_kind:     by_value
      - .offset:         154
        .size:           1
        .value_kind:     by_value
    .group_segment_fixed_size: 0
    .kernarg_segment_align: 8
    .kernarg_segment_size: 156
    .language:       OpenCL C
    .language_version:
      - 2
      - 0
    .max_flat_workgroup_size: 1024
    .name:           _ZN9rocsparseL41csrgemm_numeric_fill_block_per_row_kernelILj1024ELj32ELj2048ELj137ELj32ElifEEvT5_PKS1_S3_NS_24const_host_device_scalarIT6_EEPKT4_S3_PKS5_S9_S3_SB_S6_S9_S3_SB_S9_S3_PS5_21rocsparse_index_base_SD_SD_SD_bbb
    .private_segment_fixed_size: 0
    .sgpr_count:     52
    .sgpr_spill_count: 0
    .symbol:         _ZN9rocsparseL41csrgemm_numeric_fill_block_per_row_kernelILj1024ELj32ELj2048ELj137ELj32ElifEEvT5_PKS1_S3_NS_24const_host_device_scalarIT6_EEPKT4_S3_PKS5_S9_S3_SB_S6_S9_S3_SB_S9_S3_PS5_21rocsparse_index_base_SD_SD_SD_bbb.kd
    .uniform_work_group_size: 1
    .uses_dynamic_stack: false
    .vgpr_count:     20
    .vgpr_spill_count: 0
    .wavefront_size: 32
    .workgroup_processor_mode: 1
  - .args:
      - .offset:         0
        .size:           4
        .value_kind:     by_value
      - .actual_access:  read_only
        .address_space:  global
        .offset:         8
        .size:           8
        .value_kind:     global_buffer
      - .actual_access:  read_only
        .address_space:  global
        .offset:         16
        .size:           8
        .value_kind:     global_buffer
      - .offset:         24
        .size:           8
        .value_kind:     by_value
      - .actual_access:  read_only
        .address_space:  global
        .offset:         32
        .size:           8
        .value_kind:     global_buffer
      - .actual_access:  read_only
        .address_space:  global
        .offset:         40
        .size:           8
        .value_kind:     global_buffer
      - .actual_access:  read_only
        .address_space:  global
        .offset:         48
        .size:           8
        .value_kind:     global_buffer
      - .actual_access:  read_only
        .address_space:  global
        .offset:         56
        .size:           8
        .value_kind:     global_buffer
      - .actual_access:  read_only
        .address_space:  global
        .offset:         64
        .size:           8
        .value_kind:     global_buffer
      - .actual_access:  read_only
        .address_space:  global
        .offset:         72
        .size:           8
        .value_kind:     global_buffer
      - .offset:         80
        .size:           8
        .value_kind:     by_value
      - .actual_access:  read_only
        .address_space:  global
        .offset:         88
        .size:           8
        .value_kind:     global_buffer
      - .actual_access:  read_only
        .address_space:  global
        .offset:         96
        .size:           8
        .value_kind:     global_buffer
      - .actual_access:  read_only
        .address_space:  global
        .offset:         104
        .size:           8
        .value_kind:     global_buffer
      - .actual_access:  read_only
        .address_space:  global
        .offset:         112
        .size:           8
        .value_kind:     global_buffer
      - .actual_access:  read_only
        .address_space:  global
        .offset:         120
        .size:           8
        .value_kind:     global_buffer
      - .actual_access:  write_only
        .address_space:  global
        .offset:         128
        .size:           8
        .value_kind:     global_buffer
      - .offset:         136
        .size:           4
        .value_kind:     by_value
      - .offset:         140
        .size:           4
        .value_kind:     by_value
      - .offset:         144
        .size:           4
        .value_kind:     by_value
      - .offset:         148
        .size:           4
        .value_kind:     by_value
      - .offset:         152
        .size:           1
        .value_kind:     by_value
      - .offset:         153
        .size:           1
        .value_kind:     by_value
      - .offset:         154
        .size:           1
        .value_kind:     by_value
    .group_segment_fixed_size: 0
    .kernarg_segment_align: 8
    .kernarg_segment_size: 156
    .language:       OpenCL C
    .language_version:
      - 2
      - 0
    .max_flat_workgroup_size: 1024
    .name:           _ZN9rocsparseL41csrgemm_numeric_fill_block_per_row_kernelILj1024ELj32ELj2048ELj137ELj64ElifEEvT5_PKS1_S3_NS_24const_host_device_scalarIT6_EEPKT4_S3_PKS5_S9_S3_SB_S6_S9_S3_SB_S9_S3_PS5_21rocsparse_index_base_SD_SD_SD_bbb
    .private_segment_fixed_size: 0
    .sgpr_count:     43
    .sgpr_spill_count: 0
    .symbol:         _ZN9rocsparseL41csrgemm_numeric_fill_block_per_row_kernelILj1024ELj32ELj2048ELj137ELj64ElifEEvT5_PKS1_S3_NS_24const_host_device_scalarIT6_EEPKT4_S3_PKS5_S9_S3_SB_S6_S9_S3_SB_S9_S3_PS5_21rocsparse_index_base_SD_SD_SD_bbb.kd
    .uniform_work_group_size: 1
    .uses_dynamic_stack: false
    .vgpr_count:     19
    .vgpr_spill_count: 0
    .wavefront_size: 32
    .workgroup_processor_mode: 1
  - .args:
      - .offset:         0
        .size:           4
        .value_kind:     by_value
      - .actual_access:  read_only
        .address_space:  global
        .offset:         8
        .size:           8
        .value_kind:     global_buffer
      - .actual_access:  read_only
        .address_space:  global
        .offset:         16
        .size:           8
        .value_kind:     global_buffer
      - .offset:         24
        .size:           8
        .value_kind:     by_value
      - .actual_access:  read_only
        .address_space:  global
        .offset:         32
        .size:           8
        .value_kind:     global_buffer
      - .actual_access:  read_only
        .address_space:  global
        .offset:         40
        .size:           8
        .value_kind:     global_buffer
      - .actual_access:  read_only
        .address_space:  global
        .offset:         48
        .size:           8
        .value_kind:     global_buffer
      - .actual_access:  read_only
        .address_space:  global
        .offset:         56
        .size:           8
        .value_kind:     global_buffer
      - .actual_access:  read_only
        .address_space:  global
        .offset:         64
        .size:           8
        .value_kind:     global_buffer
      - .actual_access:  read_only
        .address_space:  global
        .offset:         72
        .size:           8
        .value_kind:     global_buffer
      - .offset:         80
        .size:           8
        .value_kind:     by_value
      - .actual_access:  read_only
        .address_space:  global
        .offset:         88
        .size:           8
        .value_kind:     global_buffer
      - .actual_access:  read_only
        .address_space:  global
        .offset:         96
        .size:           8
        .value_kind:     global_buffer
      - .actual_access:  read_only
        .address_space:  global
        .offset:         104
        .size:           8
        .value_kind:     global_buffer
      - .actual_access:  read_only
        .address_space:  global
        .offset:         112
        .size:           8
        .value_kind:     global_buffer
      - .actual_access:  read_only
        .address_space:  global
        .offset:         120
        .size:           8
        .value_kind:     global_buffer
      - .actual_access:  write_only
        .address_space:  global
        .offset:         128
        .size:           8
        .value_kind:     global_buffer
      - .offset:         136
        .size:           4
        .value_kind:     by_value
      - .offset:         140
        .size:           4
        .value_kind:     by_value
      - .offset:         144
        .size:           4
        .value_kind:     by_value
      - .offset:         148
        .size:           4
        .value_kind:     by_value
      - .offset:         152
        .size:           1
        .value_kind:     by_value
      - .offset:         153
        .size:           1
        .value_kind:     by_value
      - .offset:         154
        .size:           1
        .value_kind:     by_value
    .group_segment_fixed_size: 0
    .kernarg_segment_align: 8
    .kernarg_segment_size: 156
    .language:       OpenCL C
    .language_version:
      - 2
      - 0
    .max_flat_workgroup_size: 1024
    .name:           _ZN9rocsparseL41csrgemm_numeric_fill_block_per_row_kernelILj1024ELj64ELj4096ELj137ELj32ElifEEvT5_PKS1_S3_NS_24const_host_device_scalarIT6_EEPKT4_S3_PKS5_S9_S3_SB_S6_S9_S3_SB_S9_S3_PS5_21rocsparse_index_base_SD_SD_SD_bbb
    .private_segment_fixed_size: 0
    .sgpr_count:     52
    .sgpr_spill_count: 0
    .symbol:         _ZN9rocsparseL41csrgemm_numeric_fill_block_per_row_kernelILj1024ELj64ELj4096ELj137ELj32ElifEEvT5_PKS1_S3_NS_24const_host_device_scalarIT6_EEPKT4_S3_PKS5_S9_S3_SB_S6_S9_S3_SB_S9_S3_PS5_21rocsparse_index_base_SD_SD_SD_bbb.kd
    .uniform_work_group_size: 1
    .uses_dynamic_stack: false
    .vgpr_count:     19
    .vgpr_spill_count: 0
    .wavefront_size: 32
    .workgroup_processor_mode: 1
  - .args:
      - .offset:         0
        .size:           4
        .value_kind:     by_value
      - .actual_access:  read_only
        .address_space:  global
        .offset:         8
        .size:           8
        .value_kind:     global_buffer
      - .actual_access:  read_only
        .address_space:  global
        .offset:         16
        .size:           8
        .value_kind:     global_buffer
      - .offset:         24
        .size:           8
        .value_kind:     by_value
      - .actual_access:  read_only
        .address_space:  global
        .offset:         32
        .size:           8
        .value_kind:     global_buffer
      - .actual_access:  read_only
        .address_space:  global
        .offset:         40
        .size:           8
        .value_kind:     global_buffer
      - .actual_access:  read_only
        .address_space:  global
        .offset:         48
        .size:           8
        .value_kind:     global_buffer
      - .actual_access:  read_only
        .address_space:  global
        .offset:         56
        .size:           8
        .value_kind:     global_buffer
      - .actual_access:  read_only
        .address_space:  global
        .offset:         64
        .size:           8
        .value_kind:     global_buffer
      - .actual_access:  read_only
        .address_space:  global
        .offset:         72
        .size:           8
        .value_kind:     global_buffer
      - .offset:         80
        .size:           8
        .value_kind:     by_value
      - .actual_access:  read_only
        .address_space:  global
        .offset:         88
        .size:           8
        .value_kind:     global_buffer
      - .actual_access:  read_only
        .address_space:  global
        .offset:         96
        .size:           8
        .value_kind:     global_buffer
      - .actual_access:  read_only
        .address_space:  global
        .offset:         104
        .size:           8
        .value_kind:     global_buffer
      - .actual_access:  read_only
        .address_space:  global
        .offset:         112
        .size:           8
        .value_kind:     global_buffer
      - .actual_access:  read_only
        .address_space:  global
        .offset:         120
        .size:           8
        .value_kind:     global_buffer
      - .actual_access:  write_only
        .address_space:  global
        .offset:         128
        .size:           8
        .value_kind:     global_buffer
      - .offset:         136
        .size:           4
        .value_kind:     by_value
      - .offset:         140
        .size:           4
        .value_kind:     by_value
      - .offset:         144
        .size:           4
        .value_kind:     by_value
      - .offset:         148
        .size:           4
        .value_kind:     by_value
      - .offset:         152
        .size:           1
        .value_kind:     by_value
      - .offset:         153
        .size:           1
        .value_kind:     by_value
      - .offset:         154
        .size:           1
        .value_kind:     by_value
    .group_segment_fixed_size: 0
    .kernarg_segment_align: 8
    .kernarg_segment_size: 156
    .language:       OpenCL C
    .language_version:
      - 2
      - 0
    .max_flat_workgroup_size: 1024
    .name:           _ZN9rocsparseL41csrgemm_numeric_fill_block_per_row_kernelILj1024ELj64ELj4096ELj137ELj64ElifEEvT5_PKS1_S3_NS_24const_host_device_scalarIT6_EEPKT4_S3_PKS5_S9_S3_SB_S6_S9_S3_SB_S9_S3_PS5_21rocsparse_index_base_SD_SD_SD_bbb
    .private_segment_fixed_size: 0
    .sgpr_count:     43
    .sgpr_spill_count: 0
    .symbol:         _ZN9rocsparseL41csrgemm_numeric_fill_block_per_row_kernelILj1024ELj64ELj4096ELj137ELj64ElifEEvT5_PKS1_S3_NS_24const_host_device_scalarIT6_EEPKT4_S3_PKS5_S9_S3_SB_S6_S9_S3_SB_S9_S3_PS5_21rocsparse_index_base_SD_SD_SD_bbb.kd
    .uniform_work_group_size: 1
    .uses_dynamic_stack: false
    .vgpr_count:     20
    .vgpr_spill_count: 0
    .wavefront_size: 32
    .workgroup_processor_mode: 1
  - .args:
      - .offset:         0
        .size:           4
        .value_kind:     by_value
      - .actual_access:  read_only
        .address_space:  global
        .offset:         8
        .size:           8
        .value_kind:     global_buffer
      - .actual_access:  read_only
        .address_space:  global
        .offset:         16
        .size:           8
        .value_kind:     global_buffer
      - .offset:         24
        .size:           8
        .value_kind:     by_value
      - .actual_access:  read_only
        .address_space:  global
        .offset:         32
        .size:           8
        .value_kind:     global_buffer
      - .actual_access:  read_only
        .address_space:  global
        .offset:         40
        .size:           8
        .value_kind:     global_buffer
      - .actual_access:  read_only
        .address_space:  global
        .offset:         48
        .size:           8
        .value_kind:     global_buffer
      - .actual_access:  read_only
        .address_space:  global
        .offset:         56
        .size:           8
        .value_kind:     global_buffer
      - .actual_access:  read_only
        .address_space:  global
        .offset:         64
        .size:           8
        .value_kind:     global_buffer
      - .actual_access:  read_only
        .address_space:  global
        .offset:         72
        .size:           8
        .value_kind:     global_buffer
      - .offset:         80
        .size:           8
        .value_kind:     by_value
      - .actual_access:  read_only
        .address_space:  global
        .offset:         88
        .size:           8
        .value_kind:     global_buffer
      - .actual_access:  read_only
        .address_space:  global
        .offset:         96
        .size:           8
        .value_kind:     global_buffer
      - .actual_access:  read_only
        .address_space:  global
        .offset:         104
        .size:           8
        .value_kind:     global_buffer
      - .actual_access:  read_only
        .address_space:  global
        .offset:         112
        .size:           8
        .value_kind:     global_buffer
      - .actual_access:  read_only
        .address_space:  global
        .offset:         120
        .size:           8
        .value_kind:     global_buffer
      - .actual_access:  write_only
        .address_space:  global
        .offset:         128
        .size:           8
        .value_kind:     global_buffer
      - .offset:         136
        .size:           4
        .value_kind:     by_value
      - .offset:         140
        .size:           4
        .value_kind:     by_value
      - .offset:         144
        .size:           4
        .value_kind:     by_value
      - .offset:         148
        .size:           4
        .value_kind:     by_value
      - .offset:         152
        .size:           1
        .value_kind:     by_value
      - .offset:         153
        .size:           1
        .value_kind:     by_value
      - .offset:         154
        .size:           1
        .value_kind:     by_value
    .group_segment_fixed_size: 0
    .kernarg_segment_align: 8
    .kernarg_segment_size: 156
    .language:       OpenCL C
    .language_version:
      - 2
      - 0
    .max_flat_workgroup_size: 1024
    .name:           _ZN9rocsparseL41csrgemm_numeric_fill_block_per_row_kernelILj1024ELj64ELj8192ELj137ELj32ElifEEvT5_PKS1_S3_NS_24const_host_device_scalarIT6_EEPKT4_S3_PKS5_S9_S3_SB_S6_S9_S3_SB_S9_S3_PS5_21rocsparse_index_base_SD_SD_SD_bbb
    .private_segment_fixed_size: 0
    .sgpr_count:     76
    .sgpr_spill_count: 0
    .symbol:         _ZN9rocsparseL41csrgemm_numeric_fill_block_per_row_kernelILj1024ELj64ELj8192ELj137ELj32ElifEEvT5_PKS1_S3_NS_24const_host_device_scalarIT6_EEPKT4_S3_PKS5_S9_S3_SB_S6_S9_S3_SB_S9_S3_PS5_21rocsparse_index_base_SD_SD_SD_bbb.kd
    .uniform_work_group_size: 1
    .uses_dynamic_stack: false
    .vgpr_count:     17
    .vgpr_spill_count: 0
    .wavefront_size: 32
    .workgroup_processor_mode: 1
  - .args:
      - .offset:         0
        .size:           4
        .value_kind:     by_value
      - .actual_access:  read_only
        .address_space:  global
        .offset:         8
        .size:           8
        .value_kind:     global_buffer
      - .actual_access:  read_only
        .address_space:  global
        .offset:         16
        .size:           8
        .value_kind:     global_buffer
      - .offset:         24
        .size:           8
        .value_kind:     by_value
      - .actual_access:  read_only
        .address_space:  global
        .offset:         32
        .size:           8
        .value_kind:     global_buffer
      - .actual_access:  read_only
        .address_space:  global
        .offset:         40
        .size:           8
        .value_kind:     global_buffer
      - .actual_access:  read_only
        .address_space:  global
        .offset:         48
        .size:           8
        .value_kind:     global_buffer
      - .actual_access:  read_only
        .address_space:  global
        .offset:         56
        .size:           8
        .value_kind:     global_buffer
      - .actual_access:  read_only
        .address_space:  global
        .offset:         64
        .size:           8
        .value_kind:     global_buffer
      - .actual_access:  read_only
        .address_space:  global
        .offset:         72
        .size:           8
        .value_kind:     global_buffer
      - .offset:         80
        .size:           8
        .value_kind:     by_value
      - .actual_access:  read_only
        .address_space:  global
        .offset:         88
        .size:           8
        .value_kind:     global_buffer
      - .actual_access:  read_only
        .address_space:  global
        .offset:         96
        .size:           8
        .value_kind:     global_buffer
      - .actual_access:  read_only
        .address_space:  global
        .offset:         104
        .size:           8
        .value_kind:     global_buffer
      - .actual_access:  read_only
        .address_space:  global
        .offset:         112
        .size:           8
        .value_kind:     global_buffer
      - .actual_access:  read_only
        .address_space:  global
        .offset:         120
        .size:           8
        .value_kind:     global_buffer
      - .actual_access:  write_only
        .address_space:  global
        .offset:         128
        .size:           8
        .value_kind:     global_buffer
      - .offset:         136
        .size:           4
        .value_kind:     by_value
      - .offset:         140
        .size:           4
        .value_kind:     by_value
      - .offset:         144
        .size:           4
        .value_kind:     by_value
      - .offset:         148
        .size:           4
        .value_kind:     by_value
      - .offset:         152
        .size:           1
        .value_kind:     by_value
      - .offset:         153
        .size:           1
        .value_kind:     by_value
      - .offset:         154
        .size:           1
        .value_kind:     by_value
    .group_segment_fixed_size: 0
    .kernarg_segment_align: 8
    .kernarg_segment_size: 156
    .language:       OpenCL C
    .language_version:
      - 2
      - 0
    .max_flat_workgroup_size: 1024
    .name:           _ZN9rocsparseL41csrgemm_numeric_fill_block_per_row_kernelILj1024ELj64ELj8192ELj137ELj64ElifEEvT5_PKS1_S3_NS_24const_host_device_scalarIT6_EEPKT4_S3_PKS5_S9_S3_SB_S6_S9_S3_SB_S9_S3_PS5_21rocsparse_index_base_SD_SD_SD_bbb
    .private_segment_fixed_size: 0
    .sgpr_count:     44
    .sgpr_spill_count: 0
    .symbol:         _ZN9rocsparseL41csrgemm_numeric_fill_block_per_row_kernelILj1024ELj64ELj8192ELj137ELj64ElifEEvT5_PKS1_S3_NS_24const_host_device_scalarIT6_EEPKT4_S3_PKS5_S9_S3_SB_S6_S9_S3_SB_S9_S3_PS5_21rocsparse_index_base_SD_SD_SD_bbb.kd
    .uniform_work_group_size: 1
    .uses_dynamic_stack: false
    .vgpr_count:     18
    .vgpr_spill_count: 0
    .wavefront_size: 32
    .workgroup_processor_mode: 1
  - .args:
      - .offset:         0
        .size:           4
        .value_kind:     by_value
      - .actual_access:  read_only
        .address_space:  global
        .offset:         8
        .size:           8
        .value_kind:     global_buffer
      - .actual_access:  read_only
        .address_space:  global
        .offset:         16
        .size:           8
        .value_kind:     global_buffer
      - .offset:         24
        .size:           8
        .value_kind:     by_value
      - .actual_access:  read_only
        .address_space:  global
        .offset:         32
        .size:           8
        .value_kind:     global_buffer
      - .actual_access:  read_only
        .address_space:  global
        .offset:         40
        .size:           8
        .value_kind:     global_buffer
      - .actual_access:  read_only
        .address_space:  global
        .offset:         48
        .size:           8
        .value_kind:     global_buffer
      - .actual_access:  read_only
        .address_space:  global
        .offset:         56
        .size:           8
        .value_kind:     global_buffer
      - .actual_access:  read_only
        .address_space:  global
        .offset:         64
        .size:           8
        .value_kind:     global_buffer
      - .actual_access:  read_only
        .address_space:  global
        .offset:         72
        .size:           8
        .value_kind:     global_buffer
      - .offset:         80
        .size:           8
        .value_kind:     by_value
      - .actual_access:  read_only
        .address_space:  global
        .offset:         88
        .size:           8
        .value_kind:     global_buffer
      - .actual_access:  read_only
        .address_space:  global
        .offset:         96
        .size:           8
        .value_kind:     global_buffer
      - .actual_access:  read_only
        .address_space:  global
        .offset:         104
        .size:           8
        .value_kind:     global_buffer
      - .actual_access:  read_only
        .address_space:  global
        .offset:         112
        .size:           8
        .value_kind:     global_buffer
      - .actual_access:  read_only
        .address_space:  global
        .offset:         120
        .size:           8
        .value_kind:     global_buffer
      - .actual_access:  write_only
        .address_space:  global
        .offset:         128
        .size:           8
        .value_kind:     global_buffer
      - .offset:         136
        .size:           4
        .value_kind:     by_value
      - .offset:         140
        .size:           4
        .value_kind:     by_value
      - .offset:         144
        .size:           4
        .value_kind:     by_value
      - .offset:         148
        .size:           4
        .value_kind:     by_value
      - .offset:         152
        .size:           1
        .value_kind:     by_value
      - .offset:         153
        .size:           1
        .value_kind:     by_value
      - .offset:         154
        .size:           1
        .value_kind:     by_value
    .group_segment_fixed_size: 0
    .kernarg_segment_align: 8
    .kernarg_segment_size: 156
    .language:       OpenCL C
    .language_version:
      - 2
      - 0
    .max_flat_workgroup_size: 1024
    .name:           _ZN9rocsparseL41csrgemm_numeric_fill_block_per_row_kernelILj1024ELj64ELj16384ELj137ELj32ElifEEvT5_PKS1_S3_NS_24const_host_device_scalarIT6_EEPKT4_S3_PKS5_S9_S3_SB_S6_S9_S3_SB_S9_S3_PS5_21rocsparse_index_base_SD_SD_SD_bbb
    .private_segment_fixed_size: 0
    .sgpr_count:     76
    .sgpr_spill_count: 0
    .symbol:         _ZN9rocsparseL41csrgemm_numeric_fill_block_per_row_kernelILj1024ELj64ELj16384ELj137ELj32ElifEEvT5_PKS1_S3_NS_24const_host_device_scalarIT6_EEPKT4_S3_PKS5_S9_S3_SB_S6_S9_S3_SB_S9_S3_PS5_21rocsparse_index_base_SD_SD_SD_bbb.kd
    .uniform_work_group_size: 1
    .uses_dynamic_stack: false
    .vgpr_count:     19
    .vgpr_spill_count: 0
    .wavefront_size: 32
    .workgroup_processor_mode: 1
  - .args:
      - .offset:         0
        .size:           4
        .value_kind:     by_value
      - .actual_access:  read_only
        .address_space:  global
        .offset:         8
        .size:           8
        .value_kind:     global_buffer
      - .actual_access:  read_only
        .address_space:  global
        .offset:         16
        .size:           8
        .value_kind:     global_buffer
      - .offset:         24
        .size:           8
        .value_kind:     by_value
      - .actual_access:  read_only
        .address_space:  global
        .offset:         32
        .size:           8
        .value_kind:     global_buffer
      - .actual_access:  read_only
        .address_space:  global
        .offset:         40
        .size:           8
        .value_kind:     global_buffer
      - .actual_access:  read_only
        .address_space:  global
        .offset:         48
        .size:           8
        .value_kind:     global_buffer
      - .actual_access:  read_only
        .address_space:  global
        .offset:         56
        .size:           8
        .value_kind:     global_buffer
      - .actual_access:  read_only
        .address_space:  global
        .offset:         64
        .size:           8
        .value_kind:     global_buffer
      - .actual_access:  read_only
        .address_space:  global
        .offset:         72
        .size:           8
        .value_kind:     global_buffer
      - .offset:         80
        .size:           8
        .value_kind:     by_value
      - .actual_access:  read_only
        .address_space:  global
        .offset:         88
        .size:           8
        .value_kind:     global_buffer
      - .actual_access:  read_only
        .address_space:  global
        .offset:         96
        .size:           8
        .value_kind:     global_buffer
      - .actual_access:  read_only
        .address_space:  global
        .offset:         104
        .size:           8
        .value_kind:     global_buffer
      - .actual_access:  read_only
        .address_space:  global
        .offset:         112
        .size:           8
        .value_kind:     global_buffer
      - .actual_access:  read_only
        .address_space:  global
        .offset:         120
        .size:           8
        .value_kind:     global_buffer
      - .actual_access:  write_only
        .address_space:  global
        .offset:         128
        .size:           8
        .value_kind:     global_buffer
      - .offset:         136
        .size:           4
        .value_kind:     by_value
      - .offset:         140
        .size:           4
        .value_kind:     by_value
      - .offset:         144
        .size:           4
        .value_kind:     by_value
      - .offset:         148
        .size:           4
        .value_kind:     by_value
      - .offset:         152
        .size:           1
        .value_kind:     by_value
      - .offset:         153
        .size:           1
        .value_kind:     by_value
      - .offset:         154
        .size:           1
        .value_kind:     by_value
    .group_segment_fixed_size: 0
    .kernarg_segment_align: 8
    .kernarg_segment_size: 156
    .language:       OpenCL C
    .language_version:
      - 2
      - 0
    .max_flat_workgroup_size: 1024
    .name:           _ZN9rocsparseL41csrgemm_numeric_fill_block_per_row_kernelILj1024ELj64ELj16384ELj137ELj64ElifEEvT5_PKS1_S3_NS_24const_host_device_scalarIT6_EEPKT4_S3_PKS5_S9_S3_SB_S6_S9_S3_SB_S9_S3_PS5_21rocsparse_index_base_SD_SD_SD_bbb
    .private_segment_fixed_size: 0
    .sgpr_count:     44
    .sgpr_spill_count: 0
    .symbol:         _ZN9rocsparseL41csrgemm_numeric_fill_block_per_row_kernelILj1024ELj64ELj16384ELj137ELj64ElifEEvT5_PKS1_S3_NS_24const_host_device_scalarIT6_EEPKT4_S3_PKS5_S9_S3_SB_S6_S9_S3_SB_S9_S3_PS5_21rocsparse_index_base_SD_SD_SD_bbb.kd
    .uniform_work_group_size: 1
    .uses_dynamic_stack: false
    .vgpr_count:     20
    .vgpr_spill_count: 0
    .wavefront_size: 32
    .workgroup_processor_mode: 1
  - .args:
      - .offset:         0
        .size:           4
        .value_kind:     by_value
      - .actual_access:  read_only
        .address_space:  global
        .offset:         8
        .size:           8
        .value_kind:     global_buffer
      - .actual_access:  read_only
        .address_space:  global
        .offset:         16
        .size:           8
        .value_kind:     global_buffer
      - .offset:         24
        .size:           8
        .value_kind:     by_value
      - .actual_access:  read_only
        .address_space:  global
        .offset:         32
        .size:           8
        .value_kind:     global_buffer
      - .actual_access:  read_only
        .address_space:  global
        .offset:         40
        .size:           8
        .value_kind:     global_buffer
      - .actual_access:  read_only
        .address_space:  global
        .offset:         48
        .size:           8
        .value_kind:     global_buffer
      - .actual_access:  read_only
        .address_space:  global
        .offset:         56
        .size:           8
        .value_kind:     global_buffer
      - .actual_access:  read_only
        .address_space:  global
        .offset:         64
        .size:           8
        .value_kind:     global_buffer
      - .actual_access:  read_only
        .address_space:  global
        .offset:         72
        .size:           8
        .value_kind:     global_buffer
      - .offset:         80
        .size:           8
        .value_kind:     by_value
      - .actual_access:  read_only
        .address_space:  global
        .offset:         88
        .size:           8
        .value_kind:     global_buffer
      - .actual_access:  read_only
        .address_space:  global
        .offset:         96
        .size:           8
        .value_kind:     global_buffer
      - .actual_access:  read_only
        .address_space:  global
        .offset:         104
        .size:           8
        .value_kind:     global_buffer
      - .actual_access:  read_only
        .address_space:  global
        .offset:         112
        .size:           8
        .value_kind:     global_buffer
      - .actual_access:  read_only
        .address_space:  global
        .offset:         120
        .size:           8
        .value_kind:     global_buffer
      - .actual_access:  write_only
        .address_space:  global
        .offset:         128
        .size:           8
        .value_kind:     global_buffer
      - .offset:         136
        .size:           4
        .value_kind:     by_value
      - .offset:         140
        .size:           4
        .value_kind:     by_value
      - .offset:         144
        .size:           4
        .value_kind:     by_value
      - .offset:         148
        .size:           4
        .value_kind:     by_value
      - .offset:         152
        .size:           1
        .value_kind:     by_value
      - .offset:         153
        .size:           1
        .value_kind:     by_value
      - .offset:         154
        .size:           1
        .value_kind:     by_value
    .group_segment_fixed_size: 0
    .kernarg_segment_align: 8
    .kernarg_segment_size: 156
    .language:       OpenCL C
    .language_version:
      - 2
      - 0
    .max_flat_workgroup_size: 1024
    .name:           _ZN9rocsparseL41csrgemm_numeric_fill_block_per_row_kernelILj1024ELj64ELj32768ELj137ELj32ElifEEvT5_PKS1_S3_NS_24const_host_device_scalarIT6_EEPKT4_S3_PKS5_S9_S3_SB_S6_S9_S3_SB_S9_S3_PS5_21rocsparse_index_base_SD_SD_SD_bbb
    .private_segment_fixed_size: 0
    .sgpr_count:     76
    .sgpr_spill_count: 0
    .symbol:         _ZN9rocsparseL41csrgemm_numeric_fill_block_per_row_kernelILj1024ELj64ELj32768ELj137ELj32ElifEEvT5_PKS1_S3_NS_24const_host_device_scalarIT6_EEPKT4_S3_PKS5_S9_S3_SB_S6_S9_S3_SB_S9_S3_PS5_21rocsparse_index_base_SD_SD_SD_bbb.kd
    .uniform_work_group_size: 1
    .uses_dynamic_stack: false
    .vgpr_count:     19
    .vgpr_spill_count: 0
    .wavefront_size: 32
    .workgroup_processor_mode: 1
  - .args:
      - .offset:         0
        .size:           4
        .value_kind:     by_value
      - .actual_access:  read_only
        .address_space:  global
        .offset:         8
        .size:           8
        .value_kind:     global_buffer
      - .actual_access:  read_only
        .address_space:  global
        .offset:         16
        .size:           8
        .value_kind:     global_buffer
      - .offset:         24
        .size:           8
        .value_kind:     by_value
      - .actual_access:  read_only
        .address_space:  global
        .offset:         32
        .size:           8
        .value_kind:     global_buffer
      - .actual_access:  read_only
        .address_space:  global
        .offset:         40
        .size:           8
        .value_kind:     global_buffer
      - .actual_access:  read_only
        .address_space:  global
        .offset:         48
        .size:           8
        .value_kind:     global_buffer
      - .actual_access:  read_only
        .address_space:  global
        .offset:         56
        .size:           8
        .value_kind:     global_buffer
      - .actual_access:  read_only
        .address_space:  global
        .offset:         64
        .size:           8
        .value_kind:     global_buffer
      - .actual_access:  read_only
        .address_space:  global
        .offset:         72
        .size:           8
        .value_kind:     global_buffer
      - .offset:         80
        .size:           8
        .value_kind:     by_value
      - .actual_access:  read_only
        .address_space:  global
        .offset:         88
        .size:           8
        .value_kind:     global_buffer
      - .actual_access:  read_only
        .address_space:  global
        .offset:         96
        .size:           8
        .value_kind:     global_buffer
      - .actual_access:  read_only
        .address_space:  global
        .offset:         104
        .size:           8
        .value_kind:     global_buffer
      - .actual_access:  read_only
        .address_space:  global
        .offset:         112
        .size:           8
        .value_kind:     global_buffer
      - .actual_access:  read_only
        .address_space:  global
        .offset:         120
        .size:           8
        .value_kind:     global_buffer
      - .actual_access:  write_only
        .address_space:  global
        .offset:         128
        .size:           8
        .value_kind:     global_buffer
      - .offset:         136
        .size:           4
        .value_kind:     by_value
      - .offset:         140
        .size:           4
        .value_kind:     by_value
      - .offset:         144
        .size:           4
        .value_kind:     by_value
      - .offset:         148
        .size:           4
        .value_kind:     by_value
      - .offset:         152
        .size:           1
        .value_kind:     by_value
      - .offset:         153
        .size:           1
        .value_kind:     by_value
      - .offset:         154
        .size:           1
        .value_kind:     by_value
    .group_segment_fixed_size: 0
    .kernarg_segment_align: 8
    .kernarg_segment_size: 156
    .language:       OpenCL C
    .language_version:
      - 2
      - 0
    .max_flat_workgroup_size: 1024
    .name:           _ZN9rocsparseL41csrgemm_numeric_fill_block_per_row_kernelILj1024ELj64ELj32768ELj137ELj64ElifEEvT5_PKS1_S3_NS_24const_host_device_scalarIT6_EEPKT4_S3_PKS5_S9_S3_SB_S6_S9_S3_SB_S9_S3_PS5_21rocsparse_index_base_SD_SD_SD_bbb
    .private_segment_fixed_size: 0
    .sgpr_count:     44
    .sgpr_spill_count: 0
    .symbol:         _ZN9rocsparseL41csrgemm_numeric_fill_block_per_row_kernelILj1024ELj64ELj32768ELj137ELj64ElifEEvT5_PKS1_S3_NS_24const_host_device_scalarIT6_EEPKT4_S3_PKS5_S9_S3_SB_S6_S9_S3_SB_S9_S3_PS5_21rocsparse_index_base_SD_SD_SD_bbb.kd
    .uniform_work_group_size: 1
    .uses_dynamic_stack: false
    .vgpr_count:     20
    .vgpr_spill_count: 0
    .wavefront_size: 32
    .workgroup_processor_mode: 1
  - .args:
      - .offset:         0
        .size:           4
        .value_kind:     by_value
      - .actual_access:  read_only
        .address_space:  global
        .offset:         8
        .size:           8
        .value_kind:     global_buffer
      - .actual_access:  read_only
        .address_space:  global
        .offset:         16
        .size:           8
        .value_kind:     global_buffer
      - .offset:         24
        .size:           8
        .value_kind:     by_value
      - .actual_access:  read_only
        .address_space:  global
        .offset:         32
        .size:           8
        .value_kind:     global_buffer
      - .actual_access:  read_only
        .address_space:  global
        .offset:         40
        .size:           8
        .value_kind:     global_buffer
      - .actual_access:  read_only
        .address_space:  global
        .offset:         48
        .size:           8
        .value_kind:     global_buffer
      - .actual_access:  read_only
        .address_space:  global
        .offset:         56
        .size:           8
        .value_kind:     global_buffer
      - .actual_access:  read_only
        .address_space:  global
        .offset:         64
        .size:           8
        .value_kind:     global_buffer
      - .actual_access:  read_only
        .address_space:  global
        .offset:         72
        .size:           8
        .value_kind:     global_buffer
      - .offset:         80
        .size:           8
        .value_kind:     by_value
      - .actual_access:  read_only
        .address_space:  global
        .offset:         88
        .size:           8
        .value_kind:     global_buffer
      - .actual_access:  read_only
        .address_space:  global
        .offset:         96
        .size:           8
        .value_kind:     global_buffer
      - .actual_access:  read_only
        .address_space:  global
        .offset:         104
        .size:           8
        .value_kind:     global_buffer
      - .actual_access:  read_only
        .address_space:  global
        .offset:         112
        .size:           8
        .value_kind:     global_buffer
      - .actual_access:  read_only
        .address_space:  global
        .offset:         120
        .size:           8
        .value_kind:     global_buffer
      - .actual_access:  write_only
        .address_space:  global
        .offset:         128
        .size:           8
        .value_kind:     global_buffer
      - .address_space:  global
        .offset:         136
        .size:           8
        .value_kind:     global_buffer
      - .offset:         144
        .size:           4
        .value_kind:     by_value
      - .offset:         148
        .size:           4
        .value_kind:     by_value
      - .offset:         152
        .size:           4
        .value_kind:     by_value
      - .offset:         156
        .size:           4
        .value_kind:     by_value
      - .offset:         160
        .size:           1
        .value_kind:     by_value
      - .offset:         161
        .size:           1
        .value_kind:     by_value
      - .offset:         162
        .size:           1
        .value_kind:     by_value
    .group_segment_fixed_size: 10244
    .kernarg_segment_align: 8
    .kernarg_segment_size: 164
    .language:       OpenCL C
    .language_version:
      - 2
      - 0
    .max_flat_workgroup_size: 512
    .name:           _ZN9rocsparseL51csrgemm_numeric_fill_block_per_row_multipass_kernelILj512ELj16ELj2048ELj32ElifEEvT4_PKS1_S3_NS_24const_host_device_scalarIT5_EEPKT3_S3_PKS5_S9_S3_SB_S6_S9_S3_SB_S9_S3_PS5_PS7_21rocsparse_index_base_SE_SE_SE_bbb
    .private_segment_fixed_size: 0
    .sgpr_count:     64
    .sgpr_spill_count: 0
    .symbol:         _ZN9rocsparseL51csrgemm_numeric_fill_block_per_row_multipass_kernelILj512ELj16ELj2048ELj32ElifEEvT4_PKS1_S3_NS_24const_host_device_scalarIT5_EEPKT3_S3_PKS5_S9_S3_SB_S6_S9_S3_SB_S9_S3_PS5_PS7_21rocsparse_index_base_SE_SE_SE_bbb.kd
    .uniform_work_group_size: 1
    .uses_dynamic_stack: false
    .vgpr_count:     42
    .vgpr_spill_count: 0
    .wavefront_size: 32
    .workgroup_processor_mode: 1
  - .args:
      - .offset:         0
        .size:           4
        .value_kind:     by_value
      - .actual_access:  read_only
        .address_space:  global
        .offset:         8
        .size:           8
        .value_kind:     global_buffer
      - .actual_access:  read_only
        .address_space:  global
        .offset:         16
        .size:           8
        .value_kind:     global_buffer
      - .offset:         24
        .size:           8
        .value_kind:     by_value
      - .actual_access:  read_only
        .address_space:  global
        .offset:         32
        .size:           8
        .value_kind:     global_buffer
      - .actual_access:  read_only
        .address_space:  global
        .offset:         40
        .size:           8
        .value_kind:     global_buffer
      - .actual_access:  read_only
        .address_space:  global
        .offset:         48
        .size:           8
        .value_kind:     global_buffer
      - .actual_access:  read_only
        .address_space:  global
        .offset:         56
        .size:           8
        .value_kind:     global_buffer
      - .actual_access:  read_only
        .address_space:  global
        .offset:         64
        .size:           8
        .value_kind:     global_buffer
      - .actual_access:  read_only
        .address_space:  global
        .offset:         72
        .size:           8
        .value_kind:     global_buffer
      - .offset:         80
        .size:           8
        .value_kind:     by_value
      - .actual_access:  read_only
        .address_space:  global
        .offset:         88
        .size:           8
        .value_kind:     global_buffer
      - .actual_access:  read_only
        .address_space:  global
        .offset:         96
        .size:           8
        .value_kind:     global_buffer
      - .actual_access:  read_only
        .address_space:  global
        .offset:         104
        .size:           8
        .value_kind:     global_buffer
      - .actual_access:  read_only
        .address_space:  global
        .offset:         112
        .size:           8
        .value_kind:     global_buffer
      - .actual_access:  read_only
        .address_space:  global
        .offset:         120
        .size:           8
        .value_kind:     global_buffer
      - .actual_access:  write_only
        .address_space:  global
        .offset:         128
        .size:           8
        .value_kind:     global_buffer
      - .address_space:  global
        .offset:         136
        .size:           8
        .value_kind:     global_buffer
      - .offset:         144
        .size:           4
        .value_kind:     by_value
      - .offset:         148
        .size:           4
        .value_kind:     by_value
      - .offset:         152
        .size:           4
        .value_kind:     by_value
      - .offset:         156
        .size:           4
        .value_kind:     by_value
      - .offset:         160
        .size:           1
        .value_kind:     by_value
      - .offset:         161
        .size:           1
        .value_kind:     by_value
      - .offset:         162
        .size:           1
        .value_kind:     by_value
    .group_segment_fixed_size: 10244
    .kernarg_segment_align: 8
    .kernarg_segment_size: 164
    .language:       OpenCL C
    .language_version:
      - 2
      - 0
    .max_flat_workgroup_size: 512
    .name:           _ZN9rocsparseL51csrgemm_numeric_fill_block_per_row_multipass_kernelILj512ELj16ELj2048ELj64ElifEEvT4_PKS1_S3_NS_24const_host_device_scalarIT5_EEPKT3_S3_PKS5_S9_S3_SB_S6_S9_S3_SB_S9_S3_PS5_PS7_21rocsparse_index_base_SE_SE_SE_bbb
    .private_segment_fixed_size: 0
    .sgpr_count:     56
    .sgpr_spill_count: 0
    .symbol:         _ZN9rocsparseL51csrgemm_numeric_fill_block_per_row_multipass_kernelILj512ELj16ELj2048ELj64ElifEEvT4_PKS1_S3_NS_24const_host_device_scalarIT5_EEPKT3_S3_PKS5_S9_S3_SB_S6_S9_S3_SB_S9_S3_PS5_PS7_21rocsparse_index_base_SE_SE_SE_bbb.kd
    .uniform_work_group_size: 1
    .uses_dynamic_stack: false
    .vgpr_count:     42
    .vgpr_spill_count: 0
    .wavefront_size: 32
    .workgroup_processor_mode: 1
  - .args:
      - .offset:         0
        .size:           4
        .value_kind:     by_value
      - .offset:         4
        .size:           4
        .value_kind:     by_value
      - .actual_access:  read_only
        .address_space:  global
        .offset:         8
        .size:           8
        .value_kind:     global_buffer
      - .actual_access:  read_only
        .address_space:  global
        .offset:         16
        .size:           8
        .value_kind:     global_buffer
      - .offset:         24
        .size:           8
        .value_kind:     by_value
      - .actual_access:  read_only
        .address_space:  global
        .offset:         32
        .size:           8
        .value_kind:     global_buffer
      - .actual_access:  read_only
        .address_space:  global
        .offset:         40
        .size:           8
        .value_kind:     global_buffer
      - .actual_access:  read_only
        .address_space:  global
        .offset:         48
        .size:           8
        .value_kind:     global_buffer
      - .actual_access:  read_only
        .address_space:  global
        .offset:         56
        .size:           8
        .value_kind:     global_buffer
      - .actual_access:  read_only
        .address_space:  global
        .offset:         64
        .size:           8
        .value_kind:     global_buffer
      - .actual_access:  read_only
        .address_space:  global
        .offset:         72
        .size:           8
        .value_kind:     global_buffer
      - .offset:         80
        .size:           8
        .value_kind:     by_value
      - .actual_access:  read_only
        .address_space:  global
        .offset:         88
        .size:           8
        .value_kind:     global_buffer
      - .actual_access:  read_only
        .address_space:  global
        .offset:         96
        .size:           8
        .value_kind:     global_buffer
      - .actual_access:  read_only
        .address_space:  global
        .offset:         104
        .size:           8
        .value_kind:     global_buffer
      - .actual_access:  read_only
        .address_space:  global
        .offset:         112
        .size:           8
        .value_kind:     global_buffer
      - .actual_access:  read_only
        .address_space:  global
        .offset:         120
        .size:           8
        .value_kind:     global_buffer
      - .actual_access:  write_only
        .address_space:  global
        .offset:         128
        .size:           8
        .value_kind:     global_buffer
      - .offset:         136
        .size:           4
        .value_kind:     by_value
      - .offset:         140
        .size:           4
        .value_kind:     by_value
      - .offset:         144
        .size:           4
        .value_kind:     by_value
      - .offset:         148
        .size:           4
        .value_kind:     by_value
      - .offset:         152
        .size:           1
        .value_kind:     by_value
      - .offset:         153
        .size:           1
        .value_kind:     by_value
      - .offset:         154
        .size:           1
        .value_kind:     by_value
    .group_segment_fixed_size: 6144
    .kernarg_segment_align: 8
    .kernarg_segment_size: 156
    .language:       OpenCL C
    .language_version:
      - 2
      - 0
    .max_flat_workgroup_size: 256
    .name:           _ZN9rocsparseL38csrgemm_numeric_fill_wf_per_row_kernelILj256ELj8ELj16ELj137ElidEEvT4_S1_PKS1_S3_NS_24const_host_device_scalarIT5_EEPKT3_S3_PKS5_S9_S3_SB_S6_S9_S3_SB_S9_S3_PS5_21rocsparse_index_base_SD_SD_SD_bbb
    .private_segment_fixed_size: 0
    .sgpr_count:     44
    .sgpr_spill_count: 0
    .symbol:         _ZN9rocsparseL38csrgemm_numeric_fill_wf_per_row_kernelILj256ELj8ELj16ELj137ElidEEvT4_S1_PKS1_S3_NS_24const_host_device_scalarIT5_EEPKT3_S3_PKS5_S9_S3_SB_S6_S9_S3_SB_S9_S3_PS5_21rocsparse_index_base_SD_SD_SD_bbb.kd
    .uniform_work_group_size: 1
    .uses_dynamic_stack: false
    .vgpr_count:     31
    .vgpr_spill_count: 0
    .wavefront_size: 32
    .workgroup_processor_mode: 1
  - .args:
      - .offset:         0
        .size:           4
        .value_kind:     by_value
      - .offset:         4
        .size:           4
        .value_kind:     by_value
      - .actual_access:  read_only
        .address_space:  global
        .offset:         8
        .size:           8
        .value_kind:     global_buffer
      - .actual_access:  read_only
        .address_space:  global
        .offset:         16
        .size:           8
        .value_kind:     global_buffer
      - .offset:         24
        .size:           8
        .value_kind:     by_value
      - .actual_access:  read_only
        .address_space:  global
        .offset:         32
        .size:           8
        .value_kind:     global_buffer
      - .actual_access:  read_only
        .address_space:  global
        .offset:         40
        .size:           8
        .value_kind:     global_buffer
      - .actual_access:  read_only
        .address_space:  global
        .offset:         48
        .size:           8
        .value_kind:     global_buffer
      - .actual_access:  read_only
        .address_space:  global
        .offset:         56
        .size:           8
        .value_kind:     global_buffer
      - .actual_access:  read_only
        .address_space:  global
        .offset:         64
        .size:           8
        .value_kind:     global_buffer
      - .actual_access:  read_only
        .address_space:  global
        .offset:         72
        .size:           8
        .value_kind:     global_buffer
      - .offset:         80
        .size:           8
        .value_kind:     by_value
      - .actual_access:  read_only
        .address_space:  global
        .offset:         88
        .size:           8
        .value_kind:     global_buffer
      - .actual_access:  read_only
        .address_space:  global
        .offset:         96
        .size:           8
        .value_kind:     global_buffer
      - .actual_access:  read_only
        .address_space:  global
        .offset:         104
        .size:           8
        .value_kind:     global_buffer
      - .actual_access:  read_only
        .address_space:  global
        .offset:         112
        .size:           8
        .value_kind:     global_buffer
      - .actual_access:  read_only
        .address_space:  global
        .offset:         120
        .size:           8
        .value_kind:     global_buffer
      - .actual_access:  write_only
        .address_space:  global
        .offset:         128
        .size:           8
        .value_kind:     global_buffer
      - .offset:         136
        .size:           4
        .value_kind:     by_value
      - .offset:         140
        .size:           4
        .value_kind:     by_value
      - .offset:         144
        .size:           4
        .value_kind:     by_value
      - .offset:         148
        .size:           4
        .value_kind:     by_value
      - .offset:         152
        .size:           1
        .value_kind:     by_value
      - .offset:         153
        .size:           1
        .value_kind:     by_value
      - .offset:         154
        .size:           1
        .value_kind:     by_value
    .group_segment_fixed_size: 6144
    .kernarg_segment_align: 8
    .kernarg_segment_size: 156
    .language:       OpenCL C
    .language_version:
      - 2
      - 0
    .max_flat_workgroup_size: 256
    .name:           _ZN9rocsparseL38csrgemm_numeric_fill_wf_per_row_kernelILj256ELj16ELj32ELj137ElidEEvT4_S1_PKS1_S3_NS_24const_host_device_scalarIT5_EEPKT3_S3_PKS5_S9_S3_SB_S6_S9_S3_SB_S9_S3_PS5_21rocsparse_index_base_SD_SD_SD_bbb
    .private_segment_fixed_size: 0
    .sgpr_count:     44
    .sgpr_spill_count: 0
    .symbol:         _ZN9rocsparseL38csrgemm_numeric_fill_wf_per_row_kernelILj256ELj16ELj32ELj137ElidEEvT4_S1_PKS1_S3_NS_24const_host_device_scalarIT5_EEPKT3_S3_PKS5_S9_S3_SB_S6_S9_S3_SB_S9_S3_PS5_21rocsparse_index_base_SD_SD_SD_bbb.kd
    .uniform_work_group_size: 1
    .uses_dynamic_stack: false
    .vgpr_count:     42
    .vgpr_spill_count: 0
    .wavefront_size: 32
    .workgroup_processor_mode: 1
  - .args:
      - .offset:         0
        .size:           4
        .value_kind:     by_value
      - .actual_access:  read_only
        .address_space:  global
        .offset:         8
        .size:           8
        .value_kind:     global_buffer
      - .actual_access:  read_only
        .address_space:  global
        .offset:         16
        .size:           8
        .value_kind:     global_buffer
      - .offset:         24
        .size:           8
        .value_kind:     by_value
      - .actual_access:  read_only
        .address_space:  global
        .offset:         32
        .size:           8
        .value_kind:     global_buffer
      - .actual_access:  read_only
        .address_space:  global
        .offset:         40
        .size:           8
        .value_kind:     global_buffer
      - .actual_access:  read_only
        .address_space:  global
        .offset:         48
        .size:           8
        .value_kind:     global_buffer
      - .actual_access:  read_only
        .address_space:  global
        .offset:         56
        .size:           8
        .value_kind:     global_buffer
      - .actual_access:  read_only
        .address_space:  global
        .offset:         64
        .size:           8
        .value_kind:     global_buffer
      - .actual_access:  read_only
        .address_space:  global
        .offset:         72
        .size:           8
        .value_kind:     global_buffer
      - .offset:         80
        .size:           8
        .value_kind:     by_value
      - .actual_access:  read_only
        .address_space:  global
        .offset:         88
        .size:           8
        .value_kind:     global_buffer
      - .actual_access:  read_only
        .address_space:  global
        .offset:         96
        .size:           8
        .value_kind:     global_buffer
      - .actual_access:  read_only
        .address_space:  global
        .offset:         104
        .size:           8
        .value_kind:     global_buffer
      - .actual_access:  read_only
        .address_space:  global
        .offset:         112
        .size:           8
        .value_kind:     global_buffer
      - .actual_access:  read_only
        .address_space:  global
        .offset:         120
        .size:           8
        .value_kind:     global_buffer
      - .actual_access:  write_only
        .address_space:  global
        .offset:         128
        .size:           8
        .value_kind:     global_buffer
      - .offset:         136
        .size:           4
        .value_kind:     by_value
      - .offset:         140
        .size:           4
        .value_kind:     by_value
      - .offset:         144
        .size:           4
        .value_kind:     by_value
      - .offset:         148
        .size:           4
        .value_kind:     by_value
      - .offset:         152
        .size:           1
        .value_kind:     by_value
      - .offset:         153
        .size:           1
        .value_kind:     by_value
      - .offset:         154
        .size:           1
        .value_kind:     by_value
    .group_segment_fixed_size: 0
    .kernarg_segment_align: 8
    .kernarg_segment_size: 156
    .language:       OpenCL C
    .language_version:
      - 2
      - 0
    .max_flat_workgroup_size: 128
    .name:           _ZN9rocsparseL41csrgemm_numeric_fill_block_per_row_kernelILj128ELj16ELj256ELj137ELj32ElidEEvT5_PKS1_S3_NS_24const_host_device_scalarIT6_EEPKT4_S3_PKS5_S9_S3_SB_S6_S9_S3_SB_S9_S3_PS5_21rocsparse_index_base_SD_SD_SD_bbb
    .private_segment_fixed_size: 0
    .sgpr_count:     44
    .sgpr_spill_count: 0
    .symbol:         _ZN9rocsparseL41csrgemm_numeric_fill_block_per_row_kernelILj128ELj16ELj256ELj137ELj32ElidEEvT5_PKS1_S3_NS_24const_host_device_scalarIT6_EEPKT4_S3_PKS5_S9_S3_SB_S6_S9_S3_SB_S9_S3_PS5_21rocsparse_index_base_SD_SD_SD_bbb.kd
    .uniform_work_group_size: 1
    .uses_dynamic_stack: false
    .vgpr_count:     27
    .vgpr_spill_count: 0
    .wavefront_size: 32
    .workgroup_processor_mode: 1
  - .args:
      - .offset:         0
        .size:           4
        .value_kind:     by_value
      - .actual_access:  read_only
        .address_space:  global
        .offset:         8
        .size:           8
        .value_kind:     global_buffer
      - .actual_access:  read_only
        .address_space:  global
        .offset:         16
        .size:           8
        .value_kind:     global_buffer
      - .offset:         24
        .size:           8
        .value_kind:     by_value
      - .actual_access:  read_only
        .address_space:  global
        .offset:         32
        .size:           8
        .value_kind:     global_buffer
      - .actual_access:  read_only
        .address_space:  global
        .offset:         40
        .size:           8
        .value_kind:     global_buffer
      - .actual_access:  read_only
        .address_space:  global
        .offset:         48
        .size:           8
        .value_kind:     global_buffer
      - .actual_access:  read_only
        .address_space:  global
        .offset:         56
        .size:           8
        .value_kind:     global_buffer
      - .actual_access:  read_only
        .address_space:  global
        .offset:         64
        .size:           8
        .value_kind:     global_buffer
      - .actual_access:  read_only
        .address_space:  global
        .offset:         72
        .size:           8
        .value_kind:     global_buffer
      - .offset:         80
        .size:           8
        .value_kind:     by_value
      - .actual_access:  read_only
        .address_space:  global
        .offset:         88
        .size:           8
        .value_kind:     global_buffer
      - .actual_access:  read_only
        .address_space:  global
        .offset:         96
        .size:           8
        .value_kind:     global_buffer
      - .actual_access:  read_only
        .address_space:  global
        .offset:         104
        .size:           8
        .value_kind:     global_buffer
      - .actual_access:  read_only
        .address_space:  global
        .offset:         112
        .size:           8
        .value_kind:     global_buffer
      - .actual_access:  read_only
        .address_space:  global
        .offset:         120
        .size:           8
        .value_kind:     global_buffer
      - .actual_access:  write_only
        .address_space:  global
        .offset:         128
        .size:           8
        .value_kind:     global_buffer
      - .offset:         136
        .size:           4
        .value_kind:     by_value
      - .offset:         140
        .size:           4
        .value_kind:     by_value
      - .offset:         144
        .size:           4
        .value_kind:     by_value
      - .offset:         148
        .size:           4
        .value_kind:     by_value
      - .offset:         152
        .size:           1
        .value_kind:     by_value
      - .offset:         153
        .size:           1
        .value_kind:     by_value
      - .offset:         154
        .size:           1
        .value_kind:     by_value
    .group_segment_fixed_size: 0
    .kernarg_segment_align: 8
    .kernarg_segment_size: 156
    .language:       OpenCL C
    .language_version:
      - 2
      - 0
    .max_flat_workgroup_size: 128
    .name:           _ZN9rocsparseL41csrgemm_numeric_fill_block_per_row_kernelILj128ELj16ELj256ELj137ELj64ElidEEvT5_PKS1_S3_NS_24const_host_device_scalarIT6_EEPKT4_S3_PKS5_S9_S3_SB_S6_S9_S3_SB_S9_S3_PS5_21rocsparse_index_base_SD_SD_SD_bbb
    .private_segment_fixed_size: 0
    .sgpr_count:     44
    .sgpr_spill_count: 0
    .symbol:         _ZN9rocsparseL41csrgemm_numeric_fill_block_per_row_kernelILj128ELj16ELj256ELj137ELj64ElidEEvT5_PKS1_S3_NS_24const_host_device_scalarIT6_EEPKT4_S3_PKS5_S9_S3_SB_S6_S9_S3_SB_S9_S3_PS5_21rocsparse_index_base_SD_SD_SD_bbb.kd
    .uniform_work_group_size: 1
    .uses_dynamic_stack: false
    .vgpr_count:     28
    .vgpr_spill_count: 0
    .wavefront_size: 32
    .workgroup_processor_mode: 1
  - .args:
      - .offset:         0
        .size:           4
        .value_kind:     by_value
      - .actual_access:  read_only
        .address_space:  global
        .offset:         8
        .size:           8
        .value_kind:     global_buffer
      - .actual_access:  read_only
        .address_space:  global
        .offset:         16
        .size:           8
        .value_kind:     global_buffer
      - .offset:         24
        .size:           8
        .value_kind:     by_value
      - .actual_access:  read_only
        .address_space:  global
        .offset:         32
        .size:           8
        .value_kind:     global_buffer
      - .actual_access:  read_only
        .address_space:  global
        .offset:         40
        .size:           8
        .value_kind:     global_buffer
      - .actual_access:  read_only
        .address_space:  global
        .offset:         48
        .size:           8
        .value_kind:     global_buffer
      - .actual_access:  read_only
        .address_space:  global
        .offset:         56
        .size:           8
        .value_kind:     global_buffer
      - .actual_access:  read_only
        .address_space:  global
        .offset:         64
        .size:           8
        .value_kind:     global_buffer
      - .actual_access:  read_only
        .address_space:  global
        .offset:         72
        .size:           8
        .value_kind:     global_buffer
      - .offset:         80
        .size:           8
        .value_kind:     by_value
      - .actual_access:  read_only
        .address_space:  global
        .offset:         88
        .size:           8
        .value_kind:     global_buffer
      - .actual_access:  read_only
        .address_space:  global
        .offset:         96
        .size:           8
        .value_kind:     global_buffer
      - .actual_access:  read_only
        .address_space:  global
        .offset:         104
        .size:           8
        .value_kind:     global_buffer
      - .actual_access:  read_only
        .address_space:  global
        .offset:         112
        .size:           8
        .value_kind:     global_buffer
      - .actual_access:  read_only
        .address_space:  global
        .offset:         120
        .size:           8
        .value_kind:     global_buffer
      - .actual_access:  write_only
        .address_space:  global
        .offset:         128
        .size:           8
        .value_kind:     global_buffer
      - .offset:         136
        .size:           4
        .value_kind:     by_value
      - .offset:         140
        .size:           4
        .value_kind:     by_value
      - .offset:         144
        .size:           4
        .value_kind:     by_value
      - .offset:         148
        .size:           4
        .value_kind:     by_value
      - .offset:         152
        .size:           1
        .value_kind:     by_value
      - .offset:         153
        .size:           1
        .value_kind:     by_value
      - .offset:         154
        .size:           1
        .value_kind:     by_value
    .group_segment_fixed_size: 0
    .kernarg_segment_align: 8
    .kernarg_segment_size: 156
    .language:       OpenCL C
    .language_version:
      - 2
      - 0
    .max_flat_workgroup_size: 256
    .name:           _ZN9rocsparseL41csrgemm_numeric_fill_block_per_row_kernelILj256ELj32ELj512ELj137ELj32ElidEEvT5_PKS1_S3_NS_24const_host_device_scalarIT6_EEPKT4_S3_PKS5_S9_S3_SB_S6_S9_S3_SB_S9_S3_PS5_21rocsparse_index_base_SD_SD_SD_bbb
    .private_segment_fixed_size: 0
    .sgpr_count:     44
    .sgpr_spill_count: 0
    .symbol:         _ZN9rocsparseL41csrgemm_numeric_fill_block_per_row_kernelILj256ELj32ELj512ELj137ELj32ElidEEvT5_PKS1_S3_NS_24const_host_device_scalarIT6_EEPKT4_S3_PKS5_S9_S3_SB_S6_S9_S3_SB_S9_S3_PS5_21rocsparse_index_base_SD_SD_SD_bbb.kd
    .uniform_work_group_size: 1
    .uses_dynamic_stack: false
    .vgpr_count:     28
    .vgpr_spill_count: 0
    .wavefront_size: 32
    .workgroup_processor_mode: 1
  - .args:
      - .offset:         0
        .size:           4
        .value_kind:     by_value
      - .actual_access:  read_only
        .address_space:  global
        .offset:         8
        .size:           8
        .value_kind:     global_buffer
      - .actual_access:  read_only
        .address_space:  global
        .offset:         16
        .size:           8
        .value_kind:     global_buffer
      - .offset:         24
        .size:           8
        .value_kind:     by_value
      - .actual_access:  read_only
        .address_space:  global
        .offset:         32
        .size:           8
        .value_kind:     global_buffer
      - .actual_access:  read_only
        .address_space:  global
        .offset:         40
        .size:           8
        .value_kind:     global_buffer
      - .actual_access:  read_only
        .address_space:  global
        .offset:         48
        .size:           8
        .value_kind:     global_buffer
      - .actual_access:  read_only
        .address_space:  global
        .offset:         56
        .size:           8
        .value_kind:     global_buffer
      - .actual_access:  read_only
        .address_space:  global
        .offset:         64
        .size:           8
        .value_kind:     global_buffer
      - .actual_access:  read_only
        .address_space:  global
        .offset:         72
        .size:           8
        .value_kind:     global_buffer
      - .offset:         80
        .size:           8
        .value_kind:     by_value
      - .actual_access:  read_only
        .address_space:  global
        .offset:         88
        .size:           8
        .value_kind:     global_buffer
      - .actual_access:  read_only
        .address_space:  global
        .offset:         96
        .size:           8
        .value_kind:     global_buffer
      - .actual_access:  read_only
        .address_space:  global
        .offset:         104
        .size:           8
        .value_kind:     global_buffer
      - .actual_access:  read_only
        .address_space:  global
        .offset:         112
        .size:           8
        .value_kind:     global_buffer
      - .actual_access:  read_only
        .address_space:  global
        .offset:         120
        .size:           8
        .value_kind:     global_buffer
      - .actual_access:  write_only
        .address_space:  global
        .offset:         128
        .size:           8
        .value_kind:     global_buffer
      - .offset:         136
        .size:           4
        .value_kind:     by_value
      - .offset:         140
        .size:           4
        .value_kind:     by_value
      - .offset:         144
        .size:           4
        .value_kind:     by_value
      - .offset:         148
        .size:           4
        .value_kind:     by_value
      - .offset:         152
        .size:           1
        .value_kind:     by_value
      - .offset:         153
        .size:           1
        .value_kind:     by_value
      - .offset:         154
        .size:           1
        .value_kind:     by_value
    .group_segment_fixed_size: 0
    .kernarg_segment_align: 8
    .kernarg_segment_size: 156
    .language:       OpenCL C
    .language_version:
      - 2
      - 0
    .max_flat_workgroup_size: 256
    .name:           _ZN9rocsparseL41csrgemm_numeric_fill_block_per_row_kernelILj256ELj32ELj512ELj137ELj64ElidEEvT5_PKS1_S3_NS_24const_host_device_scalarIT6_EEPKT4_S3_PKS5_S9_S3_SB_S6_S9_S3_SB_S9_S3_PS5_21rocsparse_index_base_SD_SD_SD_bbb
    .private_segment_fixed_size: 0
    .sgpr_count:     44
    .sgpr_spill_count: 0
    .symbol:         _ZN9rocsparseL41csrgemm_numeric_fill_block_per_row_kernelILj256ELj32ELj512ELj137ELj64ElidEEvT5_PKS1_S3_NS_24const_host_device_scalarIT6_EEPKT4_S3_PKS5_S9_S3_SB_S6_S9_S3_SB_S9_S3_PS5_21rocsparse_index_base_SD_SD_SD_bbb.kd
    .uniform_work_group_size: 1
    .uses_dynamic_stack: false
    .vgpr_count:     27
    .vgpr_spill_count: 0
    .wavefront_size: 32
    .workgroup_processor_mode: 1
  - .args:
      - .offset:         0
        .size:           4
        .value_kind:     by_value
      - .actual_access:  read_only
        .address_space:  global
        .offset:         8
        .size:           8
        .value_kind:     global_buffer
      - .actual_access:  read_only
        .address_space:  global
        .offset:         16
        .size:           8
        .value_kind:     global_buffer
      - .offset:         24
        .size:           8
        .value_kind:     by_value
      - .actual_access:  read_only
        .address_space:  global
        .offset:         32
        .size:           8
        .value_kind:     global_buffer
      - .actual_access:  read_only
        .address_space:  global
        .offset:         40
        .size:           8
        .value_kind:     global_buffer
      - .actual_access:  read_only
        .address_space:  global
        .offset:         48
        .size:           8
        .value_kind:     global_buffer
      - .actual_access:  read_only
        .address_space:  global
        .offset:         56
        .size:           8
        .value_kind:     global_buffer
      - .actual_access:  read_only
        .address_space:  global
        .offset:         64
        .size:           8
        .value_kind:     global_buffer
      - .actual_access:  read_only
        .address_space:  global
        .offset:         72
        .size:           8
        .value_kind:     global_buffer
      - .offset:         80
        .size:           8
        .value_kind:     by_value
      - .actual_access:  read_only
        .address_space:  global
        .offset:         88
        .size:           8
        .value_kind:     global_buffer
      - .actual_access:  read_only
        .address_space:  global
        .offset:         96
        .size:           8
        .value_kind:     global_buffer
      - .actual_access:  read_only
        .address_space:  global
        .offset:         104
        .size:           8
        .value_kind:     global_buffer
      - .actual_access:  read_only
        .address_space:  global
        .offset:         112
        .size:           8
        .value_kind:     global_buffer
      - .actual_access:  read_only
        .address_space:  global
        .offset:         120
        .size:           8
        .value_kind:     global_buffer
      - .actual_access:  write_only
        .address_space:  global
        .offset:         128
        .size:           8
        .value_kind:     global_buffer
      - .offset:         136
        .size:           4
        .value_kind:     by_value
      - .offset:         140
        .size:           4
        .value_kind:     by_value
      - .offset:         144
        .size:           4
        .value_kind:     by_value
      - .offset:         148
        .size:           4
        .value_kind:     by_value
      - .offset:         152
        .size:           1
        .value_kind:     by_value
      - .offset:         153
        .size:           1
        .value_kind:     by_value
      - .offset:         154
        .size:           1
        .value_kind:     by_value
    .group_segment_fixed_size: 0
    .kernarg_segment_align: 8
    .kernarg_segment_size: 156
    .language:       OpenCL C
    .language_version:
      - 2
      - 0
    .max_flat_workgroup_size: 512
    .name:           _ZN9rocsparseL41csrgemm_numeric_fill_block_per_row_kernelILj512ELj32ELj1024ELj137ELj32ElidEEvT5_PKS1_S3_NS_24const_host_device_scalarIT6_EEPKT4_S3_PKS5_S9_S3_SB_S6_S9_S3_SB_S9_S3_PS5_21rocsparse_index_base_SD_SD_SD_bbb
    .private_segment_fixed_size: 0
    .sgpr_count:     44
    .sgpr_spill_count: 0
    .symbol:         _ZN9rocsparseL41csrgemm_numeric_fill_block_per_row_kernelILj512ELj32ELj1024ELj137ELj32ElidEEvT5_PKS1_S3_NS_24const_host_device_scalarIT6_EEPKT4_S3_PKS5_S9_S3_SB_S6_S9_S3_SB_S9_S3_PS5_21rocsparse_index_base_SD_SD_SD_bbb.kd
    .uniform_work_group_size: 1
    .uses_dynamic_stack: false
    .vgpr_count:     28
    .vgpr_spill_count: 0
    .wavefront_size: 32
    .workgroup_processor_mode: 1
  - .args:
      - .offset:         0
        .size:           4
        .value_kind:     by_value
      - .actual_access:  read_only
        .address_space:  global
        .offset:         8
        .size:           8
        .value_kind:     global_buffer
      - .actual_access:  read_only
        .address_space:  global
        .offset:         16
        .size:           8
        .value_kind:     global_buffer
      - .offset:         24
        .size:           8
        .value_kind:     by_value
      - .actual_access:  read_only
        .address_space:  global
        .offset:         32
        .size:           8
        .value_kind:     global_buffer
      - .actual_access:  read_only
        .address_space:  global
        .offset:         40
        .size:           8
        .value_kind:     global_buffer
      - .actual_access:  read_only
        .address_space:  global
        .offset:         48
        .size:           8
        .value_kind:     global_buffer
      - .actual_access:  read_only
        .address_space:  global
        .offset:         56
        .size:           8
        .value_kind:     global_buffer
      - .actual_access:  read_only
        .address_space:  global
        .offset:         64
        .size:           8
        .value_kind:     global_buffer
      - .actual_access:  read_only
        .address_space:  global
        .offset:         72
        .size:           8
        .value_kind:     global_buffer
      - .offset:         80
        .size:           8
        .value_kind:     by_value
      - .actual_access:  read_only
        .address_space:  global
        .offset:         88
        .size:           8
        .value_kind:     global_buffer
      - .actual_access:  read_only
        .address_space:  global
        .offset:         96
        .size:           8
        .value_kind:     global_buffer
      - .actual_access:  read_only
        .address_space:  global
        .offset:         104
        .size:           8
        .value_kind:     global_buffer
      - .actual_access:  read_only
        .address_space:  global
        .offset:         112
        .size:           8
        .value_kind:     global_buffer
      - .actual_access:  read_only
        .address_space:  global
        .offset:         120
        .size:           8
        .value_kind:     global_buffer
      - .actual_access:  write_only
        .address_space:  global
        .offset:         128
        .size:           8
        .value_kind:     global_buffer
      - .offset:         136
        .size:           4
        .value_kind:     by_value
      - .offset:         140
        .size:           4
        .value_kind:     by_value
      - .offset:         144
        .size:           4
        .value_kind:     by_value
      - .offset:         148
        .size:           4
        .value_kind:     by_value
      - .offset:         152
        .size:           1
        .value_kind:     by_value
      - .offset:         153
        .size:           1
        .value_kind:     by_value
      - .offset:         154
        .size:           1
        .value_kind:     by_value
    .group_segment_fixed_size: 0
    .kernarg_segment_align: 8
    .kernarg_segment_size: 156
    .language:       OpenCL C
    .language_version:
      - 2
      - 0
    .max_flat_workgroup_size: 512
    .name:           _ZN9rocsparseL41csrgemm_numeric_fill_block_per_row_kernelILj512ELj32ELj1024ELj137ELj64ElidEEvT5_PKS1_S3_NS_24const_host_device_scalarIT6_EEPKT4_S3_PKS5_S9_S3_SB_S6_S9_S3_SB_S9_S3_PS5_21rocsparse_index_base_SD_SD_SD_bbb
    .private_segment_fixed_size: 0
    .sgpr_count:     44
    .sgpr_spill_count: 0
    .symbol:         _ZN9rocsparseL41csrgemm_numeric_fill_block_per_row_kernelILj512ELj32ELj1024ELj137ELj64ElidEEvT5_PKS1_S3_NS_24const_host_device_scalarIT6_EEPKT4_S3_PKS5_S9_S3_SB_S6_S9_S3_SB_S9_S3_PS5_21rocsparse_index_base_SD_SD_SD_bbb.kd
    .uniform_work_group_size: 1
    .uses_dynamic_stack: false
    .vgpr_count:     27
    .vgpr_spill_count: 0
    .wavefront_size: 32
    .workgroup_processor_mode: 1
  - .args:
      - .offset:         0
        .size:           4
        .value_kind:     by_value
      - .actual_access:  read_only
        .address_space:  global
        .offset:         8
        .size:           8
        .value_kind:     global_buffer
      - .actual_access:  read_only
        .address_space:  global
        .offset:         16
        .size:           8
        .value_kind:     global_buffer
      - .offset:         24
        .size:           8
        .value_kind:     by_value
      - .actual_access:  read_only
        .address_space:  global
        .offset:         32
        .size:           8
        .value_kind:     global_buffer
      - .actual_access:  read_only
        .address_space:  global
        .offset:         40
        .size:           8
        .value_kind:     global_buffer
      - .actual_access:  read_only
        .address_space:  global
        .offset:         48
        .size:           8
        .value_kind:     global_buffer
      - .actual_access:  read_only
        .address_space:  global
        .offset:         56
        .size:           8
        .value_kind:     global_buffer
      - .actual_access:  read_only
        .address_space:  global
        .offset:         64
        .size:           8
        .value_kind:     global_buffer
      - .actual_access:  read_only
        .address_space:  global
        .offset:         72
        .size:           8
        .value_kind:     global_buffer
      - .offset:         80
        .size:           8
        .value_kind:     by_value
      - .actual_access:  read_only
        .address_space:  global
        .offset:         88
        .size:           8
        .value_kind:     global_buffer
      - .actual_access:  read_only
        .address_space:  global
        .offset:         96
        .size:           8
        .value_kind:     global_buffer
      - .actual_access:  read_only
        .address_space:  global
        .offset:         104
        .size:           8
        .value_kind:     global_buffer
      - .actual_access:  read_only
        .address_space:  global
        .offset:         112
        .size:           8
        .value_kind:     global_buffer
      - .actual_access:  read_only
        .address_space:  global
        .offset:         120
        .size:           8
        .value_kind:     global_buffer
      - .actual_access:  write_only
        .address_space:  global
        .offset:         128
        .size:           8
        .value_kind:     global_buffer
      - .offset:         136
        .size:           4
        .value_kind:     by_value
      - .offset:         140
        .size:           4
        .value_kind:     by_value
      - .offset:         144
        .size:           4
        .value_kind:     by_value
      - .offset:         148
        .size:           4
        .value_kind:     by_value
      - .offset:         152
        .size:           1
        .value_kind:     by_value
      - .offset:         153
        .size:           1
        .value_kind:     by_value
      - .offset:         154
        .size:           1
        .value_kind:     by_value
    .group_segment_fixed_size: 0
    .kernarg_segment_align: 8
    .kernarg_segment_size: 156
    .language:       OpenCL C
    .language_version:
      - 2
      - 0
    .max_flat_workgroup_size: 1024
    .name:           _ZN9rocsparseL41csrgemm_numeric_fill_block_per_row_kernelILj1024ELj32ELj2048ELj137ELj32ElidEEvT5_PKS1_S3_NS_24const_host_device_scalarIT6_EEPKT4_S3_PKS5_S9_S3_SB_S6_S9_S3_SB_S9_S3_PS5_21rocsparse_index_base_SD_SD_SD_bbb
    .private_segment_fixed_size: 0
    .sgpr_count:     52
    .sgpr_spill_count: 0
    .symbol:         _ZN9rocsparseL41csrgemm_numeric_fill_block_per_row_kernelILj1024ELj32ELj2048ELj137ELj32ElidEEvT5_PKS1_S3_NS_24const_host_device_scalarIT6_EEPKT4_S3_PKS5_S9_S3_SB_S6_S9_S3_SB_S9_S3_PS5_21rocsparse_index_base_SD_SD_SD_bbb.kd
    .uniform_work_group_size: 1
    .uses_dynamic_stack: false
    .vgpr_count:     28
    .vgpr_spill_count: 0
    .wavefront_size: 32
    .workgroup_processor_mode: 1
  - .args:
      - .offset:         0
        .size:           4
        .value_kind:     by_value
      - .actual_access:  read_only
        .address_space:  global
        .offset:         8
        .size:           8
        .value_kind:     global_buffer
      - .actual_access:  read_only
        .address_space:  global
        .offset:         16
        .size:           8
        .value_kind:     global_buffer
      - .offset:         24
        .size:           8
        .value_kind:     by_value
      - .actual_access:  read_only
        .address_space:  global
        .offset:         32
        .size:           8
        .value_kind:     global_buffer
      - .actual_access:  read_only
        .address_space:  global
        .offset:         40
        .size:           8
        .value_kind:     global_buffer
      - .actual_access:  read_only
        .address_space:  global
        .offset:         48
        .size:           8
        .value_kind:     global_buffer
      - .actual_access:  read_only
        .address_space:  global
        .offset:         56
        .size:           8
        .value_kind:     global_buffer
      - .actual_access:  read_only
        .address_space:  global
        .offset:         64
        .size:           8
        .value_kind:     global_buffer
      - .actual_access:  read_only
        .address_space:  global
        .offset:         72
        .size:           8
        .value_kind:     global_buffer
      - .offset:         80
        .size:           8
        .value_kind:     by_value
      - .actual_access:  read_only
        .address_space:  global
        .offset:         88
        .size:           8
        .value_kind:     global_buffer
      - .actual_access:  read_only
        .address_space:  global
        .offset:         96
        .size:           8
        .value_kind:     global_buffer
      - .actual_access:  read_only
        .address_space:  global
        .offset:         104
        .size:           8
        .value_kind:     global_buffer
      - .actual_access:  read_only
        .address_space:  global
        .offset:         112
        .size:           8
        .value_kind:     global_buffer
      - .actual_access:  read_only
        .address_space:  global
        .offset:         120
        .size:           8
        .value_kind:     global_buffer
      - .actual_access:  write_only
        .address_space:  global
        .offset:         128
        .size:           8
        .value_kind:     global_buffer
      - .offset:         136
        .size:           4
        .value_kind:     by_value
      - .offset:         140
        .size:           4
        .value_kind:     by_value
      - .offset:         144
        .size:           4
        .value_kind:     by_value
      - .offset:         148
        .size:           4
        .value_kind:     by_value
      - .offset:         152
        .size:           1
        .value_kind:     by_value
      - .offset:         153
        .size:           1
        .value_kind:     by_value
      - .offset:         154
        .size:           1
        .value_kind:     by_value
    .group_segment_fixed_size: 0
    .kernarg_segment_align: 8
    .kernarg_segment_size: 156
    .language:       OpenCL C
    .language_version:
      - 2
      - 0
    .max_flat_workgroup_size: 1024
    .name:           _ZN9rocsparseL41csrgemm_numeric_fill_block_per_row_kernelILj1024ELj32ELj2048ELj137ELj64ElidEEvT5_PKS1_S3_NS_24const_host_device_scalarIT6_EEPKT4_S3_PKS5_S9_S3_SB_S6_S9_S3_SB_S9_S3_PS5_21rocsparse_index_base_SD_SD_SD_bbb
    .private_segment_fixed_size: 0
    .sgpr_count:     44
    .sgpr_spill_count: 0
    .symbol:         _ZN9rocsparseL41csrgemm_numeric_fill_block_per_row_kernelILj1024ELj32ELj2048ELj137ELj64ElidEEvT5_PKS1_S3_NS_24const_host_device_scalarIT6_EEPKT4_S3_PKS5_S9_S3_SB_S6_S9_S3_SB_S9_S3_PS5_21rocsparse_index_base_SD_SD_SD_bbb.kd
    .uniform_work_group_size: 1
    .uses_dynamic_stack: false
    .vgpr_count:     27
    .vgpr_spill_count: 0
    .wavefront_size: 32
    .workgroup_processor_mode: 1
  - .args:
      - .offset:         0
        .size:           4
        .value_kind:     by_value
      - .actual_access:  read_only
        .address_space:  global
        .offset:         8
        .size:           8
        .value_kind:     global_buffer
      - .actual_access:  read_only
        .address_space:  global
        .offset:         16
        .size:           8
        .value_kind:     global_buffer
      - .offset:         24
        .size:           8
        .value_kind:     by_value
      - .actual_access:  read_only
        .address_space:  global
        .offset:         32
        .size:           8
        .value_kind:     global_buffer
      - .actual_access:  read_only
        .address_space:  global
        .offset:         40
        .size:           8
        .value_kind:     global_buffer
      - .actual_access:  read_only
        .address_space:  global
        .offset:         48
        .size:           8
        .value_kind:     global_buffer
      - .actual_access:  read_only
        .address_space:  global
        .offset:         56
        .size:           8
        .value_kind:     global_buffer
      - .actual_access:  read_only
        .address_space:  global
        .offset:         64
        .size:           8
        .value_kind:     global_buffer
      - .actual_access:  read_only
        .address_space:  global
        .offset:         72
        .size:           8
        .value_kind:     global_buffer
      - .offset:         80
        .size:           8
        .value_kind:     by_value
      - .actual_access:  read_only
        .address_space:  global
        .offset:         88
        .size:           8
        .value_kind:     global_buffer
      - .actual_access:  read_only
        .address_space:  global
        .offset:         96
        .size:           8
        .value_kind:     global_buffer
      - .actual_access:  read_only
        .address_space:  global
        .offset:         104
        .size:           8
        .value_kind:     global_buffer
      - .actual_access:  read_only
        .address_space:  global
        .offset:         112
        .size:           8
        .value_kind:     global_buffer
      - .actual_access:  read_only
        .address_space:  global
        .offset:         120
        .size:           8
        .value_kind:     global_buffer
      - .actual_access:  write_only
        .address_space:  global
        .offset:         128
        .size:           8
        .value_kind:     global_buffer
      - .offset:         136
        .size:           4
        .value_kind:     by_value
      - .offset:         140
        .size:           4
        .value_kind:     by_value
      - .offset:         144
        .size:           4
        .value_kind:     by_value
      - .offset:         148
        .size:           4
        .value_kind:     by_value
      - .offset:         152
        .size:           1
        .value_kind:     by_value
      - .offset:         153
        .size:           1
        .value_kind:     by_value
      - .offset:         154
        .size:           1
        .value_kind:     by_value
    .group_segment_fixed_size: 0
    .kernarg_segment_align: 8
    .kernarg_segment_size: 156
    .language:       OpenCL C
    .language_version:
      - 2
      - 0
    .max_flat_workgroup_size: 1024
    .name:           _ZN9rocsparseL41csrgemm_numeric_fill_block_per_row_kernelILj1024ELj64ELj4096ELj137ELj32ElidEEvT5_PKS1_S3_NS_24const_host_device_scalarIT6_EEPKT4_S3_PKS5_S9_S3_SB_S6_S9_S3_SB_S9_S3_PS5_21rocsparse_index_base_SD_SD_SD_bbb
    .private_segment_fixed_size: 0
    .sgpr_count:     52
    .sgpr_spill_count: 0
    .symbol:         _ZN9rocsparseL41csrgemm_numeric_fill_block_per_row_kernelILj1024ELj64ELj4096ELj137ELj32ElidEEvT5_PKS1_S3_NS_24const_host_device_scalarIT6_EEPKT4_S3_PKS5_S9_S3_SB_S6_S9_S3_SB_S9_S3_PS5_21rocsparse_index_base_SD_SD_SD_bbb.kd
    .uniform_work_group_size: 1
    .uses_dynamic_stack: false
    .vgpr_count:     27
    .vgpr_spill_count: 0
    .wavefront_size: 32
    .workgroup_processor_mode: 1
  - .args:
      - .offset:         0
        .size:           4
        .value_kind:     by_value
      - .actual_access:  read_only
        .address_space:  global
        .offset:         8
        .size:           8
        .value_kind:     global_buffer
      - .actual_access:  read_only
        .address_space:  global
        .offset:         16
        .size:           8
        .value_kind:     global_buffer
      - .offset:         24
        .size:           8
        .value_kind:     by_value
      - .actual_access:  read_only
        .address_space:  global
        .offset:         32
        .size:           8
        .value_kind:     global_buffer
      - .actual_access:  read_only
        .address_space:  global
        .offset:         40
        .size:           8
        .value_kind:     global_buffer
      - .actual_access:  read_only
        .address_space:  global
        .offset:         48
        .size:           8
        .value_kind:     global_buffer
      - .actual_access:  read_only
        .address_space:  global
        .offset:         56
        .size:           8
        .value_kind:     global_buffer
      - .actual_access:  read_only
        .address_space:  global
        .offset:         64
        .size:           8
        .value_kind:     global_buffer
      - .actual_access:  read_only
        .address_space:  global
        .offset:         72
        .size:           8
        .value_kind:     global_buffer
      - .offset:         80
        .size:           8
        .value_kind:     by_value
      - .actual_access:  read_only
        .address_space:  global
        .offset:         88
        .size:           8
        .value_kind:     global_buffer
      - .actual_access:  read_only
        .address_space:  global
        .offset:         96
        .size:           8
        .value_kind:     global_buffer
      - .actual_access:  read_only
        .address_space:  global
        .offset:         104
        .size:           8
        .value_kind:     global_buffer
      - .actual_access:  read_only
        .address_space:  global
        .offset:         112
        .size:           8
        .value_kind:     global_buffer
      - .actual_access:  read_only
        .address_space:  global
        .offset:         120
        .size:           8
        .value_kind:     global_buffer
      - .actual_access:  write_only
        .address_space:  global
        .offset:         128
        .size:           8
        .value_kind:     global_buffer
      - .offset:         136
        .size:           4
        .value_kind:     by_value
      - .offset:         140
        .size:           4
        .value_kind:     by_value
      - .offset:         144
        .size:           4
        .value_kind:     by_value
      - .offset:         148
        .size:           4
        .value_kind:     by_value
      - .offset:         152
        .size:           1
        .value_kind:     by_value
      - .offset:         153
        .size:           1
        .value_kind:     by_value
      - .offset:         154
        .size:           1
        .value_kind:     by_value
    .group_segment_fixed_size: 0
    .kernarg_segment_align: 8
    .kernarg_segment_size: 156
    .language:       OpenCL C
    .language_version:
      - 2
      - 0
    .max_flat_workgroup_size: 1024
    .name:           _ZN9rocsparseL41csrgemm_numeric_fill_block_per_row_kernelILj1024ELj64ELj4096ELj137ELj64ElidEEvT5_PKS1_S3_NS_24const_host_device_scalarIT6_EEPKT4_S3_PKS5_S9_S3_SB_S6_S9_S3_SB_S9_S3_PS5_21rocsparse_index_base_SD_SD_SD_bbb
    .private_segment_fixed_size: 0
    .sgpr_count:     44
    .sgpr_spill_count: 0
    .symbol:         _ZN9rocsparseL41csrgemm_numeric_fill_block_per_row_kernelILj1024ELj64ELj4096ELj137ELj64ElidEEvT5_PKS1_S3_NS_24const_host_device_scalarIT6_EEPKT4_S3_PKS5_S9_S3_SB_S6_S9_S3_SB_S9_S3_PS5_21rocsparse_index_base_SD_SD_SD_bbb.kd
    .uniform_work_group_size: 1
    .uses_dynamic_stack: false
    .vgpr_count:     28
    .vgpr_spill_count: 0
    .wavefront_size: 32
    .workgroup_processor_mode: 1
  - .args:
      - .offset:         0
        .size:           4
        .value_kind:     by_value
      - .actual_access:  read_only
        .address_space:  global
        .offset:         8
        .size:           8
        .value_kind:     global_buffer
      - .actual_access:  read_only
        .address_space:  global
        .offset:         16
        .size:           8
        .value_kind:     global_buffer
      - .offset:         24
        .size:           8
        .value_kind:     by_value
      - .actual_access:  read_only
        .address_space:  global
        .offset:         32
        .size:           8
        .value_kind:     global_buffer
      - .actual_access:  read_only
        .address_space:  global
        .offset:         40
        .size:           8
        .value_kind:     global_buffer
      - .actual_access:  read_only
        .address_space:  global
        .offset:         48
        .size:           8
        .value_kind:     global_buffer
      - .actual_access:  read_only
        .address_space:  global
        .offset:         56
        .size:           8
        .value_kind:     global_buffer
      - .actual_access:  read_only
        .address_space:  global
        .offset:         64
        .size:           8
        .value_kind:     global_buffer
      - .actual_access:  read_only
        .address_space:  global
        .offset:         72
        .size:           8
        .value_kind:     global_buffer
      - .offset:         80
        .size:           8
        .value_kind:     by_value
      - .actual_access:  read_only
        .address_space:  global
        .offset:         88
        .size:           8
        .value_kind:     global_buffer
      - .actual_access:  read_only
        .address_space:  global
        .offset:         96
        .size:           8
        .value_kind:     global_buffer
      - .actual_access:  read_only
        .address_space:  global
        .offset:         104
        .size:           8
        .value_kind:     global_buffer
      - .actual_access:  read_only
        .address_space:  global
        .offset:         112
        .size:           8
        .value_kind:     global_buffer
      - .actual_access:  read_only
        .address_space:  global
        .offset:         120
        .size:           8
        .value_kind:     global_buffer
      - .actual_access:  write_only
        .address_space:  global
        .offset:         128
        .size:           8
        .value_kind:     global_buffer
      - .offset:         136
        .size:           4
        .value_kind:     by_value
      - .offset:         140
        .size:           4
        .value_kind:     by_value
      - .offset:         144
        .size:           4
        .value_kind:     by_value
      - .offset:         148
        .size:           4
        .value_kind:     by_value
      - .offset:         152
        .size:           1
        .value_kind:     by_value
      - .offset:         153
        .size:           1
        .value_kind:     by_value
      - .offset:         154
        .size:           1
        .value_kind:     by_value
    .group_segment_fixed_size: 0
    .kernarg_segment_align: 8
    .kernarg_segment_size: 156
    .language:       OpenCL C
    .language_version:
      - 2
      - 0
    .max_flat_workgroup_size: 1024
    .name:           _ZN9rocsparseL41csrgemm_numeric_fill_block_per_row_kernelILj1024ELj64ELj8192ELj137ELj32ElidEEvT5_PKS1_S3_NS_24const_host_device_scalarIT6_EEPKT4_S3_PKS5_S9_S3_SB_S6_S9_S3_SB_S9_S3_PS5_21rocsparse_index_base_SD_SD_SD_bbb
    .private_segment_fixed_size: 0
    .sgpr_count:     76
    .sgpr_spill_count: 0
    .symbol:         _ZN9rocsparseL41csrgemm_numeric_fill_block_per_row_kernelILj1024ELj64ELj8192ELj137ELj32ElidEEvT5_PKS1_S3_NS_24const_host_device_scalarIT6_EEPKT4_S3_PKS5_S9_S3_SB_S6_S9_S3_SB_S9_S3_PS5_21rocsparse_index_base_SD_SD_SD_bbb.kd
    .uniform_work_group_size: 1
    .uses_dynamic_stack: false
    .vgpr_count:     26
    .vgpr_spill_count: 0
    .wavefront_size: 32
    .workgroup_processor_mode: 1
  - .args:
      - .offset:         0
        .size:           4
        .value_kind:     by_value
      - .actual_access:  read_only
        .address_space:  global
        .offset:         8
        .size:           8
        .value_kind:     global_buffer
      - .actual_access:  read_only
        .address_space:  global
        .offset:         16
        .size:           8
        .value_kind:     global_buffer
      - .offset:         24
        .size:           8
        .value_kind:     by_value
      - .actual_access:  read_only
        .address_space:  global
        .offset:         32
        .size:           8
        .value_kind:     global_buffer
      - .actual_access:  read_only
        .address_space:  global
        .offset:         40
        .size:           8
        .value_kind:     global_buffer
      - .actual_access:  read_only
        .address_space:  global
        .offset:         48
        .size:           8
        .value_kind:     global_buffer
      - .actual_access:  read_only
        .address_space:  global
        .offset:         56
        .size:           8
        .value_kind:     global_buffer
      - .actual_access:  read_only
        .address_space:  global
        .offset:         64
        .size:           8
        .value_kind:     global_buffer
      - .actual_access:  read_only
        .address_space:  global
        .offset:         72
        .size:           8
        .value_kind:     global_buffer
      - .offset:         80
        .size:           8
        .value_kind:     by_value
      - .actual_access:  read_only
        .address_space:  global
        .offset:         88
        .size:           8
        .value_kind:     global_buffer
      - .actual_access:  read_only
        .address_space:  global
        .offset:         96
        .size:           8
        .value_kind:     global_buffer
      - .actual_access:  read_only
        .address_space:  global
        .offset:         104
        .size:           8
        .value_kind:     global_buffer
      - .actual_access:  read_only
        .address_space:  global
        .offset:         112
        .size:           8
        .value_kind:     global_buffer
      - .actual_access:  read_only
        .address_space:  global
        .offset:         120
        .size:           8
        .value_kind:     global_buffer
      - .actual_access:  write_only
        .address_space:  global
        .offset:         128
        .size:           8
        .value_kind:     global_buffer
      - .offset:         136
        .size:           4
        .value_kind:     by_value
      - .offset:         140
        .size:           4
        .value_kind:     by_value
      - .offset:         144
        .size:           4
        .value_kind:     by_value
      - .offset:         148
        .size:           4
        .value_kind:     by_value
      - .offset:         152
        .size:           1
        .value_kind:     by_value
      - .offset:         153
        .size:           1
        .value_kind:     by_value
      - .offset:         154
        .size:           1
        .value_kind:     by_value
    .group_segment_fixed_size: 0
    .kernarg_segment_align: 8
    .kernarg_segment_size: 156
    .language:       OpenCL C
    .language_version:
      - 2
      - 0
    .max_flat_workgroup_size: 1024
    .name:           _ZN9rocsparseL41csrgemm_numeric_fill_block_per_row_kernelILj1024ELj64ELj8192ELj137ELj64ElidEEvT5_PKS1_S3_NS_24const_host_device_scalarIT6_EEPKT4_S3_PKS5_S9_S3_SB_S6_S9_S3_SB_S9_S3_PS5_21rocsparse_index_base_SD_SD_SD_bbb
    .private_segment_fixed_size: 0
    .sgpr_count:     44
    .sgpr_spill_count: 0
    .symbol:         _ZN9rocsparseL41csrgemm_numeric_fill_block_per_row_kernelILj1024ELj64ELj8192ELj137ELj64ElidEEvT5_PKS1_S3_NS_24const_host_device_scalarIT6_EEPKT4_S3_PKS5_S9_S3_SB_S6_S9_S3_SB_S9_S3_PS5_21rocsparse_index_base_SD_SD_SD_bbb.kd
    .uniform_work_group_size: 1
    .uses_dynamic_stack: false
    .vgpr_count:     27
    .vgpr_spill_count: 0
    .wavefront_size: 32
    .workgroup_processor_mode: 1
  - .args:
      - .offset:         0
        .size:           4
        .value_kind:     by_value
      - .actual_access:  read_only
        .address_space:  global
        .offset:         8
        .size:           8
        .value_kind:     global_buffer
      - .actual_access:  read_only
        .address_space:  global
        .offset:         16
        .size:           8
        .value_kind:     global_buffer
      - .offset:         24
        .size:           8
        .value_kind:     by_value
      - .actual_access:  read_only
        .address_space:  global
        .offset:         32
        .size:           8
        .value_kind:     global_buffer
      - .actual_access:  read_only
        .address_space:  global
        .offset:         40
        .size:           8
        .value_kind:     global_buffer
      - .actual_access:  read_only
        .address_space:  global
        .offset:         48
        .size:           8
        .value_kind:     global_buffer
      - .actual_access:  read_only
        .address_space:  global
        .offset:         56
        .size:           8
        .value_kind:     global_buffer
      - .actual_access:  read_only
        .address_space:  global
        .offset:         64
        .size:           8
        .value_kind:     global_buffer
      - .actual_access:  read_only
        .address_space:  global
        .offset:         72
        .size:           8
        .value_kind:     global_buffer
      - .offset:         80
        .size:           8
        .value_kind:     by_value
      - .actual_access:  read_only
        .address_space:  global
        .offset:         88
        .size:           8
        .value_kind:     global_buffer
      - .actual_access:  read_only
        .address_space:  global
        .offset:         96
        .size:           8
        .value_kind:     global_buffer
      - .actual_access:  read_only
        .address_space:  global
        .offset:         104
        .size:           8
        .value_kind:     global_buffer
      - .actual_access:  read_only
        .address_space:  global
        .offset:         112
        .size:           8
        .value_kind:     global_buffer
      - .actual_access:  read_only
        .address_space:  global
        .offset:         120
        .size:           8
        .value_kind:     global_buffer
      - .actual_access:  write_only
        .address_space:  global
        .offset:         128
        .size:           8
        .value_kind:     global_buffer
      - .offset:         136
        .size:           4
        .value_kind:     by_value
      - .offset:         140
        .size:           4
        .value_kind:     by_value
      - .offset:         144
        .size:           4
        .value_kind:     by_value
      - .offset:         148
        .size:           4
        .value_kind:     by_value
      - .offset:         152
        .size:           1
        .value_kind:     by_value
      - .offset:         153
        .size:           1
        .value_kind:     by_value
      - .offset:         154
        .size:           1
        .value_kind:     by_value
    .group_segment_fixed_size: 0
    .kernarg_segment_align: 8
    .kernarg_segment_size: 156
    .language:       OpenCL C
    .language_version:
      - 2
      - 0
    .max_flat_workgroup_size: 1024
    .name:           _ZN9rocsparseL41csrgemm_numeric_fill_block_per_row_kernelILj1024ELj64ELj16384ELj137ELj32ElidEEvT5_PKS1_S3_NS_24const_host_device_scalarIT6_EEPKT4_S3_PKS5_S9_S3_SB_S6_S9_S3_SB_S9_S3_PS5_21rocsparse_index_base_SD_SD_SD_bbb
    .private_segment_fixed_size: 0
    .sgpr_count:     76
    .sgpr_spill_count: 0
    .symbol:         _ZN9rocsparseL41csrgemm_numeric_fill_block_per_row_kernelILj1024ELj64ELj16384ELj137ELj32ElidEEvT5_PKS1_S3_NS_24const_host_device_scalarIT6_EEPKT4_S3_PKS5_S9_S3_SB_S6_S9_S3_SB_S9_S3_PS5_21rocsparse_index_base_SD_SD_SD_bbb.kd
    .uniform_work_group_size: 1
    .uses_dynamic_stack: false
    .vgpr_count:     27
    .vgpr_spill_count: 0
    .wavefront_size: 32
    .workgroup_processor_mode: 1
  - .args:
      - .offset:         0
        .size:           4
        .value_kind:     by_value
      - .actual_access:  read_only
        .address_space:  global
        .offset:         8
        .size:           8
        .value_kind:     global_buffer
      - .actual_access:  read_only
        .address_space:  global
        .offset:         16
        .size:           8
        .value_kind:     global_buffer
      - .offset:         24
        .size:           8
        .value_kind:     by_value
      - .actual_access:  read_only
        .address_space:  global
        .offset:         32
        .size:           8
        .value_kind:     global_buffer
      - .actual_access:  read_only
        .address_space:  global
        .offset:         40
        .size:           8
        .value_kind:     global_buffer
      - .actual_access:  read_only
        .address_space:  global
        .offset:         48
        .size:           8
        .value_kind:     global_buffer
      - .actual_access:  read_only
        .address_space:  global
        .offset:         56
        .size:           8
        .value_kind:     global_buffer
      - .actual_access:  read_only
        .address_space:  global
        .offset:         64
        .size:           8
        .value_kind:     global_buffer
      - .actual_access:  read_only
        .address_space:  global
        .offset:         72
        .size:           8
        .value_kind:     global_buffer
      - .offset:         80
        .size:           8
        .value_kind:     by_value
      - .actual_access:  read_only
        .address_space:  global
        .offset:         88
        .size:           8
        .value_kind:     global_buffer
      - .actual_access:  read_only
        .address_space:  global
        .offset:         96
        .size:           8
        .value_kind:     global_buffer
      - .actual_access:  read_only
        .address_space:  global
        .offset:         104
        .size:           8
        .value_kind:     global_buffer
      - .actual_access:  read_only
        .address_space:  global
        .offset:         112
        .size:           8
        .value_kind:     global_buffer
      - .actual_access:  read_only
        .address_space:  global
        .offset:         120
        .size:           8
        .value_kind:     global_buffer
      - .actual_access:  write_only
        .address_space:  global
        .offset:         128
        .size:           8
        .value_kind:     global_buffer
      - .offset:         136
        .size:           4
        .value_kind:     by_value
      - .offset:         140
        .size:           4
        .value_kind:     by_value
      - .offset:         144
        .size:           4
        .value_kind:     by_value
      - .offset:         148
        .size:           4
        .value_kind:     by_value
      - .offset:         152
        .size:           1
        .value_kind:     by_value
      - .offset:         153
        .size:           1
        .value_kind:     by_value
      - .offset:         154
        .size:           1
        .value_kind:     by_value
    .group_segment_fixed_size: 0
    .kernarg_segment_align: 8
    .kernarg_segment_size: 156
    .language:       OpenCL C
    .language_version:
      - 2
      - 0
    .max_flat_workgroup_size: 1024
    .name:           _ZN9rocsparseL41csrgemm_numeric_fill_block_per_row_kernelILj1024ELj64ELj16384ELj137ELj64ElidEEvT5_PKS1_S3_NS_24const_host_device_scalarIT6_EEPKT4_S3_PKS5_S9_S3_SB_S6_S9_S3_SB_S9_S3_PS5_21rocsparse_index_base_SD_SD_SD_bbb
    .private_segment_fixed_size: 0
    .sgpr_count:     44
    .sgpr_spill_count: 0
    .symbol:         _ZN9rocsparseL41csrgemm_numeric_fill_block_per_row_kernelILj1024ELj64ELj16384ELj137ELj64ElidEEvT5_PKS1_S3_NS_24const_host_device_scalarIT6_EEPKT4_S3_PKS5_S9_S3_SB_S6_S9_S3_SB_S9_S3_PS5_21rocsparse_index_base_SD_SD_SD_bbb.kd
    .uniform_work_group_size: 1
    .uses_dynamic_stack: false
    .vgpr_count:     28
    .vgpr_spill_count: 0
    .wavefront_size: 32
    .workgroup_processor_mode: 1
  - .args:
      - .offset:         0
        .size:           4
        .value_kind:     by_value
      - .actual_access:  read_only
        .address_space:  global
        .offset:         8
        .size:           8
        .value_kind:     global_buffer
      - .actual_access:  read_only
        .address_space:  global
        .offset:         16
        .size:           8
        .value_kind:     global_buffer
      - .offset:         24
        .size:           8
        .value_kind:     by_value
      - .actual_access:  read_only
        .address_space:  global
        .offset:         32
        .size:           8
        .value_kind:     global_buffer
      - .actual_access:  read_only
        .address_space:  global
        .offset:         40
        .size:           8
        .value_kind:     global_buffer
      - .actual_access:  read_only
        .address_space:  global
        .offset:         48
        .size:           8
        .value_kind:     global_buffer
      - .actual_access:  read_only
        .address_space:  global
        .offset:         56
        .size:           8
        .value_kind:     global_buffer
      - .actual_access:  read_only
        .address_space:  global
        .offset:         64
        .size:           8
        .value_kind:     global_buffer
      - .actual_access:  read_only
        .address_space:  global
        .offset:         72
        .size:           8
        .value_kind:     global_buffer
      - .offset:         80
        .size:           8
        .value_kind:     by_value
      - .actual_access:  read_only
        .address_space:  global
        .offset:         88
        .size:           8
        .value_kind:     global_buffer
      - .actual_access:  read_only
        .address_space:  global
        .offset:         96
        .size:           8
        .value_kind:     global_buffer
      - .actual_access:  read_only
        .address_space:  global
        .offset:         104
        .size:           8
        .value_kind:     global_buffer
      - .actual_access:  read_only
        .address_space:  global
        .offset:         112
        .size:           8
        .value_kind:     global_buffer
      - .actual_access:  read_only
        .address_space:  global
        .offset:         120
        .size:           8
        .value_kind:     global_buffer
      - .actual_access:  write_only
        .address_space:  global
        .offset:         128
        .size:           8
        .value_kind:     global_buffer
      - .offset:         136
        .size:           4
        .value_kind:     by_value
      - .offset:         140
        .size:           4
        .value_kind:     by_value
      - .offset:         144
        .size:           4
        .value_kind:     by_value
      - .offset:         148
        .size:           4
        .value_kind:     by_value
      - .offset:         152
        .size:           1
        .value_kind:     by_value
      - .offset:         153
        .size:           1
        .value_kind:     by_value
      - .offset:         154
        .size:           1
        .value_kind:     by_value
    .group_segment_fixed_size: 0
    .kernarg_segment_align: 8
    .kernarg_segment_size: 156
    .language:       OpenCL C
    .language_version:
      - 2
      - 0
    .max_flat_workgroup_size: 1024
    .name:           _ZN9rocsparseL41csrgemm_numeric_fill_block_per_row_kernelILj1024ELj64ELj32768ELj137ELj32ElidEEvT5_PKS1_S3_NS_24const_host_device_scalarIT6_EEPKT4_S3_PKS5_S9_S3_SB_S6_S9_S3_SB_S9_S3_PS5_21rocsparse_index_base_SD_SD_SD_bbb
    .private_segment_fixed_size: 0
    .sgpr_count:     76
    .sgpr_spill_count: 0
    .symbol:         _ZN9rocsparseL41csrgemm_numeric_fill_block_per_row_kernelILj1024ELj64ELj32768ELj137ELj32ElidEEvT5_PKS1_S3_NS_24const_host_device_scalarIT6_EEPKT4_S3_PKS5_S9_S3_SB_S6_S9_S3_SB_S9_S3_PS5_21rocsparse_index_base_SD_SD_SD_bbb.kd
    .uniform_work_group_size: 1
    .uses_dynamic_stack: false
    .vgpr_count:     27
    .vgpr_spill_count: 0
    .wavefront_size: 32
    .workgroup_processor_mode: 1
  - .args:
      - .offset:         0
        .size:           4
        .value_kind:     by_value
      - .actual_access:  read_only
        .address_space:  global
        .offset:         8
        .size:           8
        .value_kind:     global_buffer
      - .actual_access:  read_only
        .address_space:  global
        .offset:         16
        .size:           8
        .value_kind:     global_buffer
      - .offset:         24
        .size:           8
        .value_kind:     by_value
      - .actual_access:  read_only
        .address_space:  global
        .offset:         32
        .size:           8
        .value_kind:     global_buffer
      - .actual_access:  read_only
        .address_space:  global
        .offset:         40
        .size:           8
        .value_kind:     global_buffer
      - .actual_access:  read_only
        .address_space:  global
        .offset:         48
        .size:           8
        .value_kind:     global_buffer
      - .actual_access:  read_only
        .address_space:  global
        .offset:         56
        .size:           8
        .value_kind:     global_buffer
      - .actual_access:  read_only
        .address_space:  global
        .offset:         64
        .size:           8
        .value_kind:     global_buffer
      - .actual_access:  read_only
        .address_space:  global
        .offset:         72
        .size:           8
        .value_kind:     global_buffer
      - .offset:         80
        .size:           8
        .value_kind:     by_value
      - .actual_access:  read_only
        .address_space:  global
        .offset:         88
        .size:           8
        .value_kind:     global_buffer
      - .actual_access:  read_only
        .address_space:  global
        .offset:         96
        .size:           8
        .value_kind:     global_buffer
      - .actual_access:  read_only
        .address_space:  global
        .offset:         104
        .size:           8
        .value_kind:     global_buffer
      - .actual_access:  read_only
        .address_space:  global
        .offset:         112
        .size:           8
        .value_kind:     global_buffer
      - .actual_access:  read_only
        .address_space:  global
        .offset:         120
        .size:           8
        .value_kind:     global_buffer
      - .actual_access:  write_only
        .address_space:  global
        .offset:         128
        .size:           8
        .value_kind:     global_buffer
      - .offset:         136
        .size:           4
        .value_kind:     by_value
      - .offset:         140
        .size:           4
        .value_kind:     by_value
      - .offset:         144
        .size:           4
        .value_kind:     by_value
      - .offset:         148
        .size:           4
        .value_kind:     by_value
      - .offset:         152
        .size:           1
        .value_kind:     by_value
      - .offset:         153
        .size:           1
        .value_kind:     by_value
      - .offset:         154
        .size:           1
        .value_kind:     by_value
    .group_segment_fixed_size: 0
    .kernarg_segment_align: 8
    .kernarg_segment_size: 156
    .language:       OpenCL C
    .language_version:
      - 2
      - 0
    .max_flat_workgroup_size: 1024
    .name:           _ZN9rocsparseL41csrgemm_numeric_fill_block_per_row_kernelILj1024ELj64ELj32768ELj137ELj64ElidEEvT5_PKS1_S3_NS_24const_host_device_scalarIT6_EEPKT4_S3_PKS5_S9_S3_SB_S6_S9_S3_SB_S9_S3_PS5_21rocsparse_index_base_SD_SD_SD_bbb
    .private_segment_fixed_size: 0
    .sgpr_count:     44
    .sgpr_spill_count: 0
    .symbol:         _ZN9rocsparseL41csrgemm_numeric_fill_block_per_row_kernelILj1024ELj64ELj32768ELj137ELj64ElidEEvT5_PKS1_S3_NS_24const_host_device_scalarIT6_EEPKT4_S3_PKS5_S9_S3_SB_S6_S9_S3_SB_S9_S3_PS5_21rocsparse_index_base_SD_SD_SD_bbb.kd
    .uniform_work_group_size: 1
    .uses_dynamic_stack: false
    .vgpr_count:     28
    .vgpr_spill_count: 0
    .wavefront_size: 32
    .workgroup_processor_mode: 1
  - .args:
      - .offset:         0
        .size:           4
        .value_kind:     by_value
      - .actual_access:  read_only
        .address_space:  global
        .offset:         8
        .size:           8
        .value_kind:     global_buffer
      - .actual_access:  read_only
        .address_space:  global
        .offset:         16
        .size:           8
        .value_kind:     global_buffer
      - .offset:         24
        .size:           8
        .value_kind:     by_value
      - .actual_access:  read_only
        .address_space:  global
        .offset:         32
        .size:           8
        .value_kind:     global_buffer
      - .actual_access:  read_only
        .address_space:  global
        .offset:         40
        .size:           8
        .value_kind:     global_buffer
      - .actual_access:  read_only
        .address_space:  global
        .offset:         48
        .size:           8
        .value_kind:     global_buffer
      - .actual_access:  read_only
        .address_space:  global
        .offset:         56
        .size:           8
        .value_kind:     global_buffer
      - .actual_access:  read_only
        .address_space:  global
        .offset:         64
        .size:           8
        .value_kind:     global_buffer
      - .actual_access:  read_only
        .address_space:  global
        .offset:         72
        .size:           8
        .value_kind:     global_buffer
      - .offset:         80
        .size:           8
        .value_kind:     by_value
      - .actual_access:  read_only
        .address_space:  global
        .offset:         88
        .size:           8
        .value_kind:     global_buffer
      - .actual_access:  read_only
        .address_space:  global
        .offset:         96
        .size:           8
        .value_kind:     global_buffer
      - .actual_access:  read_only
        .address_space:  global
        .offset:         104
        .size:           8
        .value_kind:     global_buffer
      - .actual_access:  read_only
        .address_space:  global
        .offset:         112
        .size:           8
        .value_kind:     global_buffer
      - .actual_access:  read_only
        .address_space:  global
        .offset:         120
        .size:           8
        .value_kind:     global_buffer
      - .actual_access:  write_only
        .address_space:  global
        .offset:         128
        .size:           8
        .value_kind:     global_buffer
      - .address_space:  global
        .offset:         136
        .size:           8
        .value_kind:     global_buffer
      - .offset:         144
        .size:           4
        .value_kind:     by_value
      - .offset:         148
        .size:           4
        .value_kind:     by_value
      - .offset:         152
        .size:           4
        .value_kind:     by_value
      - .offset:         156
        .size:           4
        .value_kind:     by_value
      - .offset:         160
        .size:           1
        .value_kind:     by_value
      - .offset:         161
        .size:           1
        .value_kind:     by_value
      - .offset:         162
        .size:           1
        .value_kind:     by_value
    .group_segment_fixed_size: 18440
    .kernarg_segment_align: 8
    .kernarg_segment_size: 164
    .language:       OpenCL C
    .language_version:
      - 2
      - 0
    .max_flat_workgroup_size: 512
    .name:           _ZN9rocsparseL51csrgemm_numeric_fill_block_per_row_multipass_kernelILj512ELj16ELj2048ELj32ElidEEvT4_PKS1_S3_NS_24const_host_device_scalarIT5_EEPKT3_S3_PKS5_S9_S3_SB_S6_S9_S3_SB_S9_S3_PS5_PS7_21rocsparse_index_base_SE_SE_SE_bbb
    .private_segment_fixed_size: 0
    .sgpr_count:     64
    .sgpr_spill_count: 0
    .symbol:         _ZN9rocsparseL51csrgemm_numeric_fill_block_per_row_multipass_kernelILj512ELj16ELj2048ELj32ElidEEvT4_PKS1_S3_NS_24const_host_device_scalarIT5_EEPKT3_S3_PKS5_S9_S3_SB_S6_S9_S3_SB_S9_S3_PS5_PS7_21rocsparse_index_base_SE_SE_SE_bbb.kd
    .uniform_work_group_size: 1
    .uses_dynamic_stack: false
    .vgpr_count:     45
    .vgpr_spill_count: 0
    .wavefront_size: 32
    .workgroup_processor_mode: 1
  - .args:
      - .offset:         0
        .size:           4
        .value_kind:     by_value
      - .actual_access:  read_only
        .address_space:  global
        .offset:         8
        .size:           8
        .value_kind:     global_buffer
      - .actual_access:  read_only
        .address_space:  global
        .offset:         16
        .size:           8
        .value_kind:     global_buffer
      - .offset:         24
        .size:           8
        .value_kind:     by_value
      - .actual_access:  read_only
        .address_space:  global
        .offset:         32
        .size:           8
        .value_kind:     global_buffer
      - .actual_access:  read_only
        .address_space:  global
        .offset:         40
        .size:           8
        .value_kind:     global_buffer
      - .actual_access:  read_only
        .address_space:  global
        .offset:         48
        .size:           8
        .value_kind:     global_buffer
      - .actual_access:  read_only
        .address_space:  global
        .offset:         56
        .size:           8
        .value_kind:     global_buffer
      - .actual_access:  read_only
        .address_space:  global
        .offset:         64
        .size:           8
        .value_kind:     global_buffer
      - .actual_access:  read_only
        .address_space:  global
        .offset:         72
        .size:           8
        .value_kind:     global_buffer
      - .offset:         80
        .size:           8
        .value_kind:     by_value
      - .actual_access:  read_only
        .address_space:  global
        .offset:         88
        .size:           8
        .value_kind:     global_buffer
      - .actual_access:  read_only
        .address_space:  global
        .offset:         96
        .size:           8
        .value_kind:     global_buffer
      - .actual_access:  read_only
        .address_space:  global
        .offset:         104
        .size:           8
        .value_kind:     global_buffer
      - .actual_access:  read_only
        .address_space:  global
        .offset:         112
        .size:           8
        .value_kind:     global_buffer
      - .actual_access:  read_only
        .address_space:  global
        .offset:         120
        .size:           8
        .value_kind:     global_buffer
      - .actual_access:  write_only
        .address_space:  global
        .offset:         128
        .size:           8
        .value_kind:     global_buffer
      - .address_space:  global
        .offset:         136
        .size:           8
        .value_kind:     global_buffer
      - .offset:         144
        .size:           4
        .value_kind:     by_value
      - .offset:         148
        .size:           4
        .value_kind:     by_value
      - .offset:         152
        .size:           4
        .value_kind:     by_value
      - .offset:         156
        .size:           4
        .value_kind:     by_value
      - .offset:         160
        .size:           1
        .value_kind:     by_value
      - .offset:         161
        .size:           1
        .value_kind:     by_value
      - .offset:         162
        .size:           1
        .value_kind:     by_value
    .group_segment_fixed_size: 18440
    .kernarg_segment_align: 8
    .kernarg_segment_size: 164
    .language:       OpenCL C
    .language_version:
      - 2
      - 0
    .max_flat_workgroup_size: 512
    .name:           _ZN9rocsparseL51csrgemm_numeric_fill_block_per_row_multipass_kernelILj512ELj16ELj2048ELj64ElidEEvT4_PKS1_S3_NS_24const_host_device_scalarIT5_EEPKT3_S3_PKS5_S9_S3_SB_S6_S9_S3_SB_S9_S3_PS5_PS7_21rocsparse_index_base_SE_SE_SE_bbb
    .private_segment_fixed_size: 0
    .sgpr_count:     56
    .sgpr_spill_count: 0
    .symbol:         _ZN9rocsparseL51csrgemm_numeric_fill_block_per_row_multipass_kernelILj512ELj16ELj2048ELj64ElidEEvT4_PKS1_S3_NS_24const_host_device_scalarIT5_EEPKT3_S3_PKS5_S9_S3_SB_S6_S9_S3_SB_S9_S3_PS5_PS7_21rocsparse_index_base_SE_SE_SE_bbb.kd
    .uniform_work_group_size: 1
    .uses_dynamic_stack: false
    .vgpr_count:     45
    .vgpr_spill_count: 0
    .wavefront_size: 32
    .workgroup_processor_mode: 1
  - .args:
      - .offset:         0
        .size:           4
        .value_kind:     by_value
      - .offset:         4
        .size:           4
        .value_kind:     by_value
      - .actual_access:  read_only
        .address_space:  global
        .offset:         8
        .size:           8
        .value_kind:     global_buffer
      - .actual_access:  read_only
        .address_space:  global
        .offset:         16
        .size:           8
        .value_kind:     global_buffer
      - .offset:         24
        .size:           8
        .value_kind:     by_value
      - .actual_access:  read_only
        .address_space:  global
        .offset:         32
        .size:           8
        .value_kind:     global_buffer
      - .actual_access:  read_only
        .address_space:  global
        .offset:         40
        .size:           8
        .value_kind:     global_buffer
      - .actual_access:  read_only
        .address_space:  global
        .offset:         48
        .size:           8
        .value_kind:     global_buffer
      - .actual_access:  read_only
        .address_space:  global
        .offset:         56
        .size:           8
        .value_kind:     global_buffer
      - .actual_access:  read_only
        .address_space:  global
        .offset:         64
        .size:           8
        .value_kind:     global_buffer
      - .actual_access:  read_only
        .address_space:  global
        .offset:         72
        .size:           8
        .value_kind:     global_buffer
      - .offset:         80
        .size:           8
        .value_kind:     by_value
      - .actual_access:  read_only
        .address_space:  global
        .offset:         88
        .size:           8
        .value_kind:     global_buffer
      - .actual_access:  read_only
        .address_space:  global
        .offset:         96
        .size:           8
        .value_kind:     global_buffer
      - .actual_access:  read_only
        .address_space:  global
        .offset:         104
        .size:           8
        .value_kind:     global_buffer
      - .actual_access:  read_only
        .address_space:  global
        .offset:         112
        .size:           8
        .value_kind:     global_buffer
      - .actual_access:  read_only
        .address_space:  global
        .offset:         120
        .size:           8
        .value_kind:     global_buffer
      - .actual_access:  write_only
        .address_space:  global
        .offset:         128
        .size:           8
        .value_kind:     global_buffer
      - .offset:         136
        .size:           4
        .value_kind:     by_value
      - .offset:         140
        .size:           4
        .value_kind:     by_value
      - .offset:         144
        .size:           4
        .value_kind:     by_value
      - .offset:         148
        .size:           4
        .value_kind:     by_value
      - .offset:         152
        .size:           1
        .value_kind:     by_value
      - .offset:         153
        .size:           1
        .value_kind:     by_value
      - .offset:         154
        .size:           1
        .value_kind:     by_value
    .group_segment_fixed_size: 6144
    .kernarg_segment_align: 8
    .kernarg_segment_size: 156
    .language:       OpenCL C
    .language_version:
      - 2
      - 0
    .max_flat_workgroup_size: 256
    .name:           _ZN9rocsparseL38csrgemm_numeric_fill_wf_per_row_kernelILj256ELj8ELj16ELj137Eli21rocsparse_complex_numIfEEEvT4_S3_PKS3_S5_NS_24const_host_device_scalarIT5_EEPKT3_S5_PKS7_SB_S5_SD_S8_SB_S5_SD_SB_S5_PS7_21rocsparse_index_base_SF_SF_SF_bbb
    .private_segment_fixed_size: 0
    .sgpr_count:     44
    .sgpr_spill_count: 0
    .symbol:         _ZN9rocsparseL38csrgemm_numeric_fill_wf_per_row_kernelILj256ELj8ELj16ELj137Eli21rocsparse_complex_numIfEEEvT4_S3_PKS3_S5_NS_24const_host_device_scalarIT5_EEPKT3_S5_PKS7_SB_S5_SD_S8_SB_S5_SD_SB_S5_PS7_21rocsparse_index_base_SF_SF_SF_bbb.kd
    .uniform_work_group_size: 1
    .uses_dynamic_stack: false
    .vgpr_count:     26
    .vgpr_spill_count: 0
    .wavefront_size: 32
    .workgroup_processor_mode: 1
  - .args:
      - .offset:         0
        .size:           4
        .value_kind:     by_value
      - .offset:         4
        .size:           4
        .value_kind:     by_value
      - .actual_access:  read_only
        .address_space:  global
        .offset:         8
        .size:           8
        .value_kind:     global_buffer
      - .actual_access:  read_only
        .address_space:  global
        .offset:         16
        .size:           8
        .value_kind:     global_buffer
      - .offset:         24
        .size:           8
        .value_kind:     by_value
      - .actual_access:  read_only
        .address_space:  global
        .offset:         32
        .size:           8
        .value_kind:     global_buffer
      - .actual_access:  read_only
        .address_space:  global
        .offset:         40
        .size:           8
        .value_kind:     global_buffer
      - .actual_access:  read_only
        .address_space:  global
        .offset:         48
        .size:           8
        .value_kind:     global_buffer
      - .actual_access:  read_only
        .address_space:  global
        .offset:         56
        .size:           8
        .value_kind:     global_buffer
      - .actual_access:  read_only
        .address_space:  global
        .offset:         64
        .size:           8
        .value_kind:     global_buffer
      - .actual_access:  read_only
        .address_space:  global
        .offset:         72
        .size:           8
        .value_kind:     global_buffer
      - .offset:         80
        .size:           8
        .value_kind:     by_value
      - .actual_access:  read_only
        .address_space:  global
        .offset:         88
        .size:           8
        .value_kind:     global_buffer
      - .actual_access:  read_only
        .address_space:  global
        .offset:         96
        .size:           8
        .value_kind:     global_buffer
      - .actual_access:  read_only
        .address_space:  global
        .offset:         104
        .size:           8
        .value_kind:     global_buffer
      - .actual_access:  read_only
        .address_space:  global
        .offset:         112
        .size:           8
        .value_kind:     global_buffer
      - .actual_access:  read_only
        .address_space:  global
        .offset:         120
        .size:           8
        .value_kind:     global_buffer
      - .actual_access:  write_only
        .address_space:  global
        .offset:         128
        .size:           8
        .value_kind:     global_buffer
      - .offset:         136
        .size:           4
        .value_kind:     by_value
      - .offset:         140
        .size:           4
        .value_kind:     by_value
      - .offset:         144
        .size:           4
        .value_kind:     by_value
      - .offset:         148
        .size:           4
        .value_kind:     by_value
      - .offset:         152
        .size:           1
        .value_kind:     by_value
      - .offset:         153
        .size:           1
        .value_kind:     by_value
      - .offset:         154
        .size:           1
        .value_kind:     by_value
    .group_segment_fixed_size: 6144
    .kernarg_segment_align: 8
    .kernarg_segment_size: 156
    .language:       OpenCL C
    .language_version:
      - 2
      - 0
    .max_flat_workgroup_size: 256
    .name:           _ZN9rocsparseL38csrgemm_numeric_fill_wf_per_row_kernelILj256ELj16ELj32ELj137Eli21rocsparse_complex_numIfEEEvT4_S3_PKS3_S5_NS_24const_host_device_scalarIT5_EEPKT3_S5_PKS7_SB_S5_SD_S8_SB_S5_SD_SB_S5_PS7_21rocsparse_index_base_SF_SF_SF_bbb
    .private_segment_fixed_size: 0
    .sgpr_count:     44
    .sgpr_spill_count: 0
    .symbol:         _ZN9rocsparseL38csrgemm_numeric_fill_wf_per_row_kernelILj256ELj16ELj32ELj137Eli21rocsparse_complex_numIfEEEvT4_S3_PKS3_S5_NS_24const_host_device_scalarIT5_EEPKT3_S5_PKS7_SB_S5_SD_S8_SB_S5_SD_SB_S5_PS7_21rocsparse_index_base_SF_SF_SF_bbb.kd
    .uniform_work_group_size: 1
    .uses_dynamic_stack: false
    .vgpr_count:     42
    .vgpr_spill_count: 0
    .wavefront_size: 32
    .workgroup_processor_mode: 1
  - .args:
      - .offset:         0
        .size:           4
        .value_kind:     by_value
      - .actual_access:  read_only
        .address_space:  global
        .offset:         8
        .size:           8
        .value_kind:     global_buffer
      - .actual_access:  read_only
        .address_space:  global
        .offset:         16
        .size:           8
        .value_kind:     global_buffer
      - .offset:         24
        .size:           8
        .value_kind:     by_value
      - .actual_access:  read_only
        .address_space:  global
        .offset:         32
        .size:           8
        .value_kind:     global_buffer
      - .actual_access:  read_only
        .address_space:  global
        .offset:         40
        .size:           8
        .value_kind:     global_buffer
      - .actual_access:  read_only
        .address_space:  global
        .offset:         48
        .size:           8
        .value_kind:     global_buffer
      - .actual_access:  read_only
        .address_space:  global
        .offset:         56
        .size:           8
        .value_kind:     global_buffer
      - .actual_access:  read_only
        .address_space:  global
        .offset:         64
        .size:           8
        .value_kind:     global_buffer
      - .actual_access:  read_only
        .address_space:  global
        .offset:         72
        .size:           8
        .value_kind:     global_buffer
      - .offset:         80
        .size:           8
        .value_kind:     by_value
      - .actual_access:  read_only
        .address_space:  global
        .offset:         88
        .size:           8
        .value_kind:     global_buffer
      - .actual_access:  read_only
        .address_space:  global
        .offset:         96
        .size:           8
        .value_kind:     global_buffer
      - .actual_access:  read_only
        .address_space:  global
        .offset:         104
        .size:           8
        .value_kind:     global_buffer
      - .actual_access:  read_only
        .address_space:  global
        .offset:         112
        .size:           8
        .value_kind:     global_buffer
      - .actual_access:  read_only
        .address_space:  global
        .offset:         120
        .size:           8
        .value_kind:     global_buffer
      - .actual_access:  write_only
        .address_space:  global
        .offset:         128
        .size:           8
        .value_kind:     global_buffer
      - .offset:         136
        .size:           4
        .value_kind:     by_value
      - .offset:         140
        .size:           4
        .value_kind:     by_value
      - .offset:         144
        .size:           4
        .value_kind:     by_value
      - .offset:         148
        .size:           4
        .value_kind:     by_value
      - .offset:         152
        .size:           1
        .value_kind:     by_value
      - .offset:         153
        .size:           1
        .value_kind:     by_value
      - .offset:         154
        .size:           1
        .value_kind:     by_value
    .group_segment_fixed_size: 0
    .kernarg_segment_align: 8
    .kernarg_segment_size: 156
    .language:       OpenCL C
    .language_version:
      - 2
      - 0
    .max_flat_workgroup_size: 128
    .name:           _ZN9rocsparseL41csrgemm_numeric_fill_block_per_row_kernelILj128ELj16ELj256ELj137ELj32Eli21rocsparse_complex_numIfEEEvT5_PKS3_S5_NS_24const_host_device_scalarIT6_EEPKT4_S5_PKS7_SB_S5_SD_S8_SB_S5_SD_SB_S5_PS7_21rocsparse_index_base_SF_SF_SF_bbb
    .private_segment_fixed_size: 0
    .sgpr_count:     48
    .sgpr_spill_count: 0
    .symbol:         _ZN9rocsparseL41csrgemm_numeric_fill_block_per_row_kernelILj128ELj16ELj256ELj137ELj32Eli21rocsparse_complex_numIfEEEvT5_PKS3_S5_NS_24const_host_device_scalarIT6_EEPKT4_S5_PKS7_SB_S5_SD_S8_SB_S5_SD_SB_S5_PS7_21rocsparse_index_base_SF_SF_SF_bbb.kd
    .uniform_work_group_size: 1
    .uses_dynamic_stack: false
    .vgpr_count:     20
    .vgpr_spill_count: 0
    .wavefront_size: 32
    .workgroup_processor_mode: 1
  - .args:
      - .offset:         0
        .size:           4
        .value_kind:     by_value
      - .actual_access:  read_only
        .address_space:  global
        .offset:         8
        .size:           8
        .value_kind:     global_buffer
      - .actual_access:  read_only
        .address_space:  global
        .offset:         16
        .size:           8
        .value_kind:     global_buffer
      - .offset:         24
        .size:           8
        .value_kind:     by_value
      - .actual_access:  read_only
        .address_space:  global
        .offset:         32
        .size:           8
        .value_kind:     global_buffer
      - .actual_access:  read_only
        .address_space:  global
        .offset:         40
        .size:           8
        .value_kind:     global_buffer
      - .actual_access:  read_only
        .address_space:  global
        .offset:         48
        .size:           8
        .value_kind:     global_buffer
      - .actual_access:  read_only
        .address_space:  global
        .offset:         56
        .size:           8
        .value_kind:     global_buffer
      - .actual_access:  read_only
        .address_space:  global
        .offset:         64
        .size:           8
        .value_kind:     global_buffer
      - .actual_access:  read_only
        .address_space:  global
        .offset:         72
        .size:           8
        .value_kind:     global_buffer
      - .offset:         80
        .size:           8
        .value_kind:     by_value
      - .actual_access:  read_only
        .address_space:  global
        .offset:         88
        .size:           8
        .value_kind:     global_buffer
      - .actual_access:  read_only
        .address_space:  global
        .offset:         96
        .size:           8
        .value_kind:     global_buffer
      - .actual_access:  read_only
        .address_space:  global
        .offset:         104
        .size:           8
        .value_kind:     global_buffer
      - .actual_access:  read_only
        .address_space:  global
        .offset:         112
        .size:           8
        .value_kind:     global_buffer
      - .actual_access:  read_only
        .address_space:  global
        .offset:         120
        .size:           8
        .value_kind:     global_buffer
      - .actual_access:  write_only
        .address_space:  global
        .offset:         128
        .size:           8
        .value_kind:     global_buffer
      - .offset:         136
        .size:           4
        .value_kind:     by_value
      - .offset:         140
        .size:           4
        .value_kind:     by_value
      - .offset:         144
        .size:           4
        .value_kind:     by_value
      - .offset:         148
        .size:           4
        .value_kind:     by_value
      - .offset:         152
        .size:           1
        .value_kind:     by_value
      - .offset:         153
        .size:           1
        .value_kind:     by_value
      - .offset:         154
        .size:           1
        .value_kind:     by_value
    .group_segment_fixed_size: 0
    .kernarg_segment_align: 8
    .kernarg_segment_size: 156
    .language:       OpenCL C
    .language_version:
      - 2
      - 0
    .max_flat_workgroup_size: 128
    .name:           _ZN9rocsparseL41csrgemm_numeric_fill_block_per_row_kernelILj128ELj16ELj256ELj137ELj64Eli21rocsparse_complex_numIfEEEvT5_PKS3_S5_NS_24const_host_device_scalarIT6_EEPKT4_S5_PKS7_SB_S5_SD_S8_SB_S5_SD_SB_S5_PS7_21rocsparse_index_base_SF_SF_SF_bbb
    .private_segment_fixed_size: 0
    .sgpr_count:     48
    .sgpr_spill_count: 0
    .symbol:         _ZN9rocsparseL41csrgemm_numeric_fill_block_per_row_kernelILj128ELj16ELj256ELj137ELj64Eli21rocsparse_complex_numIfEEEvT5_PKS3_S5_NS_24const_host_device_scalarIT6_EEPKT4_S5_PKS7_SB_S5_SD_S8_SB_S5_SD_SB_S5_PS7_21rocsparse_index_base_SF_SF_SF_bbb.kd
    .uniform_work_group_size: 1
    .uses_dynamic_stack: false
    .vgpr_count:     21
    .vgpr_spill_count: 0
    .wavefront_size: 32
    .workgroup_processor_mode: 1
  - .args:
      - .offset:         0
        .size:           4
        .value_kind:     by_value
      - .actual_access:  read_only
        .address_space:  global
        .offset:         8
        .size:           8
        .value_kind:     global_buffer
      - .actual_access:  read_only
        .address_space:  global
        .offset:         16
        .size:           8
        .value_kind:     global_buffer
      - .offset:         24
        .size:           8
        .value_kind:     by_value
      - .actual_access:  read_only
        .address_space:  global
        .offset:         32
        .size:           8
        .value_kind:     global_buffer
      - .actual_access:  read_only
        .address_space:  global
        .offset:         40
        .size:           8
        .value_kind:     global_buffer
      - .actual_access:  read_only
        .address_space:  global
        .offset:         48
        .size:           8
        .value_kind:     global_buffer
      - .actual_access:  read_only
        .address_space:  global
        .offset:         56
        .size:           8
        .value_kind:     global_buffer
      - .actual_access:  read_only
        .address_space:  global
        .offset:         64
        .size:           8
        .value_kind:     global_buffer
      - .actual_access:  read_only
        .address_space:  global
        .offset:         72
        .size:           8
        .value_kind:     global_buffer
      - .offset:         80
        .size:           8
        .value_kind:     by_value
      - .actual_access:  read_only
        .address_space:  global
        .offset:         88
        .size:           8
        .value_kind:     global_buffer
      - .actual_access:  read_only
        .address_space:  global
        .offset:         96
        .size:           8
        .value_kind:     global_buffer
      - .actual_access:  read_only
        .address_space:  global
        .offset:         104
        .size:           8
        .value_kind:     global_buffer
      - .actual_access:  read_only
        .address_space:  global
        .offset:         112
        .size:           8
        .value_kind:     global_buffer
      - .actual_access:  read_only
        .address_space:  global
        .offset:         120
        .size:           8
        .value_kind:     global_buffer
      - .actual_access:  write_only
        .address_space:  global
        .offset:         128
        .size:           8
        .value_kind:     global_buffer
      - .offset:         136
        .size:           4
        .value_kind:     by_value
      - .offset:         140
        .size:           4
        .value_kind:     by_value
      - .offset:         144
        .size:           4
        .value_kind:     by_value
      - .offset:         148
        .size:           4
        .value_kind:     by_value
      - .offset:         152
        .size:           1
        .value_kind:     by_value
      - .offset:         153
        .size:           1
        .value_kind:     by_value
      - .offset:         154
        .size:           1
        .value_kind:     by_value
    .group_segment_fixed_size: 0
    .kernarg_segment_align: 8
    .kernarg_segment_size: 156
    .language:       OpenCL C
    .language_version:
      - 2
      - 0
    .max_flat_workgroup_size: 256
    .name:           _ZN9rocsparseL41csrgemm_numeric_fill_block_per_row_kernelILj256ELj32ELj512ELj137ELj32Eli21rocsparse_complex_numIfEEEvT5_PKS3_S5_NS_24const_host_device_scalarIT6_EEPKT4_S5_PKS7_SB_S5_SD_S8_SB_S5_SD_SB_S5_PS7_21rocsparse_index_base_SF_SF_SF_bbb
    .private_segment_fixed_size: 0
    .sgpr_count:     48
    .sgpr_spill_count: 0
    .symbol:         _ZN9rocsparseL41csrgemm_numeric_fill_block_per_row_kernelILj256ELj32ELj512ELj137ELj32Eli21rocsparse_complex_numIfEEEvT5_PKS3_S5_NS_24const_host_device_scalarIT6_EEPKT4_S5_PKS7_SB_S5_SD_S8_SB_S5_SD_SB_S5_PS7_21rocsparse_index_base_SF_SF_SF_bbb.kd
    .uniform_work_group_size: 1
    .uses_dynamic_stack: false
    .vgpr_count:     21
    .vgpr_spill_count: 0
    .wavefront_size: 32
    .workgroup_processor_mode: 1
  - .args:
      - .offset:         0
        .size:           4
        .value_kind:     by_value
      - .actual_access:  read_only
        .address_space:  global
        .offset:         8
        .size:           8
        .value_kind:     global_buffer
      - .actual_access:  read_only
        .address_space:  global
        .offset:         16
        .size:           8
        .value_kind:     global_buffer
      - .offset:         24
        .size:           8
        .value_kind:     by_value
      - .actual_access:  read_only
        .address_space:  global
        .offset:         32
        .size:           8
        .value_kind:     global_buffer
      - .actual_access:  read_only
        .address_space:  global
        .offset:         40
        .size:           8
        .value_kind:     global_buffer
      - .actual_access:  read_only
        .address_space:  global
        .offset:         48
        .size:           8
        .value_kind:     global_buffer
      - .actual_access:  read_only
        .address_space:  global
        .offset:         56
        .size:           8
        .value_kind:     global_buffer
      - .actual_access:  read_only
        .address_space:  global
        .offset:         64
        .size:           8
        .value_kind:     global_buffer
      - .actual_access:  read_only
        .address_space:  global
        .offset:         72
        .size:           8
        .value_kind:     global_buffer
      - .offset:         80
        .size:           8
        .value_kind:     by_value
      - .actual_access:  read_only
        .address_space:  global
        .offset:         88
        .size:           8
        .value_kind:     global_buffer
      - .actual_access:  read_only
        .address_space:  global
        .offset:         96
        .size:           8
        .value_kind:     global_buffer
      - .actual_access:  read_only
        .address_space:  global
        .offset:         104
        .size:           8
        .value_kind:     global_buffer
      - .actual_access:  read_only
        .address_space:  global
        .offset:         112
        .size:           8
        .value_kind:     global_buffer
      - .actual_access:  read_only
        .address_space:  global
        .offset:         120
        .size:           8
        .value_kind:     global_buffer
      - .actual_access:  write_only
        .address_space:  global
        .offset:         128
        .size:           8
        .value_kind:     global_buffer
      - .offset:         136
        .size:           4
        .value_kind:     by_value
      - .offset:         140
        .size:           4
        .value_kind:     by_value
      - .offset:         144
        .size:           4
        .value_kind:     by_value
      - .offset:         148
        .size:           4
        .value_kind:     by_value
      - .offset:         152
        .size:           1
        .value_kind:     by_value
      - .offset:         153
        .size:           1
        .value_kind:     by_value
      - .offset:         154
        .size:           1
        .value_kind:     by_value
    .group_segment_fixed_size: 0
    .kernarg_segment_align: 8
    .kernarg_segment_size: 156
    .language:       OpenCL C
    .language_version:
      - 2
      - 0
    .max_flat_workgroup_size: 256
    .name:           _ZN9rocsparseL41csrgemm_numeric_fill_block_per_row_kernelILj256ELj32ELj512ELj137ELj64Eli21rocsparse_complex_numIfEEEvT5_PKS3_S5_NS_24const_host_device_scalarIT6_EEPKT4_S5_PKS7_SB_S5_SD_S8_SB_S5_SD_SB_S5_PS7_21rocsparse_index_base_SF_SF_SF_bbb
    .private_segment_fixed_size: 0
    .sgpr_count:     48
    .sgpr_spill_count: 0
    .symbol:         _ZN9rocsparseL41csrgemm_numeric_fill_block_per_row_kernelILj256ELj32ELj512ELj137ELj64Eli21rocsparse_complex_numIfEEEvT5_PKS3_S5_NS_24const_host_device_scalarIT6_EEPKT4_S5_PKS7_SB_S5_SD_S8_SB_S5_SD_SB_S5_PS7_21rocsparse_index_base_SF_SF_SF_bbb.kd
    .uniform_work_group_size: 1
    .uses_dynamic_stack: false
    .vgpr_count:     20
    .vgpr_spill_count: 0
    .wavefront_size: 32
    .workgroup_processor_mode: 1
  - .args:
      - .offset:         0
        .size:           4
        .value_kind:     by_value
      - .actual_access:  read_only
        .address_space:  global
        .offset:         8
        .size:           8
        .value_kind:     global_buffer
      - .actual_access:  read_only
        .address_space:  global
        .offset:         16
        .size:           8
        .value_kind:     global_buffer
      - .offset:         24
        .size:           8
        .value_kind:     by_value
      - .actual_access:  read_only
        .address_space:  global
        .offset:         32
        .size:           8
        .value_kind:     global_buffer
      - .actual_access:  read_only
        .address_space:  global
        .offset:         40
        .size:           8
        .value_kind:     global_buffer
      - .actual_access:  read_only
        .address_space:  global
        .offset:         48
        .size:           8
        .value_kind:     global_buffer
      - .actual_access:  read_only
        .address_space:  global
        .offset:         56
        .size:           8
        .value_kind:     global_buffer
      - .actual_access:  read_only
        .address_space:  global
        .offset:         64
        .size:           8
        .value_kind:     global_buffer
      - .actual_access:  read_only
        .address_space:  global
        .offset:         72
        .size:           8
        .value_kind:     global_buffer
      - .offset:         80
        .size:           8
        .value_kind:     by_value
      - .actual_access:  read_only
        .address_space:  global
        .offset:         88
        .size:           8
        .value_kind:     global_buffer
      - .actual_access:  read_only
        .address_space:  global
        .offset:         96
        .size:           8
        .value_kind:     global_buffer
      - .actual_access:  read_only
        .address_space:  global
        .offset:         104
        .size:           8
        .value_kind:     global_buffer
      - .actual_access:  read_only
        .address_space:  global
        .offset:         112
        .size:           8
        .value_kind:     global_buffer
      - .actual_access:  read_only
        .address_space:  global
        .offset:         120
        .size:           8
        .value_kind:     global_buffer
      - .actual_access:  write_only
        .address_space:  global
        .offset:         128
        .size:           8
        .value_kind:     global_buffer
      - .offset:         136
        .size:           4
        .value_kind:     by_value
      - .offset:         140
        .size:           4
        .value_kind:     by_value
      - .offset:         144
        .size:           4
        .value_kind:     by_value
      - .offset:         148
        .size:           4
        .value_kind:     by_value
      - .offset:         152
        .size:           1
        .value_kind:     by_value
      - .offset:         153
        .size:           1
        .value_kind:     by_value
      - .offset:         154
        .size:           1
        .value_kind:     by_value
    .group_segment_fixed_size: 0
    .kernarg_segment_align: 8
    .kernarg_segment_size: 156
    .language:       OpenCL C
    .language_version:
      - 2
      - 0
    .max_flat_workgroup_size: 512
    .name:           _ZN9rocsparseL41csrgemm_numeric_fill_block_per_row_kernelILj512ELj32ELj1024ELj137ELj32Eli21rocsparse_complex_numIfEEEvT5_PKS3_S5_NS_24const_host_device_scalarIT6_EEPKT4_S5_PKS7_SB_S5_SD_S8_SB_S5_SD_SB_S5_PS7_21rocsparse_index_base_SF_SF_SF_bbb
    .private_segment_fixed_size: 0
    .sgpr_count:     50
    .sgpr_spill_count: 0
    .symbol:         _ZN9rocsparseL41csrgemm_numeric_fill_block_per_row_kernelILj512ELj32ELj1024ELj137ELj32Eli21rocsparse_complex_numIfEEEvT5_PKS3_S5_NS_24const_host_device_scalarIT6_EEPKT4_S5_PKS7_SB_S5_SD_S8_SB_S5_SD_SB_S5_PS7_21rocsparse_index_base_SF_SF_SF_bbb.kd
    .uniform_work_group_size: 1
    .uses_dynamic_stack: false
    .vgpr_count:     21
    .vgpr_spill_count: 0
    .wavefront_size: 32
    .workgroup_processor_mode: 1
  - .args:
      - .offset:         0
        .size:           4
        .value_kind:     by_value
      - .actual_access:  read_only
        .address_space:  global
        .offset:         8
        .size:           8
        .value_kind:     global_buffer
      - .actual_access:  read_only
        .address_space:  global
        .offset:         16
        .size:           8
        .value_kind:     global_buffer
      - .offset:         24
        .size:           8
        .value_kind:     by_value
      - .actual_access:  read_only
        .address_space:  global
        .offset:         32
        .size:           8
        .value_kind:     global_buffer
      - .actual_access:  read_only
        .address_space:  global
        .offset:         40
        .size:           8
        .value_kind:     global_buffer
      - .actual_access:  read_only
        .address_space:  global
        .offset:         48
        .size:           8
        .value_kind:     global_buffer
      - .actual_access:  read_only
        .address_space:  global
        .offset:         56
        .size:           8
        .value_kind:     global_buffer
      - .actual_access:  read_only
        .address_space:  global
        .offset:         64
        .size:           8
        .value_kind:     global_buffer
      - .actual_access:  read_only
        .address_space:  global
        .offset:         72
        .size:           8
        .value_kind:     global_buffer
      - .offset:         80
        .size:           8
        .value_kind:     by_value
      - .actual_access:  read_only
        .address_space:  global
        .offset:         88
        .size:           8
        .value_kind:     global_buffer
      - .actual_access:  read_only
        .address_space:  global
        .offset:         96
        .size:           8
        .value_kind:     global_buffer
      - .actual_access:  read_only
        .address_space:  global
        .offset:         104
        .size:           8
        .value_kind:     global_buffer
      - .actual_access:  read_only
        .address_space:  global
        .offset:         112
        .size:           8
        .value_kind:     global_buffer
      - .actual_access:  read_only
        .address_space:  global
        .offset:         120
        .size:           8
        .value_kind:     global_buffer
      - .actual_access:  write_only
        .address_space:  global
        .offset:         128
        .size:           8
        .value_kind:     global_buffer
      - .offset:         136
        .size:           4
        .value_kind:     by_value
      - .offset:         140
        .size:           4
        .value_kind:     by_value
      - .offset:         144
        .size:           4
        .value_kind:     by_value
      - .offset:         148
        .size:           4
        .value_kind:     by_value
      - .offset:         152
        .size:           1
        .value_kind:     by_value
      - .offset:         153
        .size:           1
        .value_kind:     by_value
      - .offset:         154
        .size:           1
        .value_kind:     by_value
    .group_segment_fixed_size: 0
    .kernarg_segment_align: 8
    .kernarg_segment_size: 156
    .language:       OpenCL C
    .language_version:
      - 2
      - 0
    .max_flat_workgroup_size: 512
    .name:           _ZN9rocsparseL41csrgemm_numeric_fill_block_per_row_kernelILj512ELj32ELj1024ELj137ELj64Eli21rocsparse_complex_numIfEEEvT5_PKS3_S5_NS_24const_host_device_scalarIT6_EEPKT4_S5_PKS7_SB_S5_SD_S8_SB_S5_SD_SB_S5_PS7_21rocsparse_index_base_SF_SF_SF_bbb
    .private_segment_fixed_size: 0
    .sgpr_count:     47
    .sgpr_spill_count: 0
    .symbol:         _ZN9rocsparseL41csrgemm_numeric_fill_block_per_row_kernelILj512ELj32ELj1024ELj137ELj64Eli21rocsparse_complex_numIfEEEvT5_PKS3_S5_NS_24const_host_device_scalarIT6_EEPKT4_S5_PKS7_SB_S5_SD_S8_SB_S5_SD_SB_S5_PS7_21rocsparse_index_base_SF_SF_SF_bbb.kd
    .uniform_work_group_size: 1
    .uses_dynamic_stack: false
    .vgpr_count:     20
    .vgpr_spill_count: 0
    .wavefront_size: 32
    .workgroup_processor_mode: 1
  - .args:
      - .offset:         0
        .size:           4
        .value_kind:     by_value
      - .actual_access:  read_only
        .address_space:  global
        .offset:         8
        .size:           8
        .value_kind:     global_buffer
      - .actual_access:  read_only
        .address_space:  global
        .offset:         16
        .size:           8
        .value_kind:     global_buffer
      - .offset:         24
        .size:           8
        .value_kind:     by_value
      - .actual_access:  read_only
        .address_space:  global
        .offset:         32
        .size:           8
        .value_kind:     global_buffer
      - .actual_access:  read_only
        .address_space:  global
        .offset:         40
        .size:           8
        .value_kind:     global_buffer
      - .actual_access:  read_only
        .address_space:  global
        .offset:         48
        .size:           8
        .value_kind:     global_buffer
      - .actual_access:  read_only
        .address_space:  global
        .offset:         56
        .size:           8
        .value_kind:     global_buffer
      - .actual_access:  read_only
        .address_space:  global
        .offset:         64
        .size:           8
        .value_kind:     global_buffer
      - .actual_access:  read_only
        .address_space:  global
        .offset:         72
        .size:           8
        .value_kind:     global_buffer
      - .offset:         80
        .size:           8
        .value_kind:     by_value
      - .actual_access:  read_only
        .address_space:  global
        .offset:         88
        .size:           8
        .value_kind:     global_buffer
      - .actual_access:  read_only
        .address_space:  global
        .offset:         96
        .size:           8
        .value_kind:     global_buffer
      - .actual_access:  read_only
        .address_space:  global
        .offset:         104
        .size:           8
        .value_kind:     global_buffer
      - .actual_access:  read_only
        .address_space:  global
        .offset:         112
        .size:           8
        .value_kind:     global_buffer
      - .actual_access:  read_only
        .address_space:  global
        .offset:         120
        .size:           8
        .value_kind:     global_buffer
      - .actual_access:  write_only
        .address_space:  global
        .offset:         128
        .size:           8
        .value_kind:     global_buffer
      - .offset:         136
        .size:           4
        .value_kind:     by_value
      - .offset:         140
        .size:           4
        .value_kind:     by_value
      - .offset:         144
        .size:           4
        .value_kind:     by_value
      - .offset:         148
        .size:           4
        .value_kind:     by_value
      - .offset:         152
        .size:           1
        .value_kind:     by_value
      - .offset:         153
        .size:           1
        .value_kind:     by_value
      - .offset:         154
        .size:           1
        .value_kind:     by_value
    .group_segment_fixed_size: 0
    .kernarg_segment_align: 8
    .kernarg_segment_size: 156
    .language:       OpenCL C
    .language_version:
      - 2
      - 0
    .max_flat_workgroup_size: 1024
    .name:           _ZN9rocsparseL41csrgemm_numeric_fill_block_per_row_kernelILj1024ELj32ELj2048ELj137ELj32Eli21rocsparse_complex_numIfEEEvT5_PKS3_S5_NS_24const_host_device_scalarIT6_EEPKT4_S5_PKS7_SB_S5_SD_S8_SB_S5_SD_SB_S5_PS7_21rocsparse_index_base_SF_SF_SF_bbb
    .private_segment_fixed_size: 0
    .sgpr_count:     47
    .sgpr_spill_count: 0
    .symbol:         _ZN9rocsparseL41csrgemm_numeric_fill_block_per_row_kernelILj1024ELj32ELj2048ELj137ELj32Eli21rocsparse_complex_numIfEEEvT5_PKS3_S5_NS_24const_host_device_scalarIT6_EEPKT4_S5_PKS7_SB_S5_SD_S8_SB_S5_SD_SB_S5_PS7_21rocsparse_index_base_SF_SF_SF_bbb.kd
    .uniform_work_group_size: 1
    .uses_dynamic_stack: false
    .vgpr_count:     21
    .vgpr_spill_count: 0
    .wavefront_size: 32
    .workgroup_processor_mode: 1
  - .args:
      - .offset:         0
        .size:           4
        .value_kind:     by_value
      - .actual_access:  read_only
        .address_space:  global
        .offset:         8
        .size:           8
        .value_kind:     global_buffer
      - .actual_access:  read_only
        .address_space:  global
        .offset:         16
        .size:           8
        .value_kind:     global_buffer
      - .offset:         24
        .size:           8
        .value_kind:     by_value
      - .actual_access:  read_only
        .address_space:  global
        .offset:         32
        .size:           8
        .value_kind:     global_buffer
      - .actual_access:  read_only
        .address_space:  global
        .offset:         40
        .size:           8
        .value_kind:     global_buffer
      - .actual_access:  read_only
        .address_space:  global
        .offset:         48
        .size:           8
        .value_kind:     global_buffer
      - .actual_access:  read_only
        .address_space:  global
        .offset:         56
        .size:           8
        .value_kind:     global_buffer
      - .actual_access:  read_only
        .address_space:  global
        .offset:         64
        .size:           8
        .value_kind:     global_buffer
      - .actual_access:  read_only
        .address_space:  global
        .offset:         72
        .size:           8
        .value_kind:     global_buffer
      - .offset:         80
        .size:           8
        .value_kind:     by_value
      - .actual_access:  read_only
        .address_space:  global
        .offset:         88
        .size:           8
        .value_kind:     global_buffer
      - .actual_access:  read_only
        .address_space:  global
        .offset:         96
        .size:           8
        .value_kind:     global_buffer
      - .actual_access:  read_only
        .address_space:  global
        .offset:         104
        .size:           8
        .value_kind:     global_buffer
      - .actual_access:  read_only
        .address_space:  global
        .offset:         112
        .size:           8
        .value_kind:     global_buffer
      - .actual_access:  read_only
        .address_space:  global
        .offset:         120
        .size:           8
        .value_kind:     global_buffer
      - .actual_access:  write_only
        .address_space:  global
        .offset:         128
        .size:           8
        .value_kind:     global_buffer
      - .offset:         136
        .size:           4
        .value_kind:     by_value
      - .offset:         140
        .size:           4
        .value_kind:     by_value
      - .offset:         144
        .size:           4
        .value_kind:     by_value
      - .offset:         148
        .size:           4
        .value_kind:     by_value
      - .offset:         152
        .size:           1
        .value_kind:     by_value
      - .offset:         153
        .size:           1
        .value_kind:     by_value
      - .offset:         154
        .size:           1
        .value_kind:     by_value
    .group_segment_fixed_size: 0
    .kernarg_segment_align: 8
    .kernarg_segment_size: 156
    .language:       OpenCL C
    .language_version:
      - 2
      - 0
    .max_flat_workgroup_size: 1024
    .name:           _ZN9rocsparseL41csrgemm_numeric_fill_block_per_row_kernelILj1024ELj32ELj2048ELj137ELj64Eli21rocsparse_complex_numIfEEEvT5_PKS3_S5_NS_24const_host_device_scalarIT6_EEPKT4_S5_PKS7_SB_S5_SD_S8_SB_S5_SD_SB_S5_PS7_21rocsparse_index_base_SF_SF_SF_bbb
    .private_segment_fixed_size: 0
    .sgpr_count:     50
    .sgpr_spill_count: 0
    .symbol:         _ZN9rocsparseL41csrgemm_numeric_fill_block_per_row_kernelILj1024ELj32ELj2048ELj137ELj64Eli21rocsparse_complex_numIfEEEvT5_PKS3_S5_NS_24const_host_device_scalarIT6_EEPKT4_S5_PKS7_SB_S5_SD_S8_SB_S5_SD_SB_S5_PS7_21rocsparse_index_base_SF_SF_SF_bbb.kd
    .uniform_work_group_size: 1
    .uses_dynamic_stack: false
    .vgpr_count:     20
    .vgpr_spill_count: 0
    .wavefront_size: 32
    .workgroup_processor_mode: 1
  - .args:
      - .offset:         0
        .size:           4
        .value_kind:     by_value
      - .actual_access:  read_only
        .address_space:  global
        .offset:         8
        .size:           8
        .value_kind:     global_buffer
      - .actual_access:  read_only
        .address_space:  global
        .offset:         16
        .size:           8
        .value_kind:     global_buffer
      - .offset:         24
        .size:           8
        .value_kind:     by_value
      - .actual_access:  read_only
        .address_space:  global
        .offset:         32
        .size:           8
        .value_kind:     global_buffer
      - .actual_access:  read_only
        .address_space:  global
        .offset:         40
        .size:           8
        .value_kind:     global_buffer
      - .actual_access:  read_only
        .address_space:  global
        .offset:         48
        .size:           8
        .value_kind:     global_buffer
      - .actual_access:  read_only
        .address_space:  global
        .offset:         56
        .size:           8
        .value_kind:     global_buffer
      - .actual_access:  read_only
        .address_space:  global
        .offset:         64
        .size:           8
        .value_kind:     global_buffer
      - .actual_access:  read_only
        .address_space:  global
        .offset:         72
        .size:           8
        .value_kind:     global_buffer
      - .offset:         80
        .size:           8
        .value_kind:     by_value
      - .actual_access:  read_only
        .address_space:  global
        .offset:         88
        .size:           8
        .value_kind:     global_buffer
      - .actual_access:  read_only
        .address_space:  global
        .offset:         96
        .size:           8
        .value_kind:     global_buffer
      - .actual_access:  read_only
        .address_space:  global
        .offset:         104
        .size:           8
        .value_kind:     global_buffer
      - .actual_access:  read_only
        .address_space:  global
        .offset:         112
        .size:           8
        .value_kind:     global_buffer
      - .actual_access:  read_only
        .address_space:  global
        .offset:         120
        .size:           8
        .value_kind:     global_buffer
      - .actual_access:  write_only
        .address_space:  global
        .offset:         128
        .size:           8
        .value_kind:     global_buffer
      - .offset:         136
        .size:           4
        .value_kind:     by_value
      - .offset:         140
        .size:           4
        .value_kind:     by_value
      - .offset:         144
        .size:           4
        .value_kind:     by_value
      - .offset:         148
        .size:           4
        .value_kind:     by_value
      - .offset:         152
        .size:           1
        .value_kind:     by_value
      - .offset:         153
        .size:           1
        .value_kind:     by_value
      - .offset:         154
        .size:           1
        .value_kind:     by_value
    .group_segment_fixed_size: 0
    .kernarg_segment_align: 8
    .kernarg_segment_size: 156
    .language:       OpenCL C
    .language_version:
      - 2
      - 0
    .max_flat_workgroup_size: 1024
    .name:           _ZN9rocsparseL41csrgemm_numeric_fill_block_per_row_kernelILj1024ELj64ELj4096ELj137ELj32Eli21rocsparse_complex_numIfEEEvT5_PKS3_S5_NS_24const_host_device_scalarIT6_EEPKT4_S5_PKS7_SB_S5_SD_S8_SB_S5_SD_SB_S5_PS7_21rocsparse_index_base_SF_SF_SF_bbb
    .private_segment_fixed_size: 0
    .sgpr_count:     47
    .sgpr_spill_count: 0
    .symbol:         _ZN9rocsparseL41csrgemm_numeric_fill_block_per_row_kernelILj1024ELj64ELj4096ELj137ELj32Eli21rocsparse_complex_numIfEEEvT5_PKS3_S5_NS_24const_host_device_scalarIT6_EEPKT4_S5_PKS7_SB_S5_SD_S8_SB_S5_SD_SB_S5_PS7_21rocsparse_index_base_SF_SF_SF_bbb.kd
    .uniform_work_group_size: 1
    .uses_dynamic_stack: false
    .vgpr_count:     20
    .vgpr_spill_count: 0
    .wavefront_size: 32
    .workgroup_processor_mode: 1
  - .args:
      - .offset:         0
        .size:           4
        .value_kind:     by_value
      - .actual_access:  read_only
        .address_space:  global
        .offset:         8
        .size:           8
        .value_kind:     global_buffer
      - .actual_access:  read_only
        .address_space:  global
        .offset:         16
        .size:           8
        .value_kind:     global_buffer
      - .offset:         24
        .size:           8
        .value_kind:     by_value
      - .actual_access:  read_only
        .address_space:  global
        .offset:         32
        .size:           8
        .value_kind:     global_buffer
      - .actual_access:  read_only
        .address_space:  global
        .offset:         40
        .size:           8
        .value_kind:     global_buffer
      - .actual_access:  read_only
        .address_space:  global
        .offset:         48
        .size:           8
        .value_kind:     global_buffer
      - .actual_access:  read_only
        .address_space:  global
        .offset:         56
        .size:           8
        .value_kind:     global_buffer
      - .actual_access:  read_only
        .address_space:  global
        .offset:         64
        .size:           8
        .value_kind:     global_buffer
      - .actual_access:  read_only
        .address_space:  global
        .offset:         72
        .size:           8
        .value_kind:     global_buffer
      - .offset:         80
        .size:           8
        .value_kind:     by_value
      - .actual_access:  read_only
        .address_space:  global
        .offset:         88
        .size:           8
        .value_kind:     global_buffer
      - .actual_access:  read_only
        .address_space:  global
        .offset:         96
        .size:           8
        .value_kind:     global_buffer
      - .actual_access:  read_only
        .address_space:  global
        .offset:         104
        .size:           8
        .value_kind:     global_buffer
      - .actual_access:  read_only
        .address_space:  global
        .offset:         112
        .size:           8
        .value_kind:     global_buffer
      - .actual_access:  read_only
        .address_space:  global
        .offset:         120
        .size:           8
        .value_kind:     global_buffer
      - .actual_access:  write_only
        .address_space:  global
        .offset:         128
        .size:           8
        .value_kind:     global_buffer
      - .offset:         136
        .size:           4
        .value_kind:     by_value
      - .offset:         140
        .size:           4
        .value_kind:     by_value
      - .offset:         144
        .size:           4
        .value_kind:     by_value
      - .offset:         148
        .size:           4
        .value_kind:     by_value
      - .offset:         152
        .size:           1
        .value_kind:     by_value
      - .offset:         153
        .size:           1
        .value_kind:     by_value
      - .offset:         154
        .size:           1
        .value_kind:     by_value
    .group_segment_fixed_size: 0
    .kernarg_segment_align: 8
    .kernarg_segment_size: 156
    .language:       OpenCL C
    .language_version:
      - 2
      - 0
    .max_flat_workgroup_size: 1024
    .name:           _ZN9rocsparseL41csrgemm_numeric_fill_block_per_row_kernelILj1024ELj64ELj4096ELj137ELj64Eli21rocsparse_complex_numIfEEEvT5_PKS3_S5_NS_24const_host_device_scalarIT6_EEPKT4_S5_PKS7_SB_S5_SD_S8_SB_S5_SD_SB_S5_PS7_21rocsparse_index_base_SF_SF_SF_bbb
    .private_segment_fixed_size: 0
    .sgpr_count:     50
    .sgpr_spill_count: 0
    .symbol:         _ZN9rocsparseL41csrgemm_numeric_fill_block_per_row_kernelILj1024ELj64ELj4096ELj137ELj64Eli21rocsparse_complex_numIfEEEvT5_PKS3_S5_NS_24const_host_device_scalarIT6_EEPKT4_S5_PKS7_SB_S5_SD_S8_SB_S5_SD_SB_S5_PS7_21rocsparse_index_base_SF_SF_SF_bbb.kd
    .uniform_work_group_size: 1
    .uses_dynamic_stack: false
    .vgpr_count:     21
    .vgpr_spill_count: 0
    .wavefront_size: 32
    .workgroup_processor_mode: 1
  - .args:
      - .offset:         0
        .size:           4
        .value_kind:     by_value
      - .actual_access:  read_only
        .address_space:  global
        .offset:         8
        .size:           8
        .value_kind:     global_buffer
      - .actual_access:  read_only
        .address_space:  global
        .offset:         16
        .size:           8
        .value_kind:     global_buffer
      - .offset:         24
        .size:           8
        .value_kind:     by_value
      - .actual_access:  read_only
        .address_space:  global
        .offset:         32
        .size:           8
        .value_kind:     global_buffer
      - .actual_access:  read_only
        .address_space:  global
        .offset:         40
        .size:           8
        .value_kind:     global_buffer
      - .actual_access:  read_only
        .address_space:  global
        .offset:         48
        .size:           8
        .value_kind:     global_buffer
      - .actual_access:  read_only
        .address_space:  global
        .offset:         56
        .size:           8
        .value_kind:     global_buffer
      - .actual_access:  read_only
        .address_space:  global
        .offset:         64
        .size:           8
        .value_kind:     global_buffer
      - .actual_access:  read_only
        .address_space:  global
        .offset:         72
        .size:           8
        .value_kind:     global_buffer
      - .offset:         80
        .size:           8
        .value_kind:     by_value
      - .actual_access:  read_only
        .address_space:  global
        .offset:         88
        .size:           8
        .value_kind:     global_buffer
      - .actual_access:  read_only
        .address_space:  global
        .offset:         96
        .size:           8
        .value_kind:     global_buffer
      - .actual_access:  read_only
        .address_space:  global
        .offset:         104
        .size:           8
        .value_kind:     global_buffer
      - .actual_access:  read_only
        .address_space:  global
        .offset:         112
        .size:           8
        .value_kind:     global_buffer
      - .actual_access:  read_only
        .address_space:  global
        .offset:         120
        .size:           8
        .value_kind:     global_buffer
      - .actual_access:  write_only
        .address_space:  global
        .offset:         128
        .size:           8
        .value_kind:     global_buffer
      - .offset:         136
        .size:           4
        .value_kind:     by_value
      - .offset:         140
        .size:           4
        .value_kind:     by_value
      - .offset:         144
        .size:           4
        .value_kind:     by_value
      - .offset:         148
        .size:           4
        .value_kind:     by_value
      - .offset:         152
        .size:           1
        .value_kind:     by_value
      - .offset:         153
        .size:           1
        .value_kind:     by_value
      - .offset:         154
        .size:           1
        .value_kind:     by_value
    .group_segment_fixed_size: 0
    .kernarg_segment_align: 8
    .kernarg_segment_size: 156
    .language:       OpenCL C
    .language_version:
      - 2
      - 0
    .max_flat_workgroup_size: 1024
    .name:           _ZN9rocsparseL41csrgemm_numeric_fill_block_per_row_kernelILj1024ELj64ELj8192ELj137ELj32Eli21rocsparse_complex_numIfEEEvT5_PKS3_S5_NS_24const_host_device_scalarIT6_EEPKT4_S5_PKS7_SB_S5_SD_S8_SB_S5_SD_SB_S5_PS7_21rocsparse_index_base_SF_SF_SF_bbb
    .private_segment_fixed_size: 0
    .sgpr_count:     76
    .sgpr_spill_count: 0
    .symbol:         _ZN9rocsparseL41csrgemm_numeric_fill_block_per_row_kernelILj1024ELj64ELj8192ELj137ELj32Eli21rocsparse_complex_numIfEEEvT5_PKS3_S5_NS_24const_host_device_scalarIT6_EEPKT4_S5_PKS7_SB_S5_SD_S8_SB_S5_SD_SB_S5_PS7_21rocsparse_index_base_SF_SF_SF_bbb.kd
    .uniform_work_group_size: 1
    .uses_dynamic_stack: false
    .vgpr_count:     19
    .vgpr_spill_count: 0
    .wavefront_size: 32
    .workgroup_processor_mode: 1
  - .args:
      - .offset:         0
        .size:           4
        .value_kind:     by_value
      - .actual_access:  read_only
        .address_space:  global
        .offset:         8
        .size:           8
        .value_kind:     global_buffer
      - .actual_access:  read_only
        .address_space:  global
        .offset:         16
        .size:           8
        .value_kind:     global_buffer
      - .offset:         24
        .size:           8
        .value_kind:     by_value
      - .actual_access:  read_only
        .address_space:  global
        .offset:         32
        .size:           8
        .value_kind:     global_buffer
      - .actual_access:  read_only
        .address_space:  global
        .offset:         40
        .size:           8
        .value_kind:     global_buffer
      - .actual_access:  read_only
        .address_space:  global
        .offset:         48
        .size:           8
        .value_kind:     global_buffer
      - .actual_access:  read_only
        .address_space:  global
        .offset:         56
        .size:           8
        .value_kind:     global_buffer
      - .actual_access:  read_only
        .address_space:  global
        .offset:         64
        .size:           8
        .value_kind:     global_buffer
      - .actual_access:  read_only
        .address_space:  global
        .offset:         72
        .size:           8
        .value_kind:     global_buffer
      - .offset:         80
        .size:           8
        .value_kind:     by_value
      - .actual_access:  read_only
        .address_space:  global
        .offset:         88
        .size:           8
        .value_kind:     global_buffer
      - .actual_access:  read_only
        .address_space:  global
        .offset:         96
        .size:           8
        .value_kind:     global_buffer
      - .actual_access:  read_only
        .address_space:  global
        .offset:         104
        .size:           8
        .value_kind:     global_buffer
      - .actual_access:  read_only
        .address_space:  global
        .offset:         112
        .size:           8
        .value_kind:     global_buffer
      - .actual_access:  read_only
        .address_space:  global
        .offset:         120
        .size:           8
        .value_kind:     global_buffer
      - .actual_access:  write_only
        .address_space:  global
        .offset:         128
        .size:           8
        .value_kind:     global_buffer
      - .offset:         136
        .size:           4
        .value_kind:     by_value
      - .offset:         140
        .size:           4
        .value_kind:     by_value
      - .offset:         144
        .size:           4
        .value_kind:     by_value
      - .offset:         148
        .size:           4
        .value_kind:     by_value
      - .offset:         152
        .size:           1
        .value_kind:     by_value
      - .offset:         153
        .size:           1
        .value_kind:     by_value
      - .offset:         154
        .size:           1
        .value_kind:     by_value
    .group_segment_fixed_size: 0
    .kernarg_segment_align: 8
    .kernarg_segment_size: 156
    .language:       OpenCL C
    .language_version:
      - 2
      - 0
    .max_flat_workgroup_size: 1024
    .name:           _ZN9rocsparseL41csrgemm_numeric_fill_block_per_row_kernelILj1024ELj64ELj8192ELj137ELj64Eli21rocsparse_complex_numIfEEEvT5_PKS3_S5_NS_24const_host_device_scalarIT6_EEPKT4_S5_PKS7_SB_S5_SD_S8_SB_S5_SD_SB_S5_PS7_21rocsparse_index_base_SF_SF_SF_bbb
    .private_segment_fixed_size: 0
    .sgpr_count:     50
    .sgpr_spill_count: 0
    .symbol:         _ZN9rocsparseL41csrgemm_numeric_fill_block_per_row_kernelILj1024ELj64ELj8192ELj137ELj64Eli21rocsparse_complex_numIfEEEvT5_PKS3_S5_NS_24const_host_device_scalarIT6_EEPKT4_S5_PKS7_SB_S5_SD_S8_SB_S5_SD_SB_S5_PS7_21rocsparse_index_base_SF_SF_SF_bbb.kd
    .uniform_work_group_size: 1
    .uses_dynamic_stack: false
    .vgpr_count:     20
    .vgpr_spill_count: 0
    .wavefront_size: 32
    .workgroup_processor_mode: 1
  - .args:
      - .offset:         0
        .size:           4
        .value_kind:     by_value
      - .actual_access:  read_only
        .address_space:  global
        .offset:         8
        .size:           8
        .value_kind:     global_buffer
      - .actual_access:  read_only
        .address_space:  global
        .offset:         16
        .size:           8
        .value_kind:     global_buffer
      - .offset:         24
        .size:           8
        .value_kind:     by_value
      - .actual_access:  read_only
        .address_space:  global
        .offset:         32
        .size:           8
        .value_kind:     global_buffer
      - .actual_access:  read_only
        .address_space:  global
        .offset:         40
        .size:           8
        .value_kind:     global_buffer
      - .actual_access:  read_only
        .address_space:  global
        .offset:         48
        .size:           8
        .value_kind:     global_buffer
      - .actual_access:  read_only
        .address_space:  global
        .offset:         56
        .size:           8
        .value_kind:     global_buffer
      - .actual_access:  read_only
        .address_space:  global
        .offset:         64
        .size:           8
        .value_kind:     global_buffer
      - .actual_access:  read_only
        .address_space:  global
        .offset:         72
        .size:           8
        .value_kind:     global_buffer
      - .offset:         80
        .size:           8
        .value_kind:     by_value
      - .actual_access:  read_only
        .address_space:  global
        .offset:         88
        .size:           8
        .value_kind:     global_buffer
      - .actual_access:  read_only
        .address_space:  global
        .offset:         96
        .size:           8
        .value_kind:     global_buffer
      - .actual_access:  read_only
        .address_space:  global
        .offset:         104
        .size:           8
        .value_kind:     global_buffer
      - .actual_access:  read_only
        .address_space:  global
        .offset:         112
        .size:           8
        .value_kind:     global_buffer
      - .actual_access:  read_only
        .address_space:  global
        .offset:         120
        .size:           8
        .value_kind:     global_buffer
      - .actual_access:  write_only
        .address_space:  global
        .offset:         128
        .size:           8
        .value_kind:     global_buffer
      - .offset:         136
        .size:           4
        .value_kind:     by_value
      - .offset:         140
        .size:           4
        .value_kind:     by_value
      - .offset:         144
        .size:           4
        .value_kind:     by_value
      - .offset:         148
        .size:           4
        .value_kind:     by_value
      - .offset:         152
        .size:           1
        .value_kind:     by_value
      - .offset:         153
        .size:           1
        .value_kind:     by_value
      - .offset:         154
        .size:           1
        .value_kind:     by_value
    .group_segment_fixed_size: 0
    .kernarg_segment_align: 8
    .kernarg_segment_size: 156
    .language:       OpenCL C
    .language_version:
      - 2
      - 0
    .max_flat_workgroup_size: 1024
    .name:           _ZN9rocsparseL41csrgemm_numeric_fill_block_per_row_kernelILj1024ELj64ELj16384ELj137ELj32Eli21rocsparse_complex_numIfEEEvT5_PKS3_S5_NS_24const_host_device_scalarIT6_EEPKT4_S5_PKS7_SB_S5_SD_S8_SB_S5_SD_SB_S5_PS7_21rocsparse_index_base_SF_SF_SF_bbb
    .private_segment_fixed_size: 0
    .sgpr_count:     76
    .sgpr_spill_count: 0
    .symbol:         _ZN9rocsparseL41csrgemm_numeric_fill_block_per_row_kernelILj1024ELj64ELj16384ELj137ELj32Eli21rocsparse_complex_numIfEEEvT5_PKS3_S5_NS_24const_host_device_scalarIT6_EEPKT4_S5_PKS7_SB_S5_SD_S8_SB_S5_SD_SB_S5_PS7_21rocsparse_index_base_SF_SF_SF_bbb.kd
    .uniform_work_group_size: 1
    .uses_dynamic_stack: false
    .vgpr_count:     20
    .vgpr_spill_count: 0
    .wavefront_size: 32
    .workgroup_processor_mode: 1
  - .args:
      - .offset:         0
        .size:           4
        .value_kind:     by_value
      - .actual_access:  read_only
        .address_space:  global
        .offset:         8
        .size:           8
        .value_kind:     global_buffer
      - .actual_access:  read_only
        .address_space:  global
        .offset:         16
        .size:           8
        .value_kind:     global_buffer
      - .offset:         24
        .size:           8
        .value_kind:     by_value
      - .actual_access:  read_only
        .address_space:  global
        .offset:         32
        .size:           8
        .value_kind:     global_buffer
      - .actual_access:  read_only
        .address_space:  global
        .offset:         40
        .size:           8
        .value_kind:     global_buffer
      - .actual_access:  read_only
        .address_space:  global
        .offset:         48
        .size:           8
        .value_kind:     global_buffer
      - .actual_access:  read_only
        .address_space:  global
        .offset:         56
        .size:           8
        .value_kind:     global_buffer
      - .actual_access:  read_only
        .address_space:  global
        .offset:         64
        .size:           8
        .value_kind:     global_buffer
      - .actual_access:  read_only
        .address_space:  global
        .offset:         72
        .size:           8
        .value_kind:     global_buffer
      - .offset:         80
        .size:           8
        .value_kind:     by_value
      - .actual_access:  read_only
        .address_space:  global
        .offset:         88
        .size:           8
        .value_kind:     global_buffer
      - .actual_access:  read_only
        .address_space:  global
        .offset:         96
        .size:           8
        .value_kind:     global_buffer
      - .actual_access:  read_only
        .address_space:  global
        .offset:         104
        .size:           8
        .value_kind:     global_buffer
      - .actual_access:  read_only
        .address_space:  global
        .offset:         112
        .size:           8
        .value_kind:     global_buffer
      - .actual_access:  read_only
        .address_space:  global
        .offset:         120
        .size:           8
        .value_kind:     global_buffer
      - .actual_access:  write_only
        .address_space:  global
        .offset:         128
        .size:           8
        .value_kind:     global_buffer
      - .offset:         136
        .size:           4
        .value_kind:     by_value
      - .offset:         140
        .size:           4
        .value_kind:     by_value
      - .offset:         144
        .size:           4
        .value_kind:     by_value
      - .offset:         148
        .size:           4
        .value_kind:     by_value
      - .offset:         152
        .size:           1
        .value_kind:     by_value
      - .offset:         153
        .size:           1
        .value_kind:     by_value
      - .offset:         154
        .size:           1
        .value_kind:     by_value
    .group_segment_fixed_size: 0
    .kernarg_segment_align: 8
    .kernarg_segment_size: 156
    .language:       OpenCL C
    .language_version:
      - 2
      - 0
    .max_flat_workgroup_size: 1024
    .name:           _ZN9rocsparseL41csrgemm_numeric_fill_block_per_row_kernelILj1024ELj64ELj16384ELj137ELj64Eli21rocsparse_complex_numIfEEEvT5_PKS3_S5_NS_24const_host_device_scalarIT6_EEPKT4_S5_PKS7_SB_S5_SD_S8_SB_S5_SD_SB_S5_PS7_21rocsparse_index_base_SF_SF_SF_bbb
    .private_segment_fixed_size: 0
    .sgpr_count:     50
    .sgpr_spill_count: 0
    .symbol:         _ZN9rocsparseL41csrgemm_numeric_fill_block_per_row_kernelILj1024ELj64ELj16384ELj137ELj64Eli21rocsparse_complex_numIfEEEvT5_PKS3_S5_NS_24const_host_device_scalarIT6_EEPKT4_S5_PKS7_SB_S5_SD_S8_SB_S5_SD_SB_S5_PS7_21rocsparse_index_base_SF_SF_SF_bbb.kd
    .uniform_work_group_size: 1
    .uses_dynamic_stack: false
    .vgpr_count:     21
    .vgpr_spill_count: 0
    .wavefront_size: 32
    .workgroup_processor_mode: 1
  - .args:
      - .offset:         0
        .size:           4
        .value_kind:     by_value
      - .actual_access:  read_only
        .address_space:  global
        .offset:         8
        .size:           8
        .value_kind:     global_buffer
      - .actual_access:  read_only
        .address_space:  global
        .offset:         16
        .size:           8
        .value_kind:     global_buffer
      - .offset:         24
        .size:           8
        .value_kind:     by_value
      - .actual_access:  read_only
        .address_space:  global
        .offset:         32
        .size:           8
        .value_kind:     global_buffer
      - .actual_access:  read_only
        .address_space:  global
        .offset:         40
        .size:           8
        .value_kind:     global_buffer
      - .actual_access:  read_only
        .address_space:  global
        .offset:         48
        .size:           8
        .value_kind:     global_buffer
      - .actual_access:  read_only
        .address_space:  global
        .offset:         56
        .size:           8
        .value_kind:     global_buffer
      - .actual_access:  read_only
        .address_space:  global
        .offset:         64
        .size:           8
        .value_kind:     global_buffer
      - .actual_access:  read_only
        .address_space:  global
        .offset:         72
        .size:           8
        .value_kind:     global_buffer
      - .offset:         80
        .size:           8
        .value_kind:     by_value
      - .actual_access:  read_only
        .address_space:  global
        .offset:         88
        .size:           8
        .value_kind:     global_buffer
      - .actual_access:  read_only
        .address_space:  global
        .offset:         96
        .size:           8
        .value_kind:     global_buffer
      - .actual_access:  read_only
        .address_space:  global
        .offset:         104
        .size:           8
        .value_kind:     global_buffer
      - .actual_access:  read_only
        .address_space:  global
        .offset:         112
        .size:           8
        .value_kind:     global_buffer
      - .actual_access:  read_only
        .address_space:  global
        .offset:         120
        .size:           8
        .value_kind:     global_buffer
      - .actual_access:  write_only
        .address_space:  global
        .offset:         128
        .size:           8
        .value_kind:     global_buffer
      - .offset:         136
        .size:           4
        .value_kind:     by_value
      - .offset:         140
        .size:           4
        .value_kind:     by_value
      - .offset:         144
        .size:           4
        .value_kind:     by_value
      - .offset:         148
        .size:           4
        .value_kind:     by_value
      - .offset:         152
        .size:           1
        .value_kind:     by_value
      - .offset:         153
        .size:           1
        .value_kind:     by_value
      - .offset:         154
        .size:           1
        .value_kind:     by_value
    .group_segment_fixed_size: 0
    .kernarg_segment_align: 8
    .kernarg_segment_size: 156
    .language:       OpenCL C
    .language_version:
      - 2
      - 0
    .max_flat_workgroup_size: 1024
    .name:           _ZN9rocsparseL41csrgemm_numeric_fill_block_per_row_kernelILj1024ELj64ELj32768ELj137ELj32Eli21rocsparse_complex_numIfEEEvT5_PKS3_S5_NS_24const_host_device_scalarIT6_EEPKT4_S5_PKS7_SB_S5_SD_S8_SB_S5_SD_SB_S5_PS7_21rocsparse_index_base_SF_SF_SF_bbb
    .private_segment_fixed_size: 0
    .sgpr_count:     76
    .sgpr_spill_count: 0
    .symbol:         _ZN9rocsparseL41csrgemm_numeric_fill_block_per_row_kernelILj1024ELj64ELj32768ELj137ELj32Eli21rocsparse_complex_numIfEEEvT5_PKS3_S5_NS_24const_host_device_scalarIT6_EEPKT4_S5_PKS7_SB_S5_SD_S8_SB_S5_SD_SB_S5_PS7_21rocsparse_index_base_SF_SF_SF_bbb.kd
    .uniform_work_group_size: 1
    .uses_dynamic_stack: false
    .vgpr_count:     20
    .vgpr_spill_count: 0
    .wavefront_size: 32
    .workgroup_processor_mode: 1
  - .args:
      - .offset:         0
        .size:           4
        .value_kind:     by_value
      - .actual_access:  read_only
        .address_space:  global
        .offset:         8
        .size:           8
        .value_kind:     global_buffer
      - .actual_access:  read_only
        .address_space:  global
        .offset:         16
        .size:           8
        .value_kind:     global_buffer
      - .offset:         24
        .size:           8
        .value_kind:     by_value
      - .actual_access:  read_only
        .address_space:  global
        .offset:         32
        .size:           8
        .value_kind:     global_buffer
      - .actual_access:  read_only
        .address_space:  global
        .offset:         40
        .size:           8
        .value_kind:     global_buffer
      - .actual_access:  read_only
        .address_space:  global
        .offset:         48
        .size:           8
        .value_kind:     global_buffer
      - .actual_access:  read_only
        .address_space:  global
        .offset:         56
        .size:           8
        .value_kind:     global_buffer
      - .actual_access:  read_only
        .address_space:  global
        .offset:         64
        .size:           8
        .value_kind:     global_buffer
      - .actual_access:  read_only
        .address_space:  global
        .offset:         72
        .size:           8
        .value_kind:     global_buffer
      - .offset:         80
        .size:           8
        .value_kind:     by_value
      - .actual_access:  read_only
        .address_space:  global
        .offset:         88
        .size:           8
        .value_kind:     global_buffer
      - .actual_access:  read_only
        .address_space:  global
        .offset:         96
        .size:           8
        .value_kind:     global_buffer
      - .actual_access:  read_only
        .address_space:  global
        .offset:         104
        .size:           8
        .value_kind:     global_buffer
      - .actual_access:  read_only
        .address_space:  global
        .offset:         112
        .size:           8
        .value_kind:     global_buffer
      - .actual_access:  read_only
        .address_space:  global
        .offset:         120
        .size:           8
        .value_kind:     global_buffer
      - .actual_access:  write_only
        .address_space:  global
        .offset:         128
        .size:           8
        .value_kind:     global_buffer
      - .offset:         136
        .size:           4
        .value_kind:     by_value
      - .offset:         140
        .size:           4
        .value_kind:     by_value
      - .offset:         144
        .size:           4
        .value_kind:     by_value
      - .offset:         148
        .size:           4
        .value_kind:     by_value
      - .offset:         152
        .size:           1
        .value_kind:     by_value
      - .offset:         153
        .size:           1
        .value_kind:     by_value
      - .offset:         154
        .size:           1
        .value_kind:     by_value
    .group_segment_fixed_size: 0
    .kernarg_segment_align: 8
    .kernarg_segment_size: 156
    .language:       OpenCL C
    .language_version:
      - 2
      - 0
    .max_flat_workgroup_size: 1024
    .name:           _ZN9rocsparseL41csrgemm_numeric_fill_block_per_row_kernelILj1024ELj64ELj32768ELj137ELj64Eli21rocsparse_complex_numIfEEEvT5_PKS3_S5_NS_24const_host_device_scalarIT6_EEPKT4_S5_PKS7_SB_S5_SD_S8_SB_S5_SD_SB_S5_PS7_21rocsparse_index_base_SF_SF_SF_bbb
    .private_segment_fixed_size: 0
    .sgpr_count:     50
    .sgpr_spill_count: 0
    .symbol:         _ZN9rocsparseL41csrgemm_numeric_fill_block_per_row_kernelILj1024ELj64ELj32768ELj137ELj64Eli21rocsparse_complex_numIfEEEvT5_PKS3_S5_NS_24const_host_device_scalarIT6_EEPKT4_S5_PKS7_SB_S5_SD_S8_SB_S5_SD_SB_S5_PS7_21rocsparse_index_base_SF_SF_SF_bbb.kd
    .uniform_work_group_size: 1
    .uses_dynamic_stack: false
    .vgpr_count:     21
    .vgpr_spill_count: 0
    .wavefront_size: 32
    .workgroup_processor_mode: 1
  - .args:
      - .offset:         0
        .size:           4
        .value_kind:     by_value
      - .actual_access:  read_only
        .address_space:  global
        .offset:         8
        .size:           8
        .value_kind:     global_buffer
      - .actual_access:  read_only
        .address_space:  global
        .offset:         16
        .size:           8
        .value_kind:     global_buffer
      - .offset:         24
        .size:           8
        .value_kind:     by_value
      - .actual_access:  read_only
        .address_space:  global
        .offset:         32
        .size:           8
        .value_kind:     global_buffer
      - .actual_access:  read_only
        .address_space:  global
        .offset:         40
        .size:           8
        .value_kind:     global_buffer
      - .actual_access:  read_only
        .address_space:  global
        .offset:         48
        .size:           8
        .value_kind:     global_buffer
      - .actual_access:  read_only
        .address_space:  global
        .offset:         56
        .size:           8
        .value_kind:     global_buffer
      - .actual_access:  read_only
        .address_space:  global
        .offset:         64
        .size:           8
        .value_kind:     global_buffer
      - .actual_access:  read_only
        .address_space:  global
        .offset:         72
        .size:           8
        .value_kind:     global_buffer
      - .offset:         80
        .size:           8
        .value_kind:     by_value
      - .actual_access:  read_only
        .address_space:  global
        .offset:         88
        .size:           8
        .value_kind:     global_buffer
      - .actual_access:  read_only
        .address_space:  global
        .offset:         96
        .size:           8
        .value_kind:     global_buffer
      - .actual_access:  read_only
        .address_space:  global
        .offset:         104
        .size:           8
        .value_kind:     global_buffer
      - .actual_access:  read_only
        .address_space:  global
        .offset:         112
        .size:           8
        .value_kind:     global_buffer
      - .actual_access:  read_only
        .address_space:  global
        .offset:         120
        .size:           8
        .value_kind:     global_buffer
      - .actual_access:  write_only
        .address_space:  global
        .offset:         128
        .size:           8
        .value_kind:     global_buffer
      - .address_space:  global
        .offset:         136
        .size:           8
        .value_kind:     global_buffer
      - .offset:         144
        .size:           4
        .value_kind:     by_value
      - .offset:         148
        .size:           4
        .value_kind:     by_value
      - .offset:         152
        .size:           4
        .value_kind:     by_value
      - .offset:         156
        .size:           4
        .value_kind:     by_value
      - .offset:         160
        .size:           1
        .value_kind:     by_value
      - .offset:         161
        .size:           1
        .value_kind:     by_value
      - .offset:         162
        .size:           1
        .value_kind:     by_value
    .group_segment_fixed_size: 18436
    .kernarg_segment_align: 8
    .kernarg_segment_size: 164
    .language:       OpenCL C
    .language_version:
      - 2
      - 0
    .max_flat_workgroup_size: 512
    .name:           _ZN9rocsparseL51csrgemm_numeric_fill_block_per_row_multipass_kernelILj512ELj16ELj2048ELj32Eli21rocsparse_complex_numIfEEEvT4_PKS3_S5_NS_24const_host_device_scalarIT5_EEPKT3_S5_PKS7_SB_S5_SD_S8_SB_S5_SD_SB_S5_PS7_PS9_21rocsparse_index_base_SG_SG_SG_bbb
    .private_segment_fixed_size: 0
    .sgpr_count:     68
    .sgpr_spill_count: 0
    .symbol:         _ZN9rocsparseL51csrgemm_numeric_fill_block_per_row_multipass_kernelILj512ELj16ELj2048ELj32Eli21rocsparse_complex_numIfEEEvT4_PKS3_S5_NS_24const_host_device_scalarIT5_EEPKT3_S5_PKS7_SB_S5_SD_S8_SB_S5_SD_SB_S5_PS7_PS9_21rocsparse_index_base_SG_SG_SG_bbb.kd
    .uniform_work_group_size: 1
    .uses_dynamic_stack: false
    .vgpr_count:     43
    .vgpr_spill_count: 0
    .wavefront_size: 32
    .workgroup_processor_mode: 1
  - .args:
      - .offset:         0
        .size:           4
        .value_kind:     by_value
      - .actual_access:  read_only
        .address_space:  global
        .offset:         8
        .size:           8
        .value_kind:     global_buffer
      - .actual_access:  read_only
        .address_space:  global
        .offset:         16
        .size:           8
        .value_kind:     global_buffer
      - .offset:         24
        .size:           8
        .value_kind:     by_value
      - .actual_access:  read_only
        .address_space:  global
        .offset:         32
        .size:           8
        .value_kind:     global_buffer
      - .actual_access:  read_only
        .address_space:  global
        .offset:         40
        .size:           8
        .value_kind:     global_buffer
      - .actual_access:  read_only
        .address_space:  global
        .offset:         48
        .size:           8
        .value_kind:     global_buffer
      - .actual_access:  read_only
        .address_space:  global
        .offset:         56
        .size:           8
        .value_kind:     global_buffer
      - .actual_access:  read_only
        .address_space:  global
        .offset:         64
        .size:           8
        .value_kind:     global_buffer
      - .actual_access:  read_only
        .address_space:  global
        .offset:         72
        .size:           8
        .value_kind:     global_buffer
      - .offset:         80
        .size:           8
        .value_kind:     by_value
      - .actual_access:  read_only
        .address_space:  global
        .offset:         88
        .size:           8
        .value_kind:     global_buffer
      - .actual_access:  read_only
        .address_space:  global
        .offset:         96
        .size:           8
        .value_kind:     global_buffer
      - .actual_access:  read_only
        .address_space:  global
        .offset:         104
        .size:           8
        .value_kind:     global_buffer
      - .actual_access:  read_only
        .address_space:  global
        .offset:         112
        .size:           8
        .value_kind:     global_buffer
      - .actual_access:  read_only
        .address_space:  global
        .offset:         120
        .size:           8
        .value_kind:     global_buffer
      - .actual_access:  write_only
        .address_space:  global
        .offset:         128
        .size:           8
        .value_kind:     global_buffer
      - .address_space:  global
        .offset:         136
        .size:           8
        .value_kind:     global_buffer
      - .offset:         144
        .size:           4
        .value_kind:     by_value
      - .offset:         148
        .size:           4
        .value_kind:     by_value
      - .offset:         152
        .size:           4
        .value_kind:     by_value
      - .offset:         156
        .size:           4
        .value_kind:     by_value
      - .offset:         160
        .size:           1
        .value_kind:     by_value
      - .offset:         161
        .size:           1
        .value_kind:     by_value
      - .offset:         162
        .size:           1
        .value_kind:     by_value
    .group_segment_fixed_size: 18436
    .kernarg_segment_align: 8
    .kernarg_segment_size: 164
    .language:       OpenCL C
    .language_version:
      - 2
      - 0
    .max_flat_workgroup_size: 512
    .name:           _ZN9rocsparseL51csrgemm_numeric_fill_block_per_row_multipass_kernelILj512ELj16ELj2048ELj64Eli21rocsparse_complex_numIfEEEvT4_PKS3_S5_NS_24const_host_device_scalarIT5_EEPKT3_S5_PKS7_SB_S5_SD_S8_SB_S5_SD_SB_S5_PS7_PS9_21rocsparse_index_base_SG_SG_SG_bbb
    .private_segment_fixed_size: 0
    .sgpr_count:     60
    .sgpr_spill_count: 0
    .symbol:         _ZN9rocsparseL51csrgemm_numeric_fill_block_per_row_multipass_kernelILj512ELj16ELj2048ELj64Eli21rocsparse_complex_numIfEEEvT4_PKS3_S5_NS_24const_host_device_scalarIT5_EEPKT3_S5_PKS7_SB_S5_SD_S8_SB_S5_SD_SB_S5_PS7_PS9_21rocsparse_index_base_SG_SG_SG_bbb.kd
    .uniform_work_group_size: 1
    .uses_dynamic_stack: false
    .vgpr_count:     43
    .vgpr_spill_count: 0
    .wavefront_size: 32
    .workgroup_processor_mode: 1
  - .args:
      - .offset:         0
        .size:           4
        .value_kind:     by_value
      - .offset:         4
        .size:           4
        .value_kind:     by_value
      - .actual_access:  read_only
        .address_space:  global
        .offset:         8
        .size:           8
        .value_kind:     global_buffer
      - .actual_access:  read_only
        .address_space:  global
        .offset:         16
        .size:           8
        .value_kind:     global_buffer
      - .offset:         24
        .size:           16
        .value_kind:     by_value
      - .actual_access:  read_only
        .address_space:  global
        .offset:         40
        .size:           8
        .value_kind:     global_buffer
      - .actual_access:  read_only
        .address_space:  global
        .offset:         48
        .size:           8
        .value_kind:     global_buffer
      - .actual_access:  read_only
        .address_space:  global
        .offset:         56
        .size:           8
        .value_kind:     global_buffer
      - .actual_access:  read_only
        .address_space:  global
        .offset:         64
        .size:           8
        .value_kind:     global_buffer
      - .actual_access:  read_only
        .address_space:  global
        .offset:         72
        .size:           8
        .value_kind:     global_buffer
      - .actual_access:  read_only
        .address_space:  global
        .offset:         80
        .size:           8
        .value_kind:     global_buffer
      - .offset:         88
        .size:           16
        .value_kind:     by_value
      - .actual_access:  read_only
        .address_space:  global
        .offset:         104
        .size:           8
        .value_kind:     global_buffer
      - .actual_access:  read_only
        .address_space:  global
        .offset:         112
        .size:           8
        .value_kind:     global_buffer
      - .actual_access:  read_only
        .address_space:  global
        .offset:         120
        .size:           8
        .value_kind:     global_buffer
      - .actual_access:  read_only
        .address_space:  global
        .offset:         128
        .size:           8
        .value_kind:     global_buffer
      - .actual_access:  read_only
        .address_space:  global
        .offset:         136
        .size:           8
        .value_kind:     global_buffer
      - .actual_access:  write_only
        .address_space:  global
        .offset:         144
        .size:           8
        .value_kind:     global_buffer
      - .offset:         152
        .size:           4
        .value_kind:     by_value
      - .offset:         156
        .size:           4
        .value_kind:     by_value
      - .offset:         160
        .size:           4
        .value_kind:     by_value
      - .offset:         164
        .size:           4
        .value_kind:     by_value
      - .offset:         168
        .size:           1
        .value_kind:     by_value
      - .offset:         169
        .size:           1
        .value_kind:     by_value
      - .offset:         170
        .size:           1
        .value_kind:     by_value
    .group_segment_fixed_size: 14336
    .kernarg_segment_align: 8
    .kernarg_segment_size: 172
    .language:       OpenCL C
    .language_version:
      - 2
      - 0
    .max_flat_workgroup_size: 256
    .name:           _ZN9rocsparseL38csrgemm_numeric_fill_wf_per_row_kernelILj256ELj8ELj16ELj137Eli21rocsparse_complex_numIdEEEvT4_S3_PKS3_S5_NS_24const_host_device_scalarIT5_EEPKT3_S5_PKS7_SB_S5_SD_S8_SB_S5_SD_SB_S5_PS7_21rocsparse_index_base_SF_SF_SF_bbb
    .private_segment_fixed_size: 0
    .sgpr_count:     46
    .sgpr_spill_count: 0
    .symbol:         _ZN9rocsparseL38csrgemm_numeric_fill_wf_per_row_kernelILj256ELj8ELj16ELj137Eli21rocsparse_complex_numIdEEEvT4_S3_PKS3_S5_NS_24const_host_device_scalarIT5_EEPKT3_S5_PKS7_SB_S5_SD_S8_SB_S5_SD_SB_S5_PS7_21rocsparse_index_base_SF_SF_SF_bbb.kd
    .uniform_work_group_size: 1
    .uses_dynamic_stack: false
    .vgpr_count:     39
    .vgpr_spill_count: 0
    .wavefront_size: 32
    .workgroup_processor_mode: 1
  - .args:
      - .offset:         0
        .size:           4
        .value_kind:     by_value
      - .offset:         4
        .size:           4
        .value_kind:     by_value
      - .actual_access:  read_only
        .address_space:  global
        .offset:         8
        .size:           8
        .value_kind:     global_buffer
      - .actual_access:  read_only
        .address_space:  global
        .offset:         16
        .size:           8
        .value_kind:     global_buffer
      - .offset:         24
        .size:           16
        .value_kind:     by_value
      - .actual_access:  read_only
        .address_space:  global
        .offset:         40
        .size:           8
        .value_kind:     global_buffer
      - .actual_access:  read_only
        .address_space:  global
        .offset:         48
        .size:           8
        .value_kind:     global_buffer
      - .actual_access:  read_only
        .address_space:  global
        .offset:         56
        .size:           8
        .value_kind:     global_buffer
      - .actual_access:  read_only
        .address_space:  global
        .offset:         64
        .size:           8
        .value_kind:     global_buffer
      - .actual_access:  read_only
        .address_space:  global
        .offset:         72
        .size:           8
        .value_kind:     global_buffer
      - .actual_access:  read_only
        .address_space:  global
        .offset:         80
        .size:           8
        .value_kind:     global_buffer
      - .offset:         88
        .size:           16
        .value_kind:     by_value
      - .actual_access:  read_only
        .address_space:  global
        .offset:         104
        .size:           8
        .value_kind:     global_buffer
      - .actual_access:  read_only
        .address_space:  global
        .offset:         112
        .size:           8
        .value_kind:     global_buffer
      - .actual_access:  read_only
        .address_space:  global
        .offset:         120
        .size:           8
        .value_kind:     global_buffer
      - .actual_access:  read_only
        .address_space:  global
        .offset:         128
        .size:           8
        .value_kind:     global_buffer
      - .actual_access:  read_only
        .address_space:  global
        .offset:         136
        .size:           8
        .value_kind:     global_buffer
      - .actual_access:  write_only
        .address_space:  global
        .offset:         144
        .size:           8
        .value_kind:     global_buffer
      - .offset:         152
        .size:           4
        .value_kind:     by_value
      - .offset:         156
        .size:           4
        .value_kind:     by_value
      - .offset:         160
        .size:           4
        .value_kind:     by_value
      - .offset:         164
        .size:           4
        .value_kind:     by_value
      - .offset:         168
        .size:           1
        .value_kind:     by_value
      - .offset:         169
        .size:           1
        .value_kind:     by_value
      - .offset:         170
        .size:           1
        .value_kind:     by_value
    .group_segment_fixed_size: 14336
    .kernarg_segment_align: 8
    .kernarg_segment_size: 172
    .language:       OpenCL C
    .language_version:
      - 2
      - 0
    .max_flat_workgroup_size: 256
    .name:           _ZN9rocsparseL38csrgemm_numeric_fill_wf_per_row_kernelILj256ELj16ELj32ELj137Eli21rocsparse_complex_numIdEEEvT4_S3_PKS3_S5_NS_24const_host_device_scalarIT5_EEPKT3_S5_PKS7_SB_S5_SD_S8_SB_S5_SD_SB_S5_PS7_21rocsparse_index_base_SF_SF_SF_bbb
    .private_segment_fixed_size: 0
    .sgpr_count:     46
    .sgpr_spill_count: 0
    .symbol:         _ZN9rocsparseL38csrgemm_numeric_fill_wf_per_row_kernelILj256ELj16ELj32ELj137Eli21rocsparse_complex_numIdEEEvT4_S3_PKS3_S5_NS_24const_host_device_scalarIT5_EEPKT3_S5_PKS7_SB_S5_SD_S8_SB_S5_SD_SB_S5_PS7_21rocsparse_index_base_SF_SF_SF_bbb.kd
    .uniform_work_group_size: 1
    .uses_dynamic_stack: false
    .vgpr_count:     40
    .vgpr_spill_count: 0
    .wavefront_size: 32
    .workgroup_processor_mode: 1
  - .args:
      - .offset:         0
        .size:           4
        .value_kind:     by_value
      - .actual_access:  read_only
        .address_space:  global
        .offset:         8
        .size:           8
        .value_kind:     global_buffer
      - .actual_access:  read_only
        .address_space:  global
        .offset:         16
        .size:           8
        .value_kind:     global_buffer
      - .offset:         24
        .size:           16
        .value_kind:     by_value
      - .actual_access:  read_only
        .address_space:  global
        .offset:         40
        .size:           8
        .value_kind:     global_buffer
      - .actual_access:  read_only
        .address_space:  global
        .offset:         48
        .size:           8
        .value_kind:     global_buffer
      - .actual_access:  read_only
        .address_space:  global
        .offset:         56
        .size:           8
        .value_kind:     global_buffer
      - .actual_access:  read_only
        .address_space:  global
        .offset:         64
        .size:           8
        .value_kind:     global_buffer
      - .actual_access:  read_only
        .address_space:  global
        .offset:         72
        .size:           8
        .value_kind:     global_buffer
      - .actual_access:  read_only
        .address_space:  global
        .offset:         80
        .size:           8
        .value_kind:     global_buffer
      - .offset:         88
        .size:           16
        .value_kind:     by_value
      - .actual_access:  read_only
        .address_space:  global
        .offset:         104
        .size:           8
        .value_kind:     global_buffer
      - .actual_access:  read_only
        .address_space:  global
        .offset:         112
        .size:           8
        .value_kind:     global_buffer
      - .actual_access:  read_only
        .address_space:  global
        .offset:         120
        .size:           8
        .value_kind:     global_buffer
      - .actual_access:  read_only
        .address_space:  global
        .offset:         128
        .size:           8
        .value_kind:     global_buffer
      - .actual_access:  read_only
        .address_space:  global
        .offset:         136
        .size:           8
        .value_kind:     global_buffer
      - .actual_access:  write_only
        .address_space:  global
        .offset:         144
        .size:           8
        .value_kind:     global_buffer
      - .offset:         152
        .size:           4
        .value_kind:     by_value
      - .offset:         156
        .size:           4
        .value_kind:     by_value
      - .offset:         160
        .size:           4
        .value_kind:     by_value
      - .offset:         164
        .size:           4
        .value_kind:     by_value
      - .offset:         168
        .size:           1
        .value_kind:     by_value
      - .offset:         169
        .size:           1
        .value_kind:     by_value
      - .offset:         170
        .size:           1
        .value_kind:     by_value
    .group_segment_fixed_size: 0
    .kernarg_segment_align: 8
    .kernarg_segment_size: 172
    .language:       OpenCL C
    .language_version:
      - 2
      - 0
    .max_flat_workgroup_size: 128
    .name:           _ZN9rocsparseL41csrgemm_numeric_fill_block_per_row_kernelILj128ELj16ELj256ELj137ELj32Eli21rocsparse_complex_numIdEEEvT5_PKS3_S5_NS_24const_host_device_scalarIT6_EEPKT4_S5_PKS7_SB_S5_SD_S8_SB_S5_SD_SB_S5_PS7_21rocsparse_index_base_SF_SF_SF_bbb
    .private_segment_fixed_size: 40
    .sgpr_count:     44
    .sgpr_spill_count: 0
    .symbol:         _ZN9rocsparseL41csrgemm_numeric_fill_block_per_row_kernelILj128ELj16ELj256ELj137ELj32Eli21rocsparse_complex_numIdEEEvT5_PKS3_S5_NS_24const_host_device_scalarIT6_EEPKT4_S5_PKS7_SB_S5_SD_S8_SB_S5_SD_SB_S5_PS7_21rocsparse_index_base_SF_SF_SF_bbb.kd
    .uniform_work_group_size: 1
    .uses_dynamic_stack: false
    .vgpr_count:     35
    .vgpr_spill_count: 0
    .wavefront_size: 32
    .workgroup_processor_mode: 1
  - .args:
      - .offset:         0
        .size:           4
        .value_kind:     by_value
      - .actual_access:  read_only
        .address_space:  global
        .offset:         8
        .size:           8
        .value_kind:     global_buffer
      - .actual_access:  read_only
        .address_space:  global
        .offset:         16
        .size:           8
        .value_kind:     global_buffer
      - .offset:         24
        .size:           16
        .value_kind:     by_value
      - .actual_access:  read_only
        .address_space:  global
        .offset:         40
        .size:           8
        .value_kind:     global_buffer
      - .actual_access:  read_only
        .address_space:  global
        .offset:         48
        .size:           8
        .value_kind:     global_buffer
      - .actual_access:  read_only
        .address_space:  global
        .offset:         56
        .size:           8
        .value_kind:     global_buffer
      - .actual_access:  read_only
        .address_space:  global
        .offset:         64
        .size:           8
        .value_kind:     global_buffer
      - .actual_access:  read_only
        .address_space:  global
        .offset:         72
        .size:           8
        .value_kind:     global_buffer
      - .actual_access:  read_only
        .address_space:  global
        .offset:         80
        .size:           8
        .value_kind:     global_buffer
      - .offset:         88
        .size:           16
        .value_kind:     by_value
      - .actual_access:  read_only
        .address_space:  global
        .offset:         104
        .size:           8
        .value_kind:     global_buffer
      - .actual_access:  read_only
        .address_space:  global
        .offset:         112
        .size:           8
        .value_kind:     global_buffer
      - .actual_access:  read_only
        .address_space:  global
        .offset:         120
        .size:           8
        .value_kind:     global_buffer
      - .actual_access:  read_only
        .address_space:  global
        .offset:         128
        .size:           8
        .value_kind:     global_buffer
      - .actual_access:  read_only
        .address_space:  global
        .offset:         136
        .size:           8
        .value_kind:     global_buffer
      - .actual_access:  write_only
        .address_space:  global
        .offset:         144
        .size:           8
        .value_kind:     global_buffer
      - .offset:         152
        .size:           4
        .value_kind:     by_value
      - .offset:         156
        .size:           4
        .value_kind:     by_value
      - .offset:         160
        .size:           4
        .value_kind:     by_value
      - .offset:         164
        .size:           4
        .value_kind:     by_value
      - .offset:         168
        .size:           1
        .value_kind:     by_value
      - .offset:         169
        .size:           1
        .value_kind:     by_value
      - .offset:         170
        .size:           1
        .value_kind:     by_value
    .group_segment_fixed_size: 0
    .kernarg_segment_align: 8
    .kernarg_segment_size: 172
    .language:       OpenCL C
    .language_version:
      - 2
      - 0
    .max_flat_workgroup_size: 128
    .name:           _ZN9rocsparseL41csrgemm_numeric_fill_block_per_row_kernelILj128ELj16ELj256ELj137ELj64Eli21rocsparse_complex_numIdEEEvT5_PKS3_S5_NS_24const_host_device_scalarIT6_EEPKT4_S5_PKS7_SB_S5_SD_S8_SB_S5_SD_SB_S5_PS7_21rocsparse_index_base_SF_SF_SF_bbb
    .private_segment_fixed_size: 40
    .sgpr_count:     44
    .sgpr_spill_count: 0
    .symbol:         _ZN9rocsparseL41csrgemm_numeric_fill_block_per_row_kernelILj128ELj16ELj256ELj137ELj64Eli21rocsparse_complex_numIdEEEvT5_PKS3_S5_NS_24const_host_device_scalarIT6_EEPKT4_S5_PKS7_SB_S5_SD_S8_SB_S5_SD_SB_S5_PS7_21rocsparse_index_base_SF_SF_SF_bbb.kd
    .uniform_work_group_size: 1
    .uses_dynamic_stack: false
    .vgpr_count:     36
    .vgpr_spill_count: 0
    .wavefront_size: 32
    .workgroup_processor_mode: 1
  - .args:
      - .offset:         0
        .size:           4
        .value_kind:     by_value
      - .actual_access:  read_only
        .address_space:  global
        .offset:         8
        .size:           8
        .value_kind:     global_buffer
      - .actual_access:  read_only
        .address_space:  global
        .offset:         16
        .size:           8
        .value_kind:     global_buffer
      - .offset:         24
        .size:           16
        .value_kind:     by_value
      - .actual_access:  read_only
        .address_space:  global
        .offset:         40
        .size:           8
        .value_kind:     global_buffer
      - .actual_access:  read_only
        .address_space:  global
        .offset:         48
        .size:           8
        .value_kind:     global_buffer
      - .actual_access:  read_only
        .address_space:  global
        .offset:         56
        .size:           8
        .value_kind:     global_buffer
      - .actual_access:  read_only
        .address_space:  global
        .offset:         64
        .size:           8
        .value_kind:     global_buffer
      - .actual_access:  read_only
        .address_space:  global
        .offset:         72
        .size:           8
        .value_kind:     global_buffer
      - .actual_access:  read_only
        .address_space:  global
        .offset:         80
        .size:           8
        .value_kind:     global_buffer
      - .offset:         88
        .size:           16
        .value_kind:     by_value
      - .actual_access:  read_only
        .address_space:  global
        .offset:         104
        .size:           8
        .value_kind:     global_buffer
      - .actual_access:  read_only
        .address_space:  global
        .offset:         112
        .size:           8
        .value_kind:     global_buffer
      - .actual_access:  read_only
        .address_space:  global
        .offset:         120
        .size:           8
        .value_kind:     global_buffer
      - .actual_access:  read_only
        .address_space:  global
        .offset:         128
        .size:           8
        .value_kind:     global_buffer
      - .actual_access:  read_only
        .address_space:  global
        .offset:         136
        .size:           8
        .value_kind:     global_buffer
      - .actual_access:  write_only
        .address_space:  global
        .offset:         144
        .size:           8
        .value_kind:     global_buffer
      - .offset:         152
        .size:           4
        .value_kind:     by_value
      - .offset:         156
        .size:           4
        .value_kind:     by_value
      - .offset:         160
        .size:           4
        .value_kind:     by_value
      - .offset:         164
        .size:           4
        .value_kind:     by_value
      - .offset:         168
        .size:           1
        .value_kind:     by_value
      - .offset:         169
        .size:           1
        .value_kind:     by_value
      - .offset:         170
        .size:           1
        .value_kind:     by_value
    .group_segment_fixed_size: 0
    .kernarg_segment_align: 8
    .kernarg_segment_size: 172
    .language:       OpenCL C
    .language_version:
      - 2
      - 0
    .max_flat_workgroup_size: 256
    .name:           _ZN9rocsparseL41csrgemm_numeric_fill_block_per_row_kernelILj256ELj32ELj512ELj137ELj32Eli21rocsparse_complex_numIdEEEvT5_PKS3_S5_NS_24const_host_device_scalarIT6_EEPKT4_S5_PKS7_SB_S5_SD_S8_SB_S5_SD_SB_S5_PS7_21rocsparse_index_base_SF_SF_SF_bbb
    .private_segment_fixed_size: 40
    .sgpr_count:     44
    .sgpr_spill_count: 0
    .symbol:         _ZN9rocsparseL41csrgemm_numeric_fill_block_per_row_kernelILj256ELj32ELj512ELj137ELj32Eli21rocsparse_complex_numIdEEEvT5_PKS3_S5_NS_24const_host_device_scalarIT6_EEPKT4_S5_PKS7_SB_S5_SD_S8_SB_S5_SD_SB_S5_PS7_21rocsparse_index_base_SF_SF_SF_bbb.kd
    .uniform_work_group_size: 1
    .uses_dynamic_stack: false
    .vgpr_count:     36
    .vgpr_spill_count: 0
    .wavefront_size: 32
    .workgroup_processor_mode: 1
  - .args:
      - .offset:         0
        .size:           4
        .value_kind:     by_value
      - .actual_access:  read_only
        .address_space:  global
        .offset:         8
        .size:           8
        .value_kind:     global_buffer
      - .actual_access:  read_only
        .address_space:  global
        .offset:         16
        .size:           8
        .value_kind:     global_buffer
      - .offset:         24
        .size:           16
        .value_kind:     by_value
      - .actual_access:  read_only
        .address_space:  global
        .offset:         40
        .size:           8
        .value_kind:     global_buffer
      - .actual_access:  read_only
        .address_space:  global
        .offset:         48
        .size:           8
        .value_kind:     global_buffer
      - .actual_access:  read_only
        .address_space:  global
        .offset:         56
        .size:           8
        .value_kind:     global_buffer
      - .actual_access:  read_only
        .address_space:  global
        .offset:         64
        .size:           8
        .value_kind:     global_buffer
      - .actual_access:  read_only
        .address_space:  global
        .offset:         72
        .size:           8
        .value_kind:     global_buffer
      - .actual_access:  read_only
        .address_space:  global
        .offset:         80
        .size:           8
        .value_kind:     global_buffer
      - .offset:         88
        .size:           16
        .value_kind:     by_value
      - .actual_access:  read_only
        .address_space:  global
        .offset:         104
        .size:           8
        .value_kind:     global_buffer
      - .actual_access:  read_only
        .address_space:  global
        .offset:         112
        .size:           8
        .value_kind:     global_buffer
      - .actual_access:  read_only
        .address_space:  global
        .offset:         120
        .size:           8
        .value_kind:     global_buffer
      - .actual_access:  read_only
        .address_space:  global
        .offset:         128
        .size:           8
        .value_kind:     global_buffer
      - .actual_access:  read_only
        .address_space:  global
        .offset:         136
        .size:           8
        .value_kind:     global_buffer
      - .actual_access:  write_only
        .address_space:  global
        .offset:         144
        .size:           8
        .value_kind:     global_buffer
      - .offset:         152
        .size:           4
        .value_kind:     by_value
      - .offset:         156
        .size:           4
        .value_kind:     by_value
      - .offset:         160
        .size:           4
        .value_kind:     by_value
      - .offset:         164
        .size:           4
        .value_kind:     by_value
      - .offset:         168
        .size:           1
        .value_kind:     by_value
      - .offset:         169
        .size:           1
        .value_kind:     by_value
      - .offset:         170
        .size:           1
        .value_kind:     by_value
    .group_segment_fixed_size: 0
    .kernarg_segment_align: 8
    .kernarg_segment_size: 172
    .language:       OpenCL C
    .language_version:
      - 2
      - 0
    .max_flat_workgroup_size: 256
    .name:           _ZN9rocsparseL41csrgemm_numeric_fill_block_per_row_kernelILj256ELj32ELj512ELj137ELj64Eli21rocsparse_complex_numIdEEEvT5_PKS3_S5_NS_24const_host_device_scalarIT6_EEPKT4_S5_PKS7_SB_S5_SD_S8_SB_S5_SD_SB_S5_PS7_21rocsparse_index_base_SF_SF_SF_bbb
    .private_segment_fixed_size: 40
    .sgpr_count:     44
    .sgpr_spill_count: 0
    .symbol:         _ZN9rocsparseL41csrgemm_numeric_fill_block_per_row_kernelILj256ELj32ELj512ELj137ELj64Eli21rocsparse_complex_numIdEEEvT5_PKS3_S5_NS_24const_host_device_scalarIT6_EEPKT4_S5_PKS7_SB_S5_SD_S8_SB_S5_SD_SB_S5_PS7_21rocsparse_index_base_SF_SF_SF_bbb.kd
    .uniform_work_group_size: 1
    .uses_dynamic_stack: false
    .vgpr_count:     35
    .vgpr_spill_count: 0
    .wavefront_size: 32
    .workgroup_processor_mode: 1
  - .args:
      - .offset:         0
        .size:           4
        .value_kind:     by_value
      - .actual_access:  read_only
        .address_space:  global
        .offset:         8
        .size:           8
        .value_kind:     global_buffer
      - .actual_access:  read_only
        .address_space:  global
        .offset:         16
        .size:           8
        .value_kind:     global_buffer
      - .offset:         24
        .size:           16
        .value_kind:     by_value
      - .actual_access:  read_only
        .address_space:  global
        .offset:         40
        .size:           8
        .value_kind:     global_buffer
      - .actual_access:  read_only
        .address_space:  global
        .offset:         48
        .size:           8
        .value_kind:     global_buffer
      - .actual_access:  read_only
        .address_space:  global
        .offset:         56
        .size:           8
        .value_kind:     global_buffer
      - .actual_access:  read_only
        .address_space:  global
        .offset:         64
        .size:           8
        .value_kind:     global_buffer
      - .actual_access:  read_only
        .address_space:  global
        .offset:         72
        .size:           8
        .value_kind:     global_buffer
      - .actual_access:  read_only
        .address_space:  global
        .offset:         80
        .size:           8
        .value_kind:     global_buffer
      - .offset:         88
        .size:           16
        .value_kind:     by_value
      - .actual_access:  read_only
        .address_space:  global
        .offset:         104
        .size:           8
        .value_kind:     global_buffer
      - .actual_access:  read_only
        .address_space:  global
        .offset:         112
        .size:           8
        .value_kind:     global_buffer
      - .actual_access:  read_only
        .address_space:  global
        .offset:         120
        .size:           8
        .value_kind:     global_buffer
      - .actual_access:  read_only
        .address_space:  global
        .offset:         128
        .size:           8
        .value_kind:     global_buffer
      - .actual_access:  read_only
        .address_space:  global
        .offset:         136
        .size:           8
        .value_kind:     global_buffer
      - .actual_access:  write_only
        .address_space:  global
        .offset:         144
        .size:           8
        .value_kind:     global_buffer
      - .offset:         152
        .size:           4
        .value_kind:     by_value
      - .offset:         156
        .size:           4
        .value_kind:     by_value
      - .offset:         160
        .size:           4
        .value_kind:     by_value
      - .offset:         164
        .size:           4
        .value_kind:     by_value
      - .offset:         168
        .size:           1
        .value_kind:     by_value
      - .offset:         169
        .size:           1
        .value_kind:     by_value
      - .offset:         170
        .size:           1
        .value_kind:     by_value
    .group_segment_fixed_size: 0
    .kernarg_segment_align: 8
    .kernarg_segment_size: 172
    .language:       OpenCL C
    .language_version:
      - 2
      - 0
    .max_flat_workgroup_size: 512
    .name:           _ZN9rocsparseL41csrgemm_numeric_fill_block_per_row_kernelILj512ELj32ELj1024ELj137ELj32Eli21rocsparse_complex_numIdEEEvT5_PKS3_S5_NS_24const_host_device_scalarIT6_EEPKT4_S5_PKS7_SB_S5_SD_S8_SB_S5_SD_SB_S5_PS7_21rocsparse_index_base_SF_SF_SF_bbb
    .private_segment_fixed_size: 40
    .sgpr_count:     48
    .sgpr_spill_count: 0
    .symbol:         _ZN9rocsparseL41csrgemm_numeric_fill_block_per_row_kernelILj512ELj32ELj1024ELj137ELj32Eli21rocsparse_complex_numIdEEEvT5_PKS3_S5_NS_24const_host_device_scalarIT6_EEPKT4_S5_PKS7_SB_S5_SD_S8_SB_S5_SD_SB_S5_PS7_21rocsparse_index_base_SF_SF_SF_bbb.kd
    .uniform_work_group_size: 1
    .uses_dynamic_stack: false
    .vgpr_count:     36
    .vgpr_spill_count: 0
    .wavefront_size: 32
    .workgroup_processor_mode: 1
  - .args:
      - .offset:         0
        .size:           4
        .value_kind:     by_value
      - .actual_access:  read_only
        .address_space:  global
        .offset:         8
        .size:           8
        .value_kind:     global_buffer
      - .actual_access:  read_only
        .address_space:  global
        .offset:         16
        .size:           8
        .value_kind:     global_buffer
      - .offset:         24
        .size:           16
        .value_kind:     by_value
      - .actual_access:  read_only
        .address_space:  global
        .offset:         40
        .size:           8
        .value_kind:     global_buffer
      - .actual_access:  read_only
        .address_space:  global
        .offset:         48
        .size:           8
        .value_kind:     global_buffer
      - .actual_access:  read_only
        .address_space:  global
        .offset:         56
        .size:           8
        .value_kind:     global_buffer
      - .actual_access:  read_only
        .address_space:  global
        .offset:         64
        .size:           8
        .value_kind:     global_buffer
      - .actual_access:  read_only
        .address_space:  global
        .offset:         72
        .size:           8
        .value_kind:     global_buffer
      - .actual_access:  read_only
        .address_space:  global
        .offset:         80
        .size:           8
        .value_kind:     global_buffer
      - .offset:         88
        .size:           16
        .value_kind:     by_value
      - .actual_access:  read_only
        .address_space:  global
        .offset:         104
        .size:           8
        .value_kind:     global_buffer
      - .actual_access:  read_only
        .address_space:  global
        .offset:         112
        .size:           8
        .value_kind:     global_buffer
      - .actual_access:  read_only
        .address_space:  global
        .offset:         120
        .size:           8
        .value_kind:     global_buffer
      - .actual_access:  read_only
        .address_space:  global
        .offset:         128
        .size:           8
        .value_kind:     global_buffer
      - .actual_access:  read_only
        .address_space:  global
        .offset:         136
        .size:           8
        .value_kind:     global_buffer
      - .actual_access:  write_only
        .address_space:  global
        .offset:         144
        .size:           8
        .value_kind:     global_buffer
      - .offset:         152
        .size:           4
        .value_kind:     by_value
      - .offset:         156
        .size:           4
        .value_kind:     by_value
      - .offset:         160
        .size:           4
        .value_kind:     by_value
      - .offset:         164
        .size:           4
        .value_kind:     by_value
      - .offset:         168
        .size:           1
        .value_kind:     by_value
      - .offset:         169
        .size:           1
        .value_kind:     by_value
      - .offset:         170
        .size:           1
        .value_kind:     by_value
    .group_segment_fixed_size: 0
    .kernarg_segment_align: 8
    .kernarg_segment_size: 172
    .language:       OpenCL C
    .language_version:
      - 2
      - 0
    .max_flat_workgroup_size: 512
    .name:           _ZN9rocsparseL41csrgemm_numeric_fill_block_per_row_kernelILj512ELj32ELj1024ELj137ELj64Eli21rocsparse_complex_numIdEEEvT5_PKS3_S5_NS_24const_host_device_scalarIT6_EEPKT4_S5_PKS7_SB_S5_SD_S8_SB_S5_SD_SB_S5_PS7_21rocsparse_index_base_SF_SF_SF_bbb
    .private_segment_fixed_size: 40
    .sgpr_count:     48
    .sgpr_spill_count: 0
    .symbol:         _ZN9rocsparseL41csrgemm_numeric_fill_block_per_row_kernelILj512ELj32ELj1024ELj137ELj64Eli21rocsparse_complex_numIdEEEvT5_PKS3_S5_NS_24const_host_device_scalarIT6_EEPKT4_S5_PKS7_SB_S5_SD_S8_SB_S5_SD_SB_S5_PS7_21rocsparse_index_base_SF_SF_SF_bbb.kd
    .uniform_work_group_size: 1
    .uses_dynamic_stack: false
    .vgpr_count:     35
    .vgpr_spill_count: 0
    .wavefront_size: 32
    .workgroup_processor_mode: 1
  - .args:
      - .offset:         0
        .size:           4
        .value_kind:     by_value
      - .actual_access:  read_only
        .address_space:  global
        .offset:         8
        .size:           8
        .value_kind:     global_buffer
      - .actual_access:  read_only
        .address_space:  global
        .offset:         16
        .size:           8
        .value_kind:     global_buffer
      - .offset:         24
        .size:           16
        .value_kind:     by_value
      - .actual_access:  read_only
        .address_space:  global
        .offset:         40
        .size:           8
        .value_kind:     global_buffer
      - .actual_access:  read_only
        .address_space:  global
        .offset:         48
        .size:           8
        .value_kind:     global_buffer
      - .actual_access:  read_only
        .address_space:  global
        .offset:         56
        .size:           8
        .value_kind:     global_buffer
      - .actual_access:  read_only
        .address_space:  global
        .offset:         64
        .size:           8
        .value_kind:     global_buffer
      - .actual_access:  read_only
        .address_space:  global
        .offset:         72
        .size:           8
        .value_kind:     global_buffer
      - .actual_access:  read_only
        .address_space:  global
        .offset:         80
        .size:           8
        .value_kind:     global_buffer
      - .offset:         88
        .size:           16
        .value_kind:     by_value
      - .actual_access:  read_only
        .address_space:  global
        .offset:         104
        .size:           8
        .value_kind:     global_buffer
      - .actual_access:  read_only
        .address_space:  global
        .offset:         112
        .size:           8
        .value_kind:     global_buffer
      - .actual_access:  read_only
        .address_space:  global
        .offset:         120
        .size:           8
        .value_kind:     global_buffer
      - .actual_access:  read_only
        .address_space:  global
        .offset:         128
        .size:           8
        .value_kind:     global_buffer
      - .actual_access:  read_only
        .address_space:  global
        .offset:         136
        .size:           8
        .value_kind:     global_buffer
      - .actual_access:  write_only
        .address_space:  global
        .offset:         144
        .size:           8
        .value_kind:     global_buffer
      - .offset:         152
        .size:           4
        .value_kind:     by_value
      - .offset:         156
        .size:           4
        .value_kind:     by_value
      - .offset:         160
        .size:           4
        .value_kind:     by_value
      - .offset:         164
        .size:           4
        .value_kind:     by_value
      - .offset:         168
        .size:           1
        .value_kind:     by_value
      - .offset:         169
        .size:           1
        .value_kind:     by_value
      - .offset:         170
        .size:           1
        .value_kind:     by_value
    .group_segment_fixed_size: 0
    .kernarg_segment_align: 8
    .kernarg_segment_size: 172
    .language:       OpenCL C
    .language_version:
      - 2
      - 0
    .max_flat_workgroup_size: 1024
    .name:           _ZN9rocsparseL41csrgemm_numeric_fill_block_per_row_kernelILj1024ELj32ELj2048ELj137ELj32Eli21rocsparse_complex_numIdEEEvT5_PKS3_S5_NS_24const_host_device_scalarIT6_EEPKT4_S5_PKS7_SB_S5_SD_S8_SB_S5_SD_SB_S5_PS7_21rocsparse_index_base_SF_SF_SF_bbb
    .private_segment_fixed_size: 40
    .sgpr_count:     52
    .sgpr_spill_count: 0
    .symbol:         _ZN9rocsparseL41csrgemm_numeric_fill_block_per_row_kernelILj1024ELj32ELj2048ELj137ELj32Eli21rocsparse_complex_numIdEEEvT5_PKS3_S5_NS_24const_host_device_scalarIT6_EEPKT4_S5_PKS7_SB_S5_SD_S8_SB_S5_SD_SB_S5_PS7_21rocsparse_index_base_SF_SF_SF_bbb.kd
    .uniform_work_group_size: 1
    .uses_dynamic_stack: false
    .vgpr_count:     36
    .vgpr_spill_count: 0
    .wavefront_size: 32
    .workgroup_processor_mode: 1
  - .args:
      - .offset:         0
        .size:           4
        .value_kind:     by_value
      - .actual_access:  read_only
        .address_space:  global
        .offset:         8
        .size:           8
        .value_kind:     global_buffer
      - .actual_access:  read_only
        .address_space:  global
        .offset:         16
        .size:           8
        .value_kind:     global_buffer
      - .offset:         24
        .size:           16
        .value_kind:     by_value
      - .actual_access:  read_only
        .address_space:  global
        .offset:         40
        .size:           8
        .value_kind:     global_buffer
      - .actual_access:  read_only
        .address_space:  global
        .offset:         48
        .size:           8
        .value_kind:     global_buffer
      - .actual_access:  read_only
        .address_space:  global
        .offset:         56
        .size:           8
        .value_kind:     global_buffer
      - .actual_access:  read_only
        .address_space:  global
        .offset:         64
        .size:           8
        .value_kind:     global_buffer
      - .actual_access:  read_only
        .address_space:  global
        .offset:         72
        .size:           8
        .value_kind:     global_buffer
      - .actual_access:  read_only
        .address_space:  global
        .offset:         80
        .size:           8
        .value_kind:     global_buffer
      - .offset:         88
        .size:           16
        .value_kind:     by_value
      - .actual_access:  read_only
        .address_space:  global
        .offset:         104
        .size:           8
        .value_kind:     global_buffer
      - .actual_access:  read_only
        .address_space:  global
        .offset:         112
        .size:           8
        .value_kind:     global_buffer
      - .actual_access:  read_only
        .address_space:  global
        .offset:         120
        .size:           8
        .value_kind:     global_buffer
      - .actual_access:  read_only
        .address_space:  global
        .offset:         128
        .size:           8
        .value_kind:     global_buffer
      - .actual_access:  read_only
        .address_space:  global
        .offset:         136
        .size:           8
        .value_kind:     global_buffer
      - .actual_access:  write_only
        .address_space:  global
        .offset:         144
        .size:           8
        .value_kind:     global_buffer
      - .offset:         152
        .size:           4
        .value_kind:     by_value
      - .offset:         156
        .size:           4
        .value_kind:     by_value
      - .offset:         160
        .size:           4
        .value_kind:     by_value
      - .offset:         164
        .size:           4
        .value_kind:     by_value
      - .offset:         168
        .size:           1
        .value_kind:     by_value
      - .offset:         169
        .size:           1
        .value_kind:     by_value
      - .offset:         170
        .size:           1
        .value_kind:     by_value
    .group_segment_fixed_size: 0
    .kernarg_segment_align: 8
    .kernarg_segment_size: 172
    .language:       OpenCL C
    .language_version:
      - 2
      - 0
    .max_flat_workgroup_size: 1024
    .name:           _ZN9rocsparseL41csrgemm_numeric_fill_block_per_row_kernelILj1024ELj32ELj2048ELj137ELj64Eli21rocsparse_complex_numIdEEEvT5_PKS3_S5_NS_24const_host_device_scalarIT6_EEPKT4_S5_PKS7_SB_S5_SD_S8_SB_S5_SD_SB_S5_PS7_21rocsparse_index_base_SF_SF_SF_bbb
    .private_segment_fixed_size: 40
    .sgpr_count:     48
    .sgpr_spill_count: 0
    .symbol:         _ZN9rocsparseL41csrgemm_numeric_fill_block_per_row_kernelILj1024ELj32ELj2048ELj137ELj64Eli21rocsparse_complex_numIdEEEvT5_PKS3_S5_NS_24const_host_device_scalarIT6_EEPKT4_S5_PKS7_SB_S5_SD_S8_SB_S5_SD_SB_S5_PS7_21rocsparse_index_base_SF_SF_SF_bbb.kd
    .uniform_work_group_size: 1
    .uses_dynamic_stack: false
    .vgpr_count:     35
    .vgpr_spill_count: 0
    .wavefront_size: 32
    .workgroup_processor_mode: 1
  - .args:
      - .offset:         0
        .size:           4
        .value_kind:     by_value
      - .actual_access:  read_only
        .address_space:  global
        .offset:         8
        .size:           8
        .value_kind:     global_buffer
      - .actual_access:  read_only
        .address_space:  global
        .offset:         16
        .size:           8
        .value_kind:     global_buffer
      - .offset:         24
        .size:           16
        .value_kind:     by_value
      - .actual_access:  read_only
        .address_space:  global
        .offset:         40
        .size:           8
        .value_kind:     global_buffer
      - .actual_access:  read_only
        .address_space:  global
        .offset:         48
        .size:           8
        .value_kind:     global_buffer
      - .actual_access:  read_only
        .address_space:  global
        .offset:         56
        .size:           8
        .value_kind:     global_buffer
      - .actual_access:  read_only
        .address_space:  global
        .offset:         64
        .size:           8
        .value_kind:     global_buffer
      - .actual_access:  read_only
        .address_space:  global
        .offset:         72
        .size:           8
        .value_kind:     global_buffer
      - .actual_access:  read_only
        .address_space:  global
        .offset:         80
        .size:           8
        .value_kind:     global_buffer
      - .offset:         88
        .size:           16
        .value_kind:     by_value
      - .actual_access:  read_only
        .address_space:  global
        .offset:         104
        .size:           8
        .value_kind:     global_buffer
      - .actual_access:  read_only
        .address_space:  global
        .offset:         112
        .size:           8
        .value_kind:     global_buffer
      - .actual_access:  read_only
        .address_space:  global
        .offset:         120
        .size:           8
        .value_kind:     global_buffer
      - .actual_access:  read_only
        .address_space:  global
        .offset:         128
        .size:           8
        .value_kind:     global_buffer
      - .actual_access:  read_only
        .address_space:  global
        .offset:         136
        .size:           8
        .value_kind:     global_buffer
      - .actual_access:  write_only
        .address_space:  global
        .offset:         144
        .size:           8
        .value_kind:     global_buffer
      - .offset:         152
        .size:           4
        .value_kind:     by_value
      - .offset:         156
        .size:           4
        .value_kind:     by_value
      - .offset:         160
        .size:           4
        .value_kind:     by_value
      - .offset:         164
        .size:           4
        .value_kind:     by_value
      - .offset:         168
        .size:           1
        .value_kind:     by_value
      - .offset:         169
        .size:           1
        .value_kind:     by_value
      - .offset:         170
        .size:           1
        .value_kind:     by_value
    .group_segment_fixed_size: 0
    .kernarg_segment_align: 8
    .kernarg_segment_size: 172
    .language:       OpenCL C
    .language_version:
      - 2
      - 0
    .max_flat_workgroup_size: 1024
    .name:           _ZN9rocsparseL41csrgemm_numeric_fill_block_per_row_kernelILj1024ELj64ELj4096ELj137ELj32Eli21rocsparse_complex_numIdEEEvT5_PKS3_S5_NS_24const_host_device_scalarIT6_EEPKT4_S5_PKS7_SB_S5_SD_S8_SB_S5_SD_SB_S5_PS7_21rocsparse_index_base_SF_SF_SF_bbb
    .private_segment_fixed_size: 40
    .sgpr_count:     76
    .sgpr_spill_count: 0
    .symbol:         _ZN9rocsparseL41csrgemm_numeric_fill_block_per_row_kernelILj1024ELj64ELj4096ELj137ELj32Eli21rocsparse_complex_numIdEEEvT5_PKS3_S5_NS_24const_host_device_scalarIT6_EEPKT4_S5_PKS7_SB_S5_SD_S8_SB_S5_SD_SB_S5_PS7_21rocsparse_index_base_SF_SF_SF_bbb.kd
    .uniform_work_group_size: 1
    .uses_dynamic_stack: false
    .vgpr_count:     35
    .vgpr_spill_count: 0
    .wavefront_size: 32
    .workgroup_processor_mode: 1
  - .args:
      - .offset:         0
        .size:           4
        .value_kind:     by_value
      - .actual_access:  read_only
        .address_space:  global
        .offset:         8
        .size:           8
        .value_kind:     global_buffer
      - .actual_access:  read_only
        .address_space:  global
        .offset:         16
        .size:           8
        .value_kind:     global_buffer
      - .offset:         24
        .size:           16
        .value_kind:     by_value
      - .actual_access:  read_only
        .address_space:  global
        .offset:         40
        .size:           8
        .value_kind:     global_buffer
      - .actual_access:  read_only
        .address_space:  global
        .offset:         48
        .size:           8
        .value_kind:     global_buffer
      - .actual_access:  read_only
        .address_space:  global
        .offset:         56
        .size:           8
        .value_kind:     global_buffer
      - .actual_access:  read_only
        .address_space:  global
        .offset:         64
        .size:           8
        .value_kind:     global_buffer
      - .actual_access:  read_only
        .address_space:  global
        .offset:         72
        .size:           8
        .value_kind:     global_buffer
      - .actual_access:  read_only
        .address_space:  global
        .offset:         80
        .size:           8
        .value_kind:     global_buffer
      - .offset:         88
        .size:           16
        .value_kind:     by_value
      - .actual_access:  read_only
        .address_space:  global
        .offset:         104
        .size:           8
        .value_kind:     global_buffer
      - .actual_access:  read_only
        .address_space:  global
        .offset:         112
        .size:           8
        .value_kind:     global_buffer
      - .actual_access:  read_only
        .address_space:  global
        .offset:         120
        .size:           8
        .value_kind:     global_buffer
      - .actual_access:  read_only
        .address_space:  global
        .offset:         128
        .size:           8
        .value_kind:     global_buffer
      - .actual_access:  read_only
        .address_space:  global
        .offset:         136
        .size:           8
        .value_kind:     global_buffer
      - .actual_access:  write_only
        .address_space:  global
        .offset:         144
        .size:           8
        .value_kind:     global_buffer
      - .offset:         152
        .size:           4
        .value_kind:     by_value
      - .offset:         156
        .size:           4
        .value_kind:     by_value
      - .offset:         160
        .size:           4
        .value_kind:     by_value
      - .offset:         164
        .size:           4
        .value_kind:     by_value
      - .offset:         168
        .size:           1
        .value_kind:     by_value
      - .offset:         169
        .size:           1
        .value_kind:     by_value
      - .offset:         170
        .size:           1
        .value_kind:     by_value
    .group_segment_fixed_size: 0
    .kernarg_segment_align: 8
    .kernarg_segment_size: 172
    .language:       OpenCL C
    .language_version:
      - 2
      - 0
    .max_flat_workgroup_size: 1024
    .name:           _ZN9rocsparseL41csrgemm_numeric_fill_block_per_row_kernelILj1024ELj64ELj4096ELj137ELj64Eli21rocsparse_complex_numIdEEEvT5_PKS3_S5_NS_24const_host_device_scalarIT6_EEPKT4_S5_PKS7_SB_S5_SD_S8_SB_S5_SD_SB_S5_PS7_21rocsparse_index_base_SF_SF_SF_bbb
    .private_segment_fixed_size: 40
    .sgpr_count:     48
    .sgpr_spill_count: 0
    .symbol:         _ZN9rocsparseL41csrgemm_numeric_fill_block_per_row_kernelILj1024ELj64ELj4096ELj137ELj64Eli21rocsparse_complex_numIdEEEvT5_PKS3_S5_NS_24const_host_device_scalarIT6_EEPKT4_S5_PKS7_SB_S5_SD_S8_SB_S5_SD_SB_S5_PS7_21rocsparse_index_base_SF_SF_SF_bbb.kd
    .uniform_work_group_size: 1
    .uses_dynamic_stack: false
    .vgpr_count:     36
    .vgpr_spill_count: 0
    .wavefront_size: 32
    .workgroup_processor_mode: 1
  - .args:
      - .offset:         0
        .size:           4
        .value_kind:     by_value
      - .actual_access:  read_only
        .address_space:  global
        .offset:         8
        .size:           8
        .value_kind:     global_buffer
      - .actual_access:  read_only
        .address_space:  global
        .offset:         16
        .size:           8
        .value_kind:     global_buffer
      - .offset:         24
        .size:           16
        .value_kind:     by_value
      - .actual_access:  read_only
        .address_space:  global
        .offset:         40
        .size:           8
        .value_kind:     global_buffer
      - .actual_access:  read_only
        .address_space:  global
        .offset:         48
        .size:           8
        .value_kind:     global_buffer
      - .actual_access:  read_only
        .address_space:  global
        .offset:         56
        .size:           8
        .value_kind:     global_buffer
      - .actual_access:  read_only
        .address_space:  global
        .offset:         64
        .size:           8
        .value_kind:     global_buffer
      - .actual_access:  read_only
        .address_space:  global
        .offset:         72
        .size:           8
        .value_kind:     global_buffer
      - .actual_access:  read_only
        .address_space:  global
        .offset:         80
        .size:           8
        .value_kind:     global_buffer
      - .offset:         88
        .size:           16
        .value_kind:     by_value
      - .actual_access:  read_only
        .address_space:  global
        .offset:         104
        .size:           8
        .value_kind:     global_buffer
      - .actual_access:  read_only
        .address_space:  global
        .offset:         112
        .size:           8
        .value_kind:     global_buffer
      - .actual_access:  read_only
        .address_space:  global
        .offset:         120
        .size:           8
        .value_kind:     global_buffer
      - .actual_access:  read_only
        .address_space:  global
        .offset:         128
        .size:           8
        .value_kind:     global_buffer
      - .actual_access:  read_only
        .address_space:  global
        .offset:         136
        .size:           8
        .value_kind:     global_buffer
      - .actual_access:  write_only
        .address_space:  global
        .offset:         144
        .size:           8
        .value_kind:     global_buffer
      - .offset:         152
        .size:           4
        .value_kind:     by_value
      - .offset:         156
        .size:           4
        .value_kind:     by_value
      - .offset:         160
        .size:           4
        .value_kind:     by_value
      - .offset:         164
        .size:           4
        .value_kind:     by_value
      - .offset:         168
        .size:           1
        .value_kind:     by_value
      - .offset:         169
        .size:           1
        .value_kind:     by_value
      - .offset:         170
        .size:           1
        .value_kind:     by_value
    .group_segment_fixed_size: 0
    .kernarg_segment_align: 8
    .kernarg_segment_size: 172
    .language:       OpenCL C
    .language_version:
      - 2
      - 0
    .max_flat_workgroup_size: 1024
    .name:           _ZN9rocsparseL41csrgemm_numeric_fill_block_per_row_kernelILj1024ELj64ELj8192ELj137ELj32Eli21rocsparse_complex_numIdEEEvT5_PKS3_S5_NS_24const_host_device_scalarIT6_EEPKT4_S5_PKS7_SB_S5_SD_S8_SB_S5_SD_SB_S5_PS7_21rocsparse_index_base_SF_SF_SF_bbb
    .private_segment_fixed_size: 40
    .sgpr_count:     76
    .sgpr_spill_count: 0
    .symbol:         _ZN9rocsparseL41csrgemm_numeric_fill_block_per_row_kernelILj1024ELj64ELj8192ELj137ELj32Eli21rocsparse_complex_numIdEEEvT5_PKS3_S5_NS_24const_host_device_scalarIT6_EEPKT4_S5_PKS7_SB_S5_SD_S8_SB_S5_SD_SB_S5_PS7_21rocsparse_index_base_SF_SF_SF_bbb.kd
    .uniform_work_group_size: 1
    .uses_dynamic_stack: false
    .vgpr_count:     34
    .vgpr_spill_count: 0
    .wavefront_size: 32
    .workgroup_processor_mode: 1
  - .args:
      - .offset:         0
        .size:           4
        .value_kind:     by_value
      - .actual_access:  read_only
        .address_space:  global
        .offset:         8
        .size:           8
        .value_kind:     global_buffer
      - .actual_access:  read_only
        .address_space:  global
        .offset:         16
        .size:           8
        .value_kind:     global_buffer
      - .offset:         24
        .size:           16
        .value_kind:     by_value
      - .actual_access:  read_only
        .address_space:  global
        .offset:         40
        .size:           8
        .value_kind:     global_buffer
      - .actual_access:  read_only
        .address_space:  global
        .offset:         48
        .size:           8
        .value_kind:     global_buffer
      - .actual_access:  read_only
        .address_space:  global
        .offset:         56
        .size:           8
        .value_kind:     global_buffer
      - .actual_access:  read_only
        .address_space:  global
        .offset:         64
        .size:           8
        .value_kind:     global_buffer
      - .actual_access:  read_only
        .address_space:  global
        .offset:         72
        .size:           8
        .value_kind:     global_buffer
      - .actual_access:  read_only
        .address_space:  global
        .offset:         80
        .size:           8
        .value_kind:     global_buffer
      - .offset:         88
        .size:           16
        .value_kind:     by_value
      - .actual_access:  read_only
        .address_space:  global
        .offset:         104
        .size:           8
        .value_kind:     global_buffer
      - .actual_access:  read_only
        .address_space:  global
        .offset:         112
        .size:           8
        .value_kind:     global_buffer
      - .actual_access:  read_only
        .address_space:  global
        .offset:         120
        .size:           8
        .value_kind:     global_buffer
      - .actual_access:  read_only
        .address_space:  global
        .offset:         128
        .size:           8
        .value_kind:     global_buffer
      - .actual_access:  read_only
        .address_space:  global
        .offset:         136
        .size:           8
        .value_kind:     global_buffer
      - .actual_access:  write_only
        .address_space:  global
        .offset:         144
        .size:           8
        .value_kind:     global_buffer
      - .offset:         152
        .size:           4
        .value_kind:     by_value
      - .offset:         156
        .size:           4
        .value_kind:     by_value
      - .offset:         160
        .size:           4
        .value_kind:     by_value
      - .offset:         164
        .size:           4
        .value_kind:     by_value
      - .offset:         168
        .size:           1
        .value_kind:     by_value
      - .offset:         169
        .size:           1
        .value_kind:     by_value
      - .offset:         170
        .size:           1
        .value_kind:     by_value
    .group_segment_fixed_size: 0
    .kernarg_segment_align: 8
    .kernarg_segment_size: 172
    .language:       OpenCL C
    .language_version:
      - 2
      - 0
    .max_flat_workgroup_size: 1024
    .name:           _ZN9rocsparseL41csrgemm_numeric_fill_block_per_row_kernelILj1024ELj64ELj8192ELj137ELj64Eli21rocsparse_complex_numIdEEEvT5_PKS3_S5_NS_24const_host_device_scalarIT6_EEPKT4_S5_PKS7_SB_S5_SD_S8_SB_S5_SD_SB_S5_PS7_21rocsparse_index_base_SF_SF_SF_bbb
    .private_segment_fixed_size: 40
    .sgpr_count:     44
    .sgpr_spill_count: 0
    .symbol:         _ZN9rocsparseL41csrgemm_numeric_fill_block_per_row_kernelILj1024ELj64ELj8192ELj137ELj64Eli21rocsparse_complex_numIdEEEvT5_PKS3_S5_NS_24const_host_device_scalarIT6_EEPKT4_S5_PKS7_SB_S5_SD_S8_SB_S5_SD_SB_S5_PS7_21rocsparse_index_base_SF_SF_SF_bbb.kd
    .uniform_work_group_size: 1
    .uses_dynamic_stack: false
    .vgpr_count:     35
    .vgpr_spill_count: 0
    .wavefront_size: 32
    .workgroup_processor_mode: 1
  - .args:
      - .offset:         0
        .size:           4
        .value_kind:     by_value
      - .actual_access:  read_only
        .address_space:  global
        .offset:         8
        .size:           8
        .value_kind:     global_buffer
      - .actual_access:  read_only
        .address_space:  global
        .offset:         16
        .size:           8
        .value_kind:     global_buffer
      - .offset:         24
        .size:           16
        .value_kind:     by_value
      - .actual_access:  read_only
        .address_space:  global
        .offset:         40
        .size:           8
        .value_kind:     global_buffer
      - .actual_access:  read_only
        .address_space:  global
        .offset:         48
        .size:           8
        .value_kind:     global_buffer
      - .actual_access:  read_only
        .address_space:  global
        .offset:         56
        .size:           8
        .value_kind:     global_buffer
      - .actual_access:  read_only
        .address_space:  global
        .offset:         64
        .size:           8
        .value_kind:     global_buffer
      - .actual_access:  read_only
        .address_space:  global
        .offset:         72
        .size:           8
        .value_kind:     global_buffer
      - .actual_access:  read_only
        .address_space:  global
        .offset:         80
        .size:           8
        .value_kind:     global_buffer
      - .offset:         88
        .size:           16
        .value_kind:     by_value
      - .actual_access:  read_only
        .address_space:  global
        .offset:         104
        .size:           8
        .value_kind:     global_buffer
      - .actual_access:  read_only
        .address_space:  global
        .offset:         112
        .size:           8
        .value_kind:     global_buffer
      - .actual_access:  read_only
        .address_space:  global
        .offset:         120
        .size:           8
        .value_kind:     global_buffer
      - .actual_access:  read_only
        .address_space:  global
        .offset:         128
        .size:           8
        .value_kind:     global_buffer
      - .actual_access:  read_only
        .address_space:  global
        .offset:         136
        .size:           8
        .value_kind:     global_buffer
      - .actual_access:  write_only
        .address_space:  global
        .offset:         144
        .size:           8
        .value_kind:     global_buffer
      - .offset:         152
        .size:           4
        .value_kind:     by_value
      - .offset:         156
        .size:           4
        .value_kind:     by_value
      - .offset:         160
        .size:           4
        .value_kind:     by_value
      - .offset:         164
        .size:           4
        .value_kind:     by_value
      - .offset:         168
        .size:           1
        .value_kind:     by_value
      - .offset:         169
        .size:           1
        .value_kind:     by_value
      - .offset:         170
        .size:           1
        .value_kind:     by_value
    .group_segment_fixed_size: 0
    .kernarg_segment_align: 8
    .kernarg_segment_size: 172
    .language:       OpenCL C
    .language_version:
      - 2
      - 0
    .max_flat_workgroup_size: 1024
    .name:           _ZN9rocsparseL41csrgemm_numeric_fill_block_per_row_kernelILj1024ELj64ELj16384ELj137ELj32Eli21rocsparse_complex_numIdEEEvT5_PKS3_S5_NS_24const_host_device_scalarIT6_EEPKT4_S5_PKS7_SB_S5_SD_S8_SB_S5_SD_SB_S5_PS7_21rocsparse_index_base_SF_SF_SF_bbb
    .private_segment_fixed_size: 40
    .sgpr_count:     76
    .sgpr_spill_count: 0
    .symbol:         _ZN9rocsparseL41csrgemm_numeric_fill_block_per_row_kernelILj1024ELj64ELj16384ELj137ELj32Eli21rocsparse_complex_numIdEEEvT5_PKS3_S5_NS_24const_host_device_scalarIT6_EEPKT4_S5_PKS7_SB_S5_SD_S8_SB_S5_SD_SB_S5_PS7_21rocsparse_index_base_SF_SF_SF_bbb.kd
    .uniform_work_group_size: 1
    .uses_dynamic_stack: false
    .vgpr_count:     35
    .vgpr_spill_count: 0
    .wavefront_size: 32
    .workgroup_processor_mode: 1
  - .args:
      - .offset:         0
        .size:           4
        .value_kind:     by_value
      - .actual_access:  read_only
        .address_space:  global
        .offset:         8
        .size:           8
        .value_kind:     global_buffer
      - .actual_access:  read_only
        .address_space:  global
        .offset:         16
        .size:           8
        .value_kind:     global_buffer
      - .offset:         24
        .size:           16
        .value_kind:     by_value
      - .actual_access:  read_only
        .address_space:  global
        .offset:         40
        .size:           8
        .value_kind:     global_buffer
      - .actual_access:  read_only
        .address_space:  global
        .offset:         48
        .size:           8
        .value_kind:     global_buffer
      - .actual_access:  read_only
        .address_space:  global
        .offset:         56
        .size:           8
        .value_kind:     global_buffer
      - .actual_access:  read_only
        .address_space:  global
        .offset:         64
        .size:           8
        .value_kind:     global_buffer
      - .actual_access:  read_only
        .address_space:  global
        .offset:         72
        .size:           8
        .value_kind:     global_buffer
      - .actual_access:  read_only
        .address_space:  global
        .offset:         80
        .size:           8
        .value_kind:     global_buffer
      - .offset:         88
        .size:           16
        .value_kind:     by_value
      - .actual_access:  read_only
        .address_space:  global
        .offset:         104
        .size:           8
        .value_kind:     global_buffer
      - .actual_access:  read_only
        .address_space:  global
        .offset:         112
        .size:           8
        .value_kind:     global_buffer
      - .actual_access:  read_only
        .address_space:  global
        .offset:         120
        .size:           8
        .value_kind:     global_buffer
      - .actual_access:  read_only
        .address_space:  global
        .offset:         128
        .size:           8
        .value_kind:     global_buffer
      - .actual_access:  read_only
        .address_space:  global
        .offset:         136
        .size:           8
        .value_kind:     global_buffer
      - .actual_access:  write_only
        .address_space:  global
        .offset:         144
        .size:           8
        .value_kind:     global_buffer
      - .offset:         152
        .size:           4
        .value_kind:     by_value
      - .offset:         156
        .size:           4
        .value_kind:     by_value
      - .offset:         160
        .size:           4
        .value_kind:     by_value
      - .offset:         164
        .size:           4
        .value_kind:     by_value
      - .offset:         168
        .size:           1
        .value_kind:     by_value
      - .offset:         169
        .size:           1
        .value_kind:     by_value
      - .offset:         170
        .size:           1
        .value_kind:     by_value
    .group_segment_fixed_size: 0
    .kernarg_segment_align: 8
    .kernarg_segment_size: 172
    .language:       OpenCL C
    .language_version:
      - 2
      - 0
    .max_flat_workgroup_size: 1024
    .name:           _ZN9rocsparseL41csrgemm_numeric_fill_block_per_row_kernelILj1024ELj64ELj16384ELj137ELj64Eli21rocsparse_complex_numIdEEEvT5_PKS3_S5_NS_24const_host_device_scalarIT6_EEPKT4_S5_PKS7_SB_S5_SD_S8_SB_S5_SD_SB_S5_PS7_21rocsparse_index_base_SF_SF_SF_bbb
    .private_segment_fixed_size: 40
    .sgpr_count:     48
    .sgpr_spill_count: 0
    .symbol:         _ZN9rocsparseL41csrgemm_numeric_fill_block_per_row_kernelILj1024ELj64ELj16384ELj137ELj64Eli21rocsparse_complex_numIdEEEvT5_PKS3_S5_NS_24const_host_device_scalarIT6_EEPKT4_S5_PKS7_SB_S5_SD_S8_SB_S5_SD_SB_S5_PS7_21rocsparse_index_base_SF_SF_SF_bbb.kd
    .uniform_work_group_size: 1
    .uses_dynamic_stack: false
    .vgpr_count:     36
    .vgpr_spill_count: 0
    .wavefront_size: 32
    .workgroup_processor_mode: 1
  - .args:
      - .offset:         0
        .size:           4
        .value_kind:     by_value
      - .actual_access:  read_only
        .address_space:  global
        .offset:         8
        .size:           8
        .value_kind:     global_buffer
      - .actual_access:  read_only
        .address_space:  global
        .offset:         16
        .size:           8
        .value_kind:     global_buffer
      - .offset:         24
        .size:           16
        .value_kind:     by_value
      - .actual_access:  read_only
        .address_space:  global
        .offset:         40
        .size:           8
        .value_kind:     global_buffer
      - .actual_access:  read_only
        .address_space:  global
        .offset:         48
        .size:           8
        .value_kind:     global_buffer
      - .actual_access:  read_only
        .address_space:  global
        .offset:         56
        .size:           8
        .value_kind:     global_buffer
      - .actual_access:  read_only
        .address_space:  global
        .offset:         64
        .size:           8
        .value_kind:     global_buffer
      - .actual_access:  read_only
        .address_space:  global
        .offset:         72
        .size:           8
        .value_kind:     global_buffer
      - .actual_access:  read_only
        .address_space:  global
        .offset:         80
        .size:           8
        .value_kind:     global_buffer
      - .offset:         88
        .size:           16
        .value_kind:     by_value
      - .actual_access:  read_only
        .address_space:  global
        .offset:         104
        .size:           8
        .value_kind:     global_buffer
      - .actual_access:  read_only
        .address_space:  global
        .offset:         112
        .size:           8
        .value_kind:     global_buffer
      - .actual_access:  read_only
        .address_space:  global
        .offset:         120
        .size:           8
        .value_kind:     global_buffer
      - .actual_access:  read_only
        .address_space:  global
        .offset:         128
        .size:           8
        .value_kind:     global_buffer
      - .actual_access:  read_only
        .address_space:  global
        .offset:         136
        .size:           8
        .value_kind:     global_buffer
      - .actual_access:  write_only
        .address_space:  global
        .offset:         144
        .size:           8
        .value_kind:     global_buffer
      - .offset:         152
        .size:           4
        .value_kind:     by_value
      - .offset:         156
        .size:           4
        .value_kind:     by_value
      - .offset:         160
        .size:           4
        .value_kind:     by_value
      - .offset:         164
        .size:           4
        .value_kind:     by_value
      - .offset:         168
        .size:           1
        .value_kind:     by_value
      - .offset:         169
        .size:           1
        .value_kind:     by_value
      - .offset:         170
        .size:           1
        .value_kind:     by_value
    .group_segment_fixed_size: 0
    .kernarg_segment_align: 8
    .kernarg_segment_size: 172
    .language:       OpenCL C
    .language_version:
      - 2
      - 0
    .max_flat_workgroup_size: 1024
    .name:           _ZN9rocsparseL41csrgemm_numeric_fill_block_per_row_kernelILj1024ELj64ELj32768ELj137ELj32Eli21rocsparse_complex_numIdEEEvT5_PKS3_S5_NS_24const_host_device_scalarIT6_EEPKT4_S5_PKS7_SB_S5_SD_S8_SB_S5_SD_SB_S5_PS7_21rocsparse_index_base_SF_SF_SF_bbb
    .private_segment_fixed_size: 40
    .sgpr_count:     76
    .sgpr_spill_count: 0
    .symbol:         _ZN9rocsparseL41csrgemm_numeric_fill_block_per_row_kernelILj1024ELj64ELj32768ELj137ELj32Eli21rocsparse_complex_numIdEEEvT5_PKS3_S5_NS_24const_host_device_scalarIT6_EEPKT4_S5_PKS7_SB_S5_SD_S8_SB_S5_SD_SB_S5_PS7_21rocsparse_index_base_SF_SF_SF_bbb.kd
    .uniform_work_group_size: 1
    .uses_dynamic_stack: false
    .vgpr_count:     35
    .vgpr_spill_count: 0
    .wavefront_size: 32
    .workgroup_processor_mode: 1
  - .args:
      - .offset:         0
        .size:           4
        .value_kind:     by_value
      - .actual_access:  read_only
        .address_space:  global
        .offset:         8
        .size:           8
        .value_kind:     global_buffer
      - .actual_access:  read_only
        .address_space:  global
        .offset:         16
        .size:           8
        .value_kind:     global_buffer
      - .offset:         24
        .size:           16
        .value_kind:     by_value
      - .actual_access:  read_only
        .address_space:  global
        .offset:         40
        .size:           8
        .value_kind:     global_buffer
      - .actual_access:  read_only
        .address_space:  global
        .offset:         48
        .size:           8
        .value_kind:     global_buffer
      - .actual_access:  read_only
        .address_space:  global
        .offset:         56
        .size:           8
        .value_kind:     global_buffer
      - .actual_access:  read_only
        .address_space:  global
        .offset:         64
        .size:           8
        .value_kind:     global_buffer
      - .actual_access:  read_only
        .address_space:  global
        .offset:         72
        .size:           8
        .value_kind:     global_buffer
      - .actual_access:  read_only
        .address_space:  global
        .offset:         80
        .size:           8
        .value_kind:     global_buffer
      - .offset:         88
        .size:           16
        .value_kind:     by_value
      - .actual_access:  read_only
        .address_space:  global
        .offset:         104
        .size:           8
        .value_kind:     global_buffer
      - .actual_access:  read_only
        .address_space:  global
        .offset:         112
        .size:           8
        .value_kind:     global_buffer
      - .actual_access:  read_only
        .address_space:  global
        .offset:         120
        .size:           8
        .value_kind:     global_buffer
      - .actual_access:  read_only
        .address_space:  global
        .offset:         128
        .size:           8
        .value_kind:     global_buffer
      - .actual_access:  read_only
        .address_space:  global
        .offset:         136
        .size:           8
        .value_kind:     global_buffer
      - .actual_access:  write_only
        .address_space:  global
        .offset:         144
        .size:           8
        .value_kind:     global_buffer
      - .offset:         152
        .size:           4
        .value_kind:     by_value
      - .offset:         156
        .size:           4
        .value_kind:     by_value
      - .offset:         160
        .size:           4
        .value_kind:     by_value
      - .offset:         164
        .size:           4
        .value_kind:     by_value
      - .offset:         168
        .size:           1
        .value_kind:     by_value
      - .offset:         169
        .size:           1
        .value_kind:     by_value
      - .offset:         170
        .size:           1
        .value_kind:     by_value
    .group_segment_fixed_size: 0
    .kernarg_segment_align: 8
    .kernarg_segment_size: 172
    .language:       OpenCL C
    .language_version:
      - 2
      - 0
    .max_flat_workgroup_size: 1024
    .name:           _ZN9rocsparseL41csrgemm_numeric_fill_block_per_row_kernelILj1024ELj64ELj32768ELj137ELj64Eli21rocsparse_complex_numIdEEEvT5_PKS3_S5_NS_24const_host_device_scalarIT6_EEPKT4_S5_PKS7_SB_S5_SD_S8_SB_S5_SD_SB_S5_PS7_21rocsparse_index_base_SF_SF_SF_bbb
    .private_segment_fixed_size: 40
    .sgpr_count:     48
    .sgpr_spill_count: 0
    .symbol:         _ZN9rocsparseL41csrgemm_numeric_fill_block_per_row_kernelILj1024ELj64ELj32768ELj137ELj64Eli21rocsparse_complex_numIdEEEvT5_PKS3_S5_NS_24const_host_device_scalarIT6_EEPKT4_S5_PKS7_SB_S5_SD_S8_SB_S5_SD_SB_S5_PS7_21rocsparse_index_base_SF_SF_SF_bbb.kd
    .uniform_work_group_size: 1
    .uses_dynamic_stack: false
    .vgpr_count:     36
    .vgpr_spill_count: 0
    .wavefront_size: 32
    .workgroup_processor_mode: 1
  - .args:
      - .offset:         0
        .size:           4
        .value_kind:     by_value
      - .actual_access:  read_only
        .address_space:  global
        .offset:         8
        .size:           8
        .value_kind:     global_buffer
      - .actual_access:  read_only
        .address_space:  global
        .offset:         16
        .size:           8
        .value_kind:     global_buffer
      - .offset:         24
        .size:           16
        .value_kind:     by_value
      - .actual_access:  read_only
        .address_space:  global
        .offset:         40
        .size:           8
        .value_kind:     global_buffer
      - .actual_access:  read_only
        .address_space:  global
        .offset:         48
        .size:           8
        .value_kind:     global_buffer
      - .actual_access:  read_only
        .address_space:  global
        .offset:         56
        .size:           8
        .value_kind:     global_buffer
      - .actual_access:  read_only
        .address_space:  global
        .offset:         64
        .size:           8
        .value_kind:     global_buffer
      - .actual_access:  read_only
        .address_space:  global
        .offset:         72
        .size:           8
        .value_kind:     global_buffer
      - .actual_access:  read_only
        .address_space:  global
        .offset:         80
        .size:           8
        .value_kind:     global_buffer
      - .offset:         88
        .size:           16
        .value_kind:     by_value
      - .actual_access:  read_only
        .address_space:  global
        .offset:         104
        .size:           8
        .value_kind:     global_buffer
      - .actual_access:  read_only
        .address_space:  global
        .offset:         112
        .size:           8
        .value_kind:     global_buffer
      - .actual_access:  read_only
        .address_space:  global
        .offset:         120
        .size:           8
        .value_kind:     global_buffer
      - .actual_access:  read_only
        .address_space:  global
        .offset:         128
        .size:           8
        .value_kind:     global_buffer
      - .actual_access:  read_only
        .address_space:  global
        .offset:         136
        .size:           8
        .value_kind:     global_buffer
      - .actual_access:  write_only
        .address_space:  global
        .offset:         144
        .size:           8
        .value_kind:     global_buffer
      - .address_space:  global
        .offset:         152
        .size:           8
        .value_kind:     global_buffer
      - .offset:         160
        .size:           4
        .value_kind:     by_value
      - .offset:         164
        .size:           4
        .value_kind:     by_value
      - .offset:         168
        .size:           4
        .value_kind:     by_value
      - .offset:         172
        .size:           4
        .value_kind:     by_value
      - .offset:         176
        .size:           1
        .value_kind:     by_value
      - .offset:         177
        .size:           1
        .value_kind:     by_value
      - .offset:         178
        .size:           1
        .value_kind:     by_value
    .group_segment_fixed_size: 43016
    .kernarg_segment_align: 8
    .kernarg_segment_size: 180
    .language:       OpenCL C
    .language_version:
      - 2
      - 0
    .max_flat_workgroup_size: 512
    .name:           _ZN9rocsparseL51csrgemm_numeric_fill_block_per_row_multipass_kernelILj512ELj16ELj2048ELj32Eli21rocsparse_complex_numIdEEEvT4_PKS3_S5_NS_24const_host_device_scalarIT5_EEPKT3_S5_PKS7_SB_S5_SD_S8_SB_S5_SD_SB_S5_PS7_PS9_21rocsparse_index_base_SG_SG_SG_bbb
    .private_segment_fixed_size: 24
    .sgpr_count:     64
    .sgpr_spill_count: 0
    .symbol:         _ZN9rocsparseL51csrgemm_numeric_fill_block_per_row_multipass_kernelILj512ELj16ELj2048ELj32Eli21rocsparse_complex_numIdEEEvT4_PKS3_S5_NS_24const_host_device_scalarIT5_EEPKT3_S5_PKS7_SB_S5_SD_S8_SB_S5_SD_SB_S5_PS7_PS9_21rocsparse_index_base_SG_SG_SG_bbb.kd
    .uniform_work_group_size: 1
    .uses_dynamic_stack: false
    .vgpr_count:     58
    .vgpr_spill_count: 0
    .wavefront_size: 32
    .workgroup_processor_mode: 1
  - .args:
      - .offset:         0
        .size:           4
        .value_kind:     by_value
      - .actual_access:  read_only
        .address_space:  global
        .offset:         8
        .size:           8
        .value_kind:     global_buffer
      - .actual_access:  read_only
        .address_space:  global
        .offset:         16
        .size:           8
        .value_kind:     global_buffer
      - .offset:         24
        .size:           16
        .value_kind:     by_value
      - .actual_access:  read_only
        .address_space:  global
        .offset:         40
        .size:           8
        .value_kind:     global_buffer
      - .actual_access:  read_only
        .address_space:  global
        .offset:         48
        .size:           8
        .value_kind:     global_buffer
      - .actual_access:  read_only
        .address_space:  global
        .offset:         56
        .size:           8
        .value_kind:     global_buffer
      - .actual_access:  read_only
        .address_space:  global
        .offset:         64
        .size:           8
        .value_kind:     global_buffer
      - .actual_access:  read_only
        .address_space:  global
        .offset:         72
        .size:           8
        .value_kind:     global_buffer
      - .actual_access:  read_only
        .address_space:  global
        .offset:         80
        .size:           8
        .value_kind:     global_buffer
      - .offset:         88
        .size:           16
        .value_kind:     by_value
      - .actual_access:  read_only
        .address_space:  global
        .offset:         104
        .size:           8
        .value_kind:     global_buffer
      - .actual_access:  read_only
        .address_space:  global
        .offset:         112
        .size:           8
        .value_kind:     global_buffer
      - .actual_access:  read_only
        .address_space:  global
        .offset:         120
        .size:           8
        .value_kind:     global_buffer
      - .actual_access:  read_only
        .address_space:  global
        .offset:         128
        .size:           8
        .value_kind:     global_buffer
      - .actual_access:  read_only
        .address_space:  global
        .offset:         136
        .size:           8
        .value_kind:     global_buffer
      - .actual_access:  write_only
        .address_space:  global
        .offset:         144
        .size:           8
        .value_kind:     global_buffer
      - .address_space:  global
        .offset:         152
        .size:           8
        .value_kind:     global_buffer
      - .offset:         160
        .size:           4
        .value_kind:     by_value
      - .offset:         164
        .size:           4
        .value_kind:     by_value
      - .offset:         168
        .size:           4
        .value_kind:     by_value
      - .offset:         172
        .size:           4
        .value_kind:     by_value
      - .offset:         176
        .size:           1
        .value_kind:     by_value
      - .offset:         177
        .size:           1
        .value_kind:     by_value
      - .offset:         178
        .size:           1
        .value_kind:     by_value
    .group_segment_fixed_size: 43016
    .kernarg_segment_align: 8
    .kernarg_segment_size: 180
    .language:       OpenCL C
    .language_version:
      - 2
      - 0
    .max_flat_workgroup_size: 512
    .name:           _ZN9rocsparseL51csrgemm_numeric_fill_block_per_row_multipass_kernelILj512ELj16ELj2048ELj64Eli21rocsparse_complex_numIdEEEvT4_PKS3_S5_NS_24const_host_device_scalarIT5_EEPKT3_S5_PKS7_SB_S5_SD_S8_SB_S5_SD_SB_S5_PS7_PS9_21rocsparse_index_base_SG_SG_SG_bbb
    .private_segment_fixed_size: 24
    .sgpr_count:     56
    .sgpr_spill_count: 0
    .symbol:         _ZN9rocsparseL51csrgemm_numeric_fill_block_per_row_multipass_kernelILj512ELj16ELj2048ELj64Eli21rocsparse_complex_numIdEEEvT4_PKS3_S5_NS_24const_host_device_scalarIT5_EEPKT3_S5_PKS7_SB_S5_SD_S8_SB_S5_SD_SB_S5_PS7_PS9_21rocsparse_index_base_SG_SG_SG_bbb.kd
    .uniform_work_group_size: 1
    .uses_dynamic_stack: false
    .vgpr_count:     58
    .vgpr_spill_count: 0
    .wavefront_size: 32
    .workgroup_processor_mode: 1
amdhsa.target:   amdgcn-amd-amdhsa--gfx1100
amdhsa.version:
  - 1
  - 2
...

	.end_amdgpu_metadata
